;; amdgpu-corpus repo=ggml-org/llama.cpp kind=compiled arch=gfx1100 opt=O3
	.text
	.amdgcn_target "amdgcn-amd-amdhsa--gfx1100"
	.amdhsa_code_object_version 6
	.section	.text._ZL18flash_attn_ext_vecILi64ELi1EL9ggml_type6ELS0_3ELb0EEvPKcS2_S2_S2_S2_PKiPfP15HIP_vector_typeIfLj2EEffffjfiS6_IjLj3EEiiiiiiiiiiiliiliiiiil,"axG",@progbits,_ZL18flash_attn_ext_vecILi64ELi1EL9ggml_type6ELS0_3ELb0EEvPKcS2_S2_S2_S2_PKiPfP15HIP_vector_typeIfLj2EEffffjfiS6_IjLj3EEiiiiiiiiiiiliiliiiiil,comdat
	.globl	_ZL18flash_attn_ext_vecILi64ELi1EL9ggml_type6ELS0_3ELb0EEvPKcS2_S2_S2_S2_PKiPfP15HIP_vector_typeIfLj2EEffffjfiS6_IjLj3EEiiiiiiiiiiiliiliiiiil ; -- Begin function _ZL18flash_attn_ext_vecILi64ELi1EL9ggml_type6ELS0_3ELb0EEvPKcS2_S2_S2_S2_PKiPfP15HIP_vector_typeIfLj2EEffffjfiS6_IjLj3EEiiiiiiiiiiiliiliiiiil
	.p2align	8
	.type	_ZL18flash_attn_ext_vecILi64ELi1EL9ggml_type6ELS0_3ELb0EEvPKcS2_S2_S2_S2_PKiPfP15HIP_vector_typeIfLj2EEffffjfiS6_IjLj3EEiiiiiiiiiiiliiliiiiil,@function
_ZL18flash_attn_ext_vecILi64ELi1EL9ggml_type6ELS0_3ELb0EEvPKcS2_S2_S2_S2_PKiPfP15HIP_vector_typeIfLj2EEffffjfiS6_IjLj3EEiiiiiiiiiiiliiliiiiil: ; @_ZL18flash_attn_ext_vecILi64ELi1EL9ggml_type6ELS0_3ELb0EEvPKcS2_S2_S2_S2_PKiPfP15HIP_vector_typeIfLj2EEffffjfiS6_IjLj3EEiiiiiiiiiiiliiliiiiil
; %bb.0:
	s_clause 0x3
	s_load_b64 s[34:35], s[0:1], 0x64
	s_load_b64 s[38:39], s[0:1], 0x80
	;; [unrolled: 1-line block ×3, first 2 shown]
	s_load_b128 s[8:11], s[0:1], 0x40
	v_mov_b32_e32 v16, 1.0
	s_waitcnt lgkmcnt(0)
	v_cvt_f32_u32_e32 v1, s35
	s_sub_i32 s3, 0, s35
	s_delay_alu instid0(VALU_DEP_1) | instskip(SKIP_2) | instid1(VALU_DEP_1)
	v_rcp_iflag_f32_e32 v1, v1
	s_waitcnt_depctr 0xfff
	v_mul_f32_e32 v1, 0x4f7ffffe, v1
	v_cvt_u32_f32_e32 v1, v1
	s_delay_alu instid0(VALU_DEP_1) | instskip(NEXT) | instid1(VALU_DEP_1)
	v_readfirstlane_b32 s2, v1
	s_mul_i32 s3, s3, s2
	s_delay_alu instid0(SALU_CYCLE_1) | instskip(NEXT) | instid1(SALU_CYCLE_1)
	s_mul_hi_u32 s3, s2, s3
	s_add_i32 s2, s2, s3
	s_delay_alu instid0(SALU_CYCLE_1) | instskip(NEXT) | instid1(SALU_CYCLE_1)
	s_mul_hi_u32 s2, s15, s2
	s_mul_i32 s3, s2, s35
	s_add_i32 s4, s2, 1
	s_sub_i32 s3, s15, s3
	s_delay_alu instid0(SALU_CYCLE_1)
	s_sub_i32 s5, s3, s35
	s_cmp_ge_u32 s3, s35
	s_cselect_b32 s2, s4, s2
	s_cselect_b32 s3, s5, s3
	s_add_i32 s4, s2, 1
	s_cmp_ge_u32 s3, s35
	s_cselect_b32 s12, s4, s2
	s_abs_i32 s2, s39
	s_abs_i32 s6, s35
	v_cvt_f32_u32_e32 v1, s2
	s_sub_i32 s4, 0, s2
	s_xor_b32 s5, s35, s39
	s_delay_alu instid0(SALU_CYCLE_1) | instskip(NEXT) | instid1(VALU_DEP_1)
	s_ashr_i32 s5, s5, 31
	v_rcp_iflag_f32_e32 v1, v1
	s_waitcnt_depctr 0xfff
	v_mul_f32_e32 v1, 0x4f7ffffe, v1
	s_delay_alu instid0(VALU_DEP_1) | instskip(NEXT) | instid1(VALU_DEP_1)
	v_cvt_u32_f32_e32 v1, v1
	v_readfirstlane_b32 s3, v1
	s_delay_alu instid0(VALU_DEP_1) | instskip(NEXT) | instid1(SALU_CYCLE_1)
	s_mul_i32 s4, s4, s3
	s_mul_hi_u32 s4, s3, s4
	s_delay_alu instid0(SALU_CYCLE_1) | instskip(SKIP_4) | instid1(SALU_CYCLE_1)
	s_add_i32 s3, s3, s4
	s_mul_i32 s4, s12, s35
	s_mul_hi_u32 s3, s6, s3
	s_sub_i32 s36, s15, s4
	s_mul_i32 s7, s3, s2
	s_sub_i32 s4, s6, s7
	s_add_i32 s6, s3, 1
	s_sub_i32 s7, s4, s2
	s_cmp_ge_u32 s4, s2
	s_cselect_b32 s3, s6, s3
	s_cselect_b32 s4, s7, s4
	s_add_i32 s6, s3, 1
	s_cmp_ge_u32 s4, s2
	s_cselect_b32 s2, s6, s3
	s_abs_i32 s15, s40
	s_xor_b32 s2, s2, s5
	v_cvt_f32_u32_e32 v1, s15
	s_sub_i32 s6, s2, s5
	s_load_b32 s2, s[0:1], 0x50
	s_abs_i32 s33, s6
	v_cmp_le_f32_e64 s3, s9, 0
	v_cvt_f32_u32_e32 v2, s33
	v_rcp_iflag_f32_e32 v1, v1
	s_sub_i32 s4, 0, s33
	s_abs_i32 s40, s36
	s_and_b32 vcc_lo, exec_lo, s3
	v_rcp_iflag_f32_e32 v2, v2
	s_sub_i32 s3, 0, s15
	s_abs_i32 s39, s12
	s_waitcnt_depctr 0xfff
	v_dual_mul_f32 v1, 0x4f7ffffe, v1 :: v_dual_mul_f32 v2, 0x4f7ffffe, v2
	s_delay_alu instid0(VALU_DEP_1) | instskip(NEXT) | instid1(VALU_DEP_2)
	v_cvt_u32_f32_e32 v1, v1
	v_cvt_u32_f32_e32 v2, v2
	s_delay_alu instid0(VALU_DEP_2) | instskip(NEXT) | instid1(VALU_DEP_2)
	v_readfirstlane_b32 s5, v1
	v_readfirstlane_b32 s7, v2
	s_delay_alu instid0(VALU_DEP_2) | instskip(NEXT) | instid1(SALU_CYCLE_1)
	s_mul_i32 s3, s3, s5
	s_mul_hi_u32 s3, s5, s3
	s_delay_alu instid0(VALU_DEP_1) | instskip(SKIP_2) | instid1(SALU_CYCLE_1)
	s_mul_i32 s4, s4, s7
	s_add_i32 s5, s5, s3
	s_mul_hi_u32 s4, s7, s4
	s_add_i32 s7, s7, s4
	s_cbranch_vccnz .LBB0_2
; %bb.1:
	s_waitcnt lgkmcnt(0)
	s_sub_i32 s3, s36, s2
	s_add_i32 s4, s36, 1
	s_lshl_b32 s3, s3, 1
	v_mov_b32_e32 v1, s10
	s_or_b32 s3, s3, 1
	s_cmp_lt_u32 s36, s2
	s_cselect_b32 vcc_lo, -1, 0
	s_delay_alu instid0(VALU_DEP_1)
	v_cndmask_b32_e32 v3, s11, v1, vcc_lo
	s_and_b32 s2, vcc_lo, exec_lo
	s_cselect_b32 s2, s4, s3
	s_mov_b32 s3, 0x3e76c4e1
	v_cvt_f32_i32_e32 v1, s2
	v_cmp_neq_f32_e32 vcc_lo, 1.0, v3
	s_delay_alu instid0(VALU_DEP_2) | instskip(NEXT) | instid1(VALU_DEP_1)
	v_cndmask_b32_e32 v4, 1.0, v1, vcc_lo
	v_cmp_eq_f32_e32 vcc_lo, 0, v4
	v_cndmask_b32_e64 v5, |v3|, 1.0, vcc_lo
	s_delay_alu instid0(VALU_DEP_1) | instskip(NEXT) | instid1(VALU_DEP_1)
	v_frexp_mant_f32_e32 v1, v5
	v_cmp_gt_f32_e64 s2, 0x3f2aaaab, v1
	s_delay_alu instid0(VALU_DEP_1) | instskip(NEXT) | instid1(VALU_DEP_1)
	v_cndmask_b32_e64 v2, 1.0, 2.0, s2
	v_mul_f32_e32 v1, v1, v2
	s_delay_alu instid0(VALU_DEP_1) | instskip(SKIP_1) | instid1(VALU_DEP_2)
	v_add_f32_e32 v2, 1.0, v1
	v_add_f32_e32 v7, -1.0, v1
	v_rcp_f32_e32 v6, v2
	s_waitcnt_depctr 0xfff
	v_mul_f32_e32 v8, v7, v6
	s_delay_alu instid0(VALU_DEP_1) | instskip(NEXT) | instid1(VALU_DEP_1)
	v_dual_add_f32 v9, -1.0, v2 :: v_dual_mul_f32 v10, v2, v8
	v_sub_f32_e32 v1, v1, v9
	v_cndmask_b32_e64 v3, v3, 1.0, vcc_lo
	s_delay_alu instid0(VALU_DEP_3) | instskip(NEXT) | instid1(VALU_DEP_2)
	v_fma_f32 v2, v8, v2, -v10
	v_cmp_eq_f32_e64 s4, 0, v3
	s_delay_alu instid0(VALU_DEP_2) | instskip(NEXT) | instid1(VALU_DEP_1)
	v_fmac_f32_e32 v2, v8, v1
	v_add_f32_e32 v1, v10, v2
	s_delay_alu instid0(VALU_DEP_1) | instskip(NEXT) | instid1(VALU_DEP_1)
	v_dual_sub_f32 v10, v1, v10 :: v_dual_sub_f32 v9, v7, v1
	v_dual_sub_f32 v2, v10, v2 :: v_dual_sub_f32 v7, v7, v9
	s_delay_alu instid0(VALU_DEP_1) | instskip(NEXT) | instid1(VALU_DEP_1)
	v_sub_f32_e32 v1, v7, v1
	v_add_f32_e32 v1, v2, v1
	s_delay_alu instid0(VALU_DEP_1) | instskip(NEXT) | instid1(VALU_DEP_1)
	v_add_f32_e32 v1, v9, v1
	v_mul_f32_e32 v1, v6, v1
	s_delay_alu instid0(VALU_DEP_1) | instskip(NEXT) | instid1(VALU_DEP_1)
	v_add_f32_e32 v6, v8, v1
	v_sub_f32_e32 v2, v6, v8
	v_mul_f32_e32 v7, v6, v6
	s_delay_alu instid0(VALU_DEP_2) | instskip(NEXT) | instid1(VALU_DEP_2)
	v_sub_f32_e32 v8, v1, v2
	v_fma_f32 v9, v6, v6, -v7
	s_delay_alu instid0(VALU_DEP_2) | instskip(NEXT) | instid1(VALU_DEP_1)
	v_add_f32_e32 v1, v8, v8
	v_fmac_f32_e32 v9, v6, v1
	v_cvt_f64_f32_e32 v[1:2], v5
	s_delay_alu instid0(VALU_DEP_2) | instskip(NEXT) | instid1(VALU_DEP_1)
	v_add_f32_e32 v10, v7, v9
	v_fmaak_f32 v11, s3, v10, 0x3e91f4c4
	v_sub_f32_e32 v7, v10, v7
	v_mul_f32_e32 v14, v6, v10
	s_delay_alu instid0(VALU_DEP_3) | instskip(NEXT) | instid1(VALU_DEP_3)
	v_fmaak_f32 v11, v10, v11, 0x3ecccdef
	v_sub_f32_e32 v7, v9, v7
	s_delay_alu instid0(VALU_DEP_2) | instskip(NEXT) | instid1(VALU_DEP_1)
	v_mul_f32_e32 v12, v10, v11
	v_fma_f32 v9, v10, v11, -v12
	s_delay_alu instid0(VALU_DEP_1) | instskip(NEXT) | instid1(VALU_DEP_1)
	v_fmac_f32_e32 v9, v7, v11
	v_add_f32_e32 v11, v12, v9
	v_frexp_exp_i32_f64_e32 v1, v[1:2]
	s_delay_alu instid0(VALU_DEP_2) | instskip(NEXT) | instid1(VALU_DEP_1)
	v_sub_f32_e32 v12, v11, v12
	v_sub_f32_e32 v2, v9, v12
	v_fma_f32 v12, v10, v6, -v14
	s_delay_alu instid0(VALU_DEP_2) | instskip(NEXT) | instid1(VALU_DEP_2)
	v_add_f32_e32 v2, 0x31739010, v2
	v_dual_add_f32 v13, 0x3f2aaaaa, v11 :: v_dual_fmac_f32 v12, v10, v8
	v_ldexp_f32 v8, v8, 1
	s_delay_alu instid0(VALU_DEP_2) | instskip(NEXT) | instid1(VALU_DEP_1)
	v_dual_add_f32 v9, 0xbf2aaaaa, v13 :: v_dual_fmac_f32 v12, v7, v6
	v_sub_f32_e32 v9, v11, v9
	s_delay_alu instid0(VALU_DEP_1) | instskip(NEXT) | instid1(VALU_DEP_3)
	v_add_f32_e32 v2, v2, v9
	v_add_f32_e32 v9, v14, v12
	s_delay_alu instid0(VALU_DEP_2) | instskip(NEXT) | instid1(VALU_DEP_1)
	v_add_f32_e32 v7, v13, v2
	v_sub_f32_e32 v10, v13, v7
	s_delay_alu instid0(VALU_DEP_3) | instskip(SKIP_2) | instid1(VALU_DEP_4)
	v_mul_f32_e32 v11, v9, v7
	v_sub_f32_e32 v13, v9, v14
	v_subrev_co_ci_u32_e64 v1, s2, 0, v1, s2
	v_add_f32_e32 v2, v2, v10
	s_delay_alu instid0(VALU_DEP_4) | instskip(NEXT) | instid1(VALU_DEP_4)
	v_fma_f32 v10, v9, v7, -v11
	v_sub_f32_e32 v12, v12, v13
	s_delay_alu instid0(VALU_DEP_4) | instskip(NEXT) | instid1(VALU_DEP_3)
	v_cvt_f32_i32_e32 v1, v1
	v_fmac_f32_e32 v10, v9, v2
	v_ldexp_f32 v2, v6, 1
	s_delay_alu instid0(VALU_DEP_2) | instskip(NEXT) | instid1(VALU_DEP_1)
	v_fmac_f32_e32 v10, v12, v7
	v_add_f32_e32 v6, v11, v10
	s_delay_alu instid0(VALU_DEP_1) | instskip(NEXT) | instid1(VALU_DEP_1)
	v_add_f32_e32 v7, v2, v6
	v_dual_sub_f32 v2, v7, v2 :: v_dual_sub_f32 v9, v6, v11
	s_delay_alu instid0(VALU_DEP_1) | instskip(NEXT) | instid1(VALU_DEP_2)
	v_sub_f32_e32 v2, v6, v2
	v_sub_f32_e32 v9, v10, v9
	s_delay_alu instid0(VALU_DEP_1) | instskip(NEXT) | instid1(VALU_DEP_1)
	v_add_f32_e32 v6, v8, v9
	v_dual_mul_f32 v11, 0x3f317218, v1 :: v_dual_add_f32 v2, v6, v2
	s_delay_alu instid0(VALU_DEP_1) | instskip(NEXT) | instid1(VALU_DEP_2)
	v_fma_f32 v10, 0x3f317218, v1, -v11
	v_add_f32_e32 v8, v7, v2
	s_delay_alu instid0(VALU_DEP_1) | instskip(NEXT) | instid1(VALU_DEP_1)
	v_sub_f32_e32 v7, v8, v7
	v_dual_fmamk_f32 v1, v1, 0xb102e308, v10 :: v_dual_sub_f32 v2, v2, v7
	s_delay_alu instid0(VALU_DEP_1) | instskip(NEXT) | instid1(VALU_DEP_1)
	v_add_f32_e32 v6, v11, v1
	v_add_f32_e32 v9, v6, v8
	s_delay_alu instid0(VALU_DEP_1) | instskip(NEXT) | instid1(VALU_DEP_1)
	v_dual_sub_f32 v11, v6, v11 :: v_dual_sub_f32 v10, v9, v6
	v_sub_f32_e32 v12, v9, v10
	s_delay_alu instid0(VALU_DEP_2) | instskip(NEXT) | instid1(VALU_DEP_2)
	v_sub_f32_e32 v1, v1, v11
	v_dual_sub_f32 v7, v8, v10 :: v_dual_sub_f32 v6, v6, v12
	s_delay_alu instid0(VALU_DEP_2) | instskip(NEXT) | instid1(VALU_DEP_2)
	v_add_f32_e32 v8, v1, v2
	v_add_f32_e32 v6, v7, v6
	s_delay_alu instid0(VALU_DEP_1) | instskip(NEXT) | instid1(VALU_DEP_1)
	v_add_f32_e32 v6, v8, v6
	v_dual_sub_f32 v7, v8, v1 :: v_dual_add_f32 v10, v9, v6
	s_delay_alu instid0(VALU_DEP_1) | instskip(SKIP_1) | instid1(VALU_DEP_3)
	v_sub_f32_e32 v8, v8, v7
	v_sub_f32_e32 v2, v2, v7
	v_sub_f32_e32 v7, v10, v9
	s_delay_alu instid0(VALU_DEP_3) | instskip(NEXT) | instid1(VALU_DEP_1)
	v_sub_f32_e32 v1, v1, v8
	v_add_f32_e32 v1, v2, v1
	s_delay_alu instid0(VALU_DEP_3) | instskip(NEXT) | instid1(VALU_DEP_1)
	v_sub_f32_e32 v2, v6, v7
	v_add_f32_e32 v1, v1, v2
	s_delay_alu instid0(VALU_DEP_1) | instskip(NEXT) | instid1(VALU_DEP_1)
	v_add_f32_e32 v2, v10, v1
	v_mul_f32_e32 v7, v4, v2
	v_sub_f32_e32 v6, v2, v10
	s_delay_alu instid0(VALU_DEP_2) | instskip(NEXT) | instid1(VALU_DEP_2)
	v_fma_f32 v2, v4, v2, -v7
	v_sub_f32_e32 v1, v1, v6
	v_cmp_class_f32_e64 s2, v7, 0x204
	s_delay_alu instid0(VALU_DEP_2) | instskip(NEXT) | instid1(VALU_DEP_1)
	v_fmac_f32_e32 v2, v4, v1
	v_add_f32_e32 v1, v7, v2
	s_delay_alu instid0(VALU_DEP_1) | instskip(NEXT) | instid1(VALU_DEP_1)
	v_cndmask_b32_e64 v6, v1, v7, s2
	v_cmp_eq_f32_e64 s2, 0x42b17218, v6
	s_delay_alu instid0(VALU_DEP_1) | instskip(SKIP_1) | instid1(VALU_DEP_2)
	v_cndmask_b32_e64 v8, 0, 0x37000000, s2
	v_cmp_neq_f32_e64 s2, 0x7f800000, |v6|
	v_sub_f32_e32 v9, v6, v8
	v_trunc_f32_e32 v6, v4
	s_delay_alu instid0(VALU_DEP_2) | instskip(NEXT) | instid1(VALU_DEP_1)
	v_mul_f32_e32 v10, 0x3fb8aa3b, v9
	v_fma_f32 v11, 0x3fb8aa3b, v9, -v10
	v_rndne_f32_e32 v12, v10
	s_delay_alu instid0(VALU_DEP_1) | instskip(NEXT) | instid1(VALU_DEP_1)
	v_dual_fmamk_f32 v11, v9, 0x32a5705f, v11 :: v_dual_sub_f32 v10, v10, v12
	v_add_f32_e32 v10, v10, v11
	v_sub_f32_e32 v1, v1, v7
	v_cvt_i32_f32_e32 v7, v12
	s_delay_alu instid0(VALU_DEP_3) | instskip(NEXT) | instid1(VALU_DEP_2)
	v_exp_f32_e32 v10, v10
	v_sub_f32_e32 v1, v2, v1
	s_delay_alu instid0(VALU_DEP_1)
	v_cndmask_b32_e64 v1, 0, v1, s2
	v_cmp_ngt_f32_e64 s2, 0xc2ce8ed0, v9
	s_waitcnt_depctr 0xfff
	v_ldexp_f32 v2, v10, v7
	v_mul_f32_e32 v7, 0.5, v4
	v_add_f32_e32 v1, v8, v1
	s_delay_alu instid0(VALU_DEP_3) | instskip(NEXT) | instid1(VALU_DEP_3)
	v_cndmask_b32_e64 v2, 0, v2, s2
	v_trunc_f32_e32 v10, v7
	v_cmp_nlt_f32_e64 s2, 0x42b17218, v9
	s_delay_alu instid0(VALU_DEP_2) | instskip(NEXT) | instid1(VALU_DEP_2)
	v_cmp_neq_f32_e64 s3, v10, v7
	v_cndmask_b32_e64 v2, 0x7f800000, v2, s2
	v_cmp_eq_f32_e64 s2, v6, v4
	s_delay_alu instid0(VALU_DEP_2) | instskip(NEXT) | instid1(VALU_DEP_2)
	v_fma_f32 v1, v2, v1, v2
	s_and_b32 vcc_lo, s2, s3
	v_cmp_class_f32_e64 s3, v2, 0x204
	v_cndmask_b32_e32 v6, 1.0, v3, vcc_lo
	s_delay_alu instid0(VALU_DEP_2) | instskip(SKIP_1) | instid1(VALU_DEP_2)
	v_cndmask_b32_e64 v1, v1, v2, s3
	v_cmp_gt_f32_e64 s3, 0, v4
	v_bfi_b32 v1, 0x7fffffff, v1, v6
	s_delay_alu instid0(VALU_DEP_2)
	s_xor_b32 s3, s3, s4
	v_cndmask_b32_e32 v6, 0, v3, vcc_lo
	v_cndmask_b32_e64 v2, 0x7f800000, 0, s3
	v_cmp_eq_f32_e32 vcc_lo, 0x7f800000, v5
	v_cndmask_b32_e64 v4, 0x7fc00000, v1, s2
	v_cmp_gt_f32_e64 s2, 0, v3
	s_delay_alu instid0(VALU_DEP_4) | instskip(SKIP_1) | instid1(VALU_DEP_2)
	v_bfi_b32 v2, 0x7fffffff, v2, v6
	s_or_b32 vcc_lo, vcc_lo, s4
	v_cndmask_b32_e64 v1, v1, v4, s2
	s_delay_alu instid0(VALU_DEP_1) | instskip(SKIP_1) | instid1(VALU_DEP_2)
	v_cndmask_b32_e32 v1, v1, v2, vcc_lo
	v_cmp_o_f32_e32 vcc_lo, v3, v3
	v_cndmask_b32_e32 v16, 0x7fc00000, v1, vcc_lo
.LBB0_2:
	s_load_b512 s[16:31], s[0:1], 0x0
	v_bfe_u32 v14, v0, 10, 10
	v_and_b32_e32 v15, 0x3ff, v0
	s_mul_hi_u32 s10, s40, s7
	s_mul_hi_u32 s11, s39, s5
	s_waitcnt lgkmcnt(0)
	v_cmp_eq_u32_e64 s2, 0, v14
	s_delay_alu instid0(VALU_DEP_1)
	s_and_saveexec_b32 s7, s2
	s_cbranch_execz .LBB0_15
; %bb.3:
	s_load_b128 s[44:47], s[0:1], 0x70
	v_dual_mov_b32 v3, 0 :: v_dual_lshlrev_b32 v0, 4, v15
	v_cmp_gt_u32_e32 vcc_lo, 16, v15
	v_mov_b32_e32 v2, 0
	s_waitcnt lgkmcnt(0)
	s_mul_i32 s3, s12, s46
	s_mul_i32 s4, s13, s44
	;; [unrolled: 1-line block ×3, first 2 shown]
	s_add_i32 s3, s3, s4
	s_delay_alu instid0(SALU_CYCLE_1) | instskip(NEXT) | instid1(SALU_CYCLE_1)
	s_add_i32 s3, s3, s5
	s_ashr_i32 s4, s3, 31
	s_add_u32 s3, s16, s3
	s_addc_u32 s4, s17, s4
	v_add_co_u32 v0, s3, s3, v0
	s_delay_alu instid0(VALU_DEP_1)
	v_add_co_ci_u32_e64 v1, null, s4, 0, s3
	s_and_saveexec_b32 s3, vcc_lo
	s_cbranch_execz .LBB0_5
; %bb.4:
	global_load_b32 v3, v[0:1], off
	s_waitcnt vmcnt(0)
	v_mul_f32_e32 v3, s8, v3
.LBB0_5:
	s_or_b32 exec_lo, exec_lo, s3
	s_and_saveexec_b32 s3, vcc_lo
	s_cbranch_execz .LBB0_7
; %bb.6:
	global_load_b32 v2, v[0:1], off offset:4
	s_waitcnt vmcnt(0)
	v_mul_f32_e32 v2, s8, v2
.LBB0_7:
	s_or_b32 exec_lo, exec_lo, s3
	v_dual_mov_b32 v4, 0 :: v_dual_mov_b32 v5, 0
	s_and_saveexec_b32 s3, vcc_lo
	s_cbranch_execz .LBB0_9
; %bb.8:
	global_load_b32 v5, v[0:1], off offset:8
	s_waitcnt vmcnt(0)
	v_mul_f32_e32 v5, s8, v5
.LBB0_9:
	s_or_b32 exec_lo, exec_lo, s3
	s_and_saveexec_b32 s3, vcc_lo
	s_cbranch_execz .LBB0_11
; %bb.10:
	global_load_b32 v0, v[0:1], off offset:12
	s_waitcnt vmcnt(0)
	v_mul_f32_e32 v4, s8, v0
.LBB0_11:
	s_or_b32 exec_lo, exec_lo, s3
	v_mbcnt_lo_u32_b32 v0, -1, 0
	v_max_f32_e64 v1, |v2|, |v2|
	v_max_f32_e64 v6, |v3|, |v3|
	s_mov_b32 s8, exec_lo
	s_delay_alu instid0(VALU_DEP_3) | instskip(SKIP_2) | instid1(VALU_DEP_3)
	v_xor_b32_e32 v7, 4, v0
	v_xor_b32_e32 v8, 2, v0
	;; [unrolled: 1-line block ×3, first 2 shown]
	v_cmp_gt_i32_e32 vcc_lo, 32, v7
	v_dual_max_f32 v1, v6, v1 :: v_dual_cndmask_b32 v6, v0, v7
	s_delay_alu instid0(VALU_DEP_1) | instskip(SKIP_1) | instid1(VALU_DEP_3)
	v_max3_f32 v1, v1, |v5|, |v4|
	v_cmp_gt_i32_e32 vcc_lo, 32, v8
	v_lshlrev_b32_e32 v6, 2, v6
	ds_bpermute_b32 v7, v6, v1
	s_waitcnt lgkmcnt(0)
	v_dual_max_f32 v7, v7, v7 :: v_dual_cndmask_b32 v8, v0, v8
	v_cmp_gt_i32_e32 vcc_lo, 32, v9
	s_delay_alu instid0(VALU_DEP_2) | instskip(SKIP_4) | instid1(VALU_DEP_2)
	v_dual_max_f32 v1, v1, v7 :: v_dual_lshlrev_b32 v8, 2, v8
	ds_bpermute_b32 v7, v8, v1
	s_waitcnt lgkmcnt(0)
	v_dual_max_f32 v7, v7, v7 :: v_dual_cndmask_b32 v0, v0, v9
	v_add_f32_e32 v9, v3, v2
	v_dual_max_f32 v1, v1, v7 :: v_dual_lshlrev_b32 v0, 2, v0
	s_delay_alu instid0(VALU_DEP_2)
	v_add_f32_e32 v9, v9, v5
	ds_bpermute_b32 v7, v0, v1
	v_add_f32_e32 v9, v9, v4
	ds_bpermute_b32 v6, v6, v9
	s_waitcnt lgkmcnt(1)
	v_max_f32_e32 v7, v7, v7
	s_delay_alu instid0(VALU_DEP_1) | instskip(SKIP_2) | instid1(VALU_DEP_2)
	v_max_f32_e32 v7, v1, v7
	s_waitcnt lgkmcnt(0)
	v_add_f32_e32 v1, v9, v6
	v_div_scale_f32 v10, null, 0x42fe0000, 0x42fe0000, v7
	v_div_scale_f32 v9, vcc_lo, v7, 0x42fe0000, v7
	ds_bpermute_b32 v8, v8, v1
	v_rcp_f32_e32 v11, v10
	s_waitcnt_depctr 0xfff
	v_fma_f32 v6, -v10, v11, 1.0
	s_delay_alu instid0(VALU_DEP_1) | instskip(SKIP_2) | instid1(VALU_DEP_2)
	v_fmac_f32_e32 v11, v6, v11
	s_waitcnt lgkmcnt(0)
	v_add_f32_e32 v1, v1, v8
	v_mul_f32_e32 v12, v9, v11
	s_delay_alu instid0(VALU_DEP_1) | instskip(NEXT) | instid1(VALU_DEP_1)
	v_fma_f32 v6, -v10, v12, v9
	v_fmac_f32_e32 v12, v6, v11
	ds_bpermute_b32 v6, v0, v1
	v_fma_f32 v8, -v10, v12, v9
	s_delay_alu instid0(VALU_DEP_1) | instskip(NEXT) | instid1(VALU_DEP_1)
	v_div_fmas_f32 v0, v8, v11, v12
	v_div_fixup_f32 v0, v0, 0x42fe0000, v7
	v_mov_b32_e32 v7, 0
	s_delay_alu instid0(VALU_DEP_2)
	v_cmpx_neq_f32_e32 0, v0
	s_cbranch_execz .LBB0_13
; %bb.12:
	v_div_scale_f32 v7, null, v0, v0, v3
	v_div_scale_f32 v8, null, v0, v0, v2
	;; [unrolled: 1-line block ×3, first 2 shown]
	s_delay_alu instid0(VALU_DEP_3) | instskip(NEXT) | instid1(VALU_DEP_2)
	v_rcp_f32_e32 v9, v7
	v_rcp_f32_e32 v12, v8
	v_div_scale_f32 v20, vcc_lo, v3, v0, v3
	s_delay_alu instid0(VALU_DEP_2) | instskip(SKIP_1) | instid1(VALU_DEP_1)
	v_rcp_f32_e32 v17, v11
	v_div_scale_f32 v10, null, v0, v0, v5
	v_rcp_f32_e32 v13, v10
	v_fma_f32 v18, -v7, v9, 1.0
	s_delay_alu instid0(TRANS32_DEP_3) | instskip(SKIP_4) | instid1(VALU_DEP_3)
	v_fma_f32 v19, -v8, v12, 1.0
	s_waitcnt_depctr 0xfff
	v_fma_f32 v22, -v11, v17, 1.0
	v_dual_fmac_f32 v9, v18, v9 :: v_dual_fmac_f32 v12, v19, v12
	v_div_scale_f32 v18, s3, v2, v0, v2
	v_fmac_f32_e32 v17, v22, v17
	s_delay_alu instid0(VALU_DEP_3) | instskip(SKIP_1) | instid1(VALU_DEP_4)
	v_mul_f32_e32 v22, v20, v9
	v_fma_f32 v21, -v10, v13, 1.0
	v_mul_f32_e32 v23, v18, v12
	v_div_scale_f32 v19, s4, v5, v0, v5
	s_delay_alu instid0(VALU_DEP_4) | instskip(NEXT) | instid1(VALU_DEP_3)
	v_fma_f32 v26, -v7, v22, v20
	v_fma_f32 v27, -v8, v23, v18
	s_delay_alu instid0(VALU_DEP_1) | instskip(NEXT) | instid1(VALU_DEP_1)
	v_dual_fmac_f32 v22, v26, v9 :: v_dual_fmac_f32 v23, v27, v12
	v_fma_f32 v7, -v7, v22, v20
	s_delay_alu instid0(VALU_DEP_2) | instskip(NEXT) | instid1(VALU_DEP_2)
	v_fma_f32 v8, -v8, v23, v18
	v_div_fmas_f32 v7, v7, v9, v22
	s_mov_b32 vcc_lo, s3
	s_delay_alu instid0(VALU_DEP_2) | instskip(SKIP_1) | instid1(VALU_DEP_2)
	v_div_fmas_f32 v8, v8, v12, v23
	s_mov_b32 vcc_lo, s4
	v_div_fixup_f32 v3, v7, v0, v3
	s_delay_alu instid0(VALU_DEP_2) | instskip(NEXT) | instid1(VALU_DEP_2)
	v_div_fixup_f32 v2, v8, v0, v2
	v_trunc_f32_e32 v12, v3
	v_fmac_f32_e32 v13, v21, v13
	v_div_scale_f32 v21, s5, v4, v0, v4
	s_delay_alu instid0(VALU_DEP_2) | instskip(NEXT) | instid1(VALU_DEP_2)
	v_mul_f32_e32 v24, v19, v13
	v_mul_f32_e32 v25, v21, v17
	s_delay_alu instid0(VALU_DEP_2) | instskip(NEXT) | instid1(VALU_DEP_2)
	v_fma_f32 v28, -v10, v24, v19
	v_fma_f32 v29, -v11, v25, v21
	s_delay_alu instid0(VALU_DEP_2) | instskip(NEXT) | instid1(VALU_DEP_2)
	v_fmac_f32_e32 v24, v28, v13
	v_fmac_f32_e32 v25, v29, v17
	s_delay_alu instid0(VALU_DEP_2) | instskip(NEXT) | instid1(VALU_DEP_1)
	v_fma_f32 v10, -v10, v24, v19
	v_div_fmas_f32 v9, v10, v13, v24
	s_delay_alu instid0(VALU_DEP_3) | instskip(SKIP_1) | instid1(VALU_DEP_2)
	v_fma_f32 v10, -v11, v25, v21
	s_mov_b32 vcc_lo, s5
	v_div_fixup_f32 v5, v9, v0, v5
	s_delay_alu instid0(VALU_DEP_2) | instskip(NEXT) | instid1(VALU_DEP_2)
	v_div_fmas_f32 v9, v10, v17, v25
	v_trunc_f32_e32 v8, v5
	s_delay_alu instid0(VALU_DEP_2) | instskip(SKIP_1) | instid1(VALU_DEP_3)
	v_div_fixup_f32 v4, v9, v0, v4
	v_trunc_f32_e32 v9, v2
	v_sub_f32_e32 v10, v5, v8
	s_delay_alu instid0(VALU_DEP_3) | instskip(NEXT) | instid1(VALU_DEP_3)
	v_trunc_f32_e32 v7, v4
	v_sub_f32_e32 v11, v2, v9
	s_delay_alu instid0(VALU_DEP_3) | instskip(NEXT) | instid1(VALU_DEP_3)
	v_cmp_ge_f32_e64 s3, |v10|, 0.5
	v_sub_f32_e32 v13, v4, v7
	s_delay_alu instid0(VALU_DEP_2) | instskip(NEXT) | instid1(VALU_DEP_4)
	v_cndmask_b32_e64 v10, 0, 1.0, s3
	v_cmp_ge_f32_e64 s3, |v11|, 0.5
	s_delay_alu instid0(VALU_DEP_2) | instskip(NEXT) | instid1(VALU_DEP_2)
	v_bfi_b32 v5, 0x7fffffff, v10, v5
	v_cndmask_b32_e64 v11, 0, 1.0, s3
	v_sub_f32_e32 v10, v3, v12
	v_cmp_ge_f32_e64 s3, |v13|, 0.5
	s_delay_alu instid0(VALU_DEP_3) | instskip(NEXT) | instid1(VALU_DEP_2)
	v_bfi_b32 v2, 0x7fffffff, v11, v2
	v_cndmask_b32_e64 v13, 0, 1.0, s3
	s_delay_alu instid0(VALU_DEP_4) | instskip(NEXT) | instid1(VALU_DEP_3)
	v_cmp_ge_f32_e64 s3, |v10|, 0.5
	v_add_f32_e32 v2, v9, v2
	s_delay_alu instid0(VALU_DEP_3) | instskip(NEXT) | instid1(VALU_DEP_2)
	v_bfi_b32 v4, 0x7fffffff, v13, v4
	v_cvt_i32_f32_e32 v2, v2
	s_delay_alu instid0(VALU_DEP_2) | instskip(NEXT) | instid1(VALU_DEP_2)
	v_add_f32_e32 v4, v7, v4
	v_dual_add_f32 v5, v8, v5 :: v_dual_and_b32 v2, 0xff, v2
	v_cndmask_b32_e64 v8, 0, 1.0, s3
	s_delay_alu instid0(VALU_DEP_3) | instskip(NEXT) | instid1(VALU_DEP_3)
	v_cvt_i32_f32_e32 v4, v4
	v_lshlrev_b32_e32 v2, 8, v2
	s_delay_alu instid0(VALU_DEP_4) | instskip(NEXT) | instid1(VALU_DEP_4)
	v_cvt_i32_f32_e32 v5, v5
	v_bfi_b32 v3, 0x7fffffff, v8, v3
	s_delay_alu instid0(VALU_DEP_2) | instskip(NEXT) | instid1(VALU_DEP_2)
	v_and_b32_e32 v5, 0xff, v5
	v_add_f32_e32 v3, v12, v3
	s_delay_alu instid0(VALU_DEP_2) | instskip(NEXT) | instid1(VALU_DEP_2)
	v_lshlrev_b32_e32 v5, 16, v5
	v_cvt_i32_f32_e32 v3, v3
	s_delay_alu instid0(VALU_DEP_2) | instskip(NEXT) | instid1(VALU_DEP_2)
	v_lshl_or_b32 v4, v4, 24, v5
	v_and_b32_e32 v3, 0xff, v3
	s_delay_alu instid0(VALU_DEP_1)
	v_or3_b32 v7, v4, v2, v3
.LBB0_13:
	s_or_b32 exec_lo, exec_lo, s8
	v_and_b32_e32 v2, 0x77, v15
	v_lshlrev_b32_e32 v3, 2, v15
	s_delay_alu instid0(VALU_DEP_2)
	v_cmp_eq_u32_e32 vcc_lo, 0, v2
	ds_store_b32 v3, v7
	s_and_b32 exec_lo, exec_lo, vcc_lo
	s_cbranch_execz .LBB0_15
; %bb.14:
	s_waitcnt lgkmcnt(1)
	v_add_f32_e32 v1, v1, v6
	ds_store_b64 v15, v[0:1] offset:64
.LBB0_15:
	s_or_b32 exec_lo, exec_lo, s7
	v_and_b32_e32 v13, 1, v15
	v_mov_b32_e32 v105, 0
	s_waitcnt lgkmcnt(0)
	s_barrier
	buffer_gl0_inv
	v_lshlrev_b32_e32 v21, 2, v13
	s_ashr_i32 s37, s36, 31
	s_ashr_i32 s3, s6, 31
	;; [unrolled: 1-line block ×3, first 2 shown]
	s_cmp_eq_u64 s[26:27], 0
	ds_load_2addr_b32 v[4:5], v21 offset1:2
	ds_load_2addr_b32 v[6:7], v21 offset0:4 offset1:6
	ds_load_2addr_b32 v[8:9], v21 offset0:8 offset1:10
	ds_load_2addr_b32 v[10:11], v21 offset0:12 offset1:14
	ds_load_b128 v[0:3], v105 offset:64
	s_waitcnt lgkmcnt(0)
	s_barrier
	buffer_gl0_inv
	s_cbranch_scc1 .LBB0_17
; %bb.16:
	s_load_b32 s4, s[0:1], 0xd0
	s_mov_b32 s5, 0
	s_waitcnt lgkmcnt(0)
	s_mul_i32 s4, s4, s12
	s_delay_alu instid0(SALU_CYCLE_1) | instskip(NEXT) | instid1(SALU_CYCLE_1)
	s_add_i32 s4, s4, s13
	s_lshl_b64 s[4:5], s[4:5], 2
	s_delay_alu instid0(SALU_CYCLE_1)
	s_add_u32 s4, s26, s4
	s_addc_u32 s5, s27, s5
	s_load_b32 s38, s[4:5], 0x0
.LBB0_17:
	v_dual_mov_b32 v109, 0 :: v_dual_lshlrev_b32 v12, 5, v14
	v_dual_mov_b32 v110, 0 :: v_dual_lshlrev_b32 v19, 2, v15
	v_mbcnt_lo_u32_b32 v20, -1, 0
	s_delay_alu instid0(VALU_DEP_3)
	v_dual_mov_b32 v106, 0xfeffffff :: v_dual_add_nc_u32 v17, v12, v15
	s_lshl_b32 s8, s14, 7
	s_mov_b32 s9, 0
	s_waitcnt lgkmcnt(0)
	s_cmp_ge_i32 s8, s38
	v_lshlrev_b32_e32 v18, 1, v17
	s_cbranch_scc1 .LBB0_25
; %bb.18:
	s_clause 0x1
	s_load_b128 s[4:7], s[0:1], 0x98
	s_load_b64 s[16:17], s[0:1], 0x8c
	s_mul_i32 s26, s10, s33
	s_mul_i32 s44, s11, s15
	s_sub_i32 s11, s40, s26
	s_xor_b32 s3, s37, s3
	s_add_i32 s27, s10, 1
	v_dual_add_f32 v1, v1, v1 :: v_dual_and_b32 v24, 30, v20
	v_xor_b32_e32 v26, 1, v20
	s_mul_i32 s48, s13, s41
	v_xor_b32_e32 v28, 16, v20
	v_bfe_u32 v30, v15, 3, 1
	v_add_nc_u32_e32 v27, 2, v24
	v_lshrrev_b32_e32 v34, 4, v15
	v_and_b32_e32 v35, 12, v19
	v_add_f32_e32 v3, v3, v3
	v_or_b32_e32 v22, 8, v21
	v_cmp_lt_i32_e32 vcc_lo, v26, v27
	v_and_b32_e32 v25, 0x7e, v15
	s_waitcnt lgkmcnt(0)
	s_mul_i32 s5, s12, s5
	s_mul_hi_u32 s26, s12, s4
	s_mul_i32 s40, s45, s4
	v_cndmask_b32_e32 v26, v20, v26, vcc_lo
	s_add_i32 s26, s26, s5
	s_sub_i32 s5, s11, s33
	s_add_i32 s26, s26, s40
	s_cmp_ge_u32 s11, s33
	v_add_nc_u32_e32 v32, v12, v25
	s_cselect_b32 s27, s27, s10
	s_cselect_b32 s5, s5, s11
	s_add_i32 s40, s27, 1
	s_cmp_ge_u32 s5, s33
	s_clause 0x2
	s_load_b64 s[10:11], s[0:1], 0xa8
	s_load_b64 s[42:43], s[0:1], 0xc8
	s_load_b32 s5, s[0:1], 0xd4
	s_cselect_b32 s27, s40, s27
	s_sub_i32 s40, s39, s44
	s_xor_b32 s27, s27, s3
	v_dual_mov_b32 v110, 0 :: v_dual_lshlrev_b32 v25, 2, v26
	s_sub_i32 s33, s27, s3
	s_sub_i32 s3, s40, s15
	s_mul_i32 s17, s33, s17
	s_mul_i32 s33, s33, s7
	s_ashr_i32 s27, s17, 31
	s_ashr_i32 s39, s33, 31
	s_cmp_ge_u32 s40, s15
	v_xor_b32_e32 v26, 4, v20
	s_cselect_b32 s3, s3, s40
	s_mul_i32 s40, s12, s4
	s_sub_i32 s7, s3, s15
	s_cmp_ge_u32 s3, s15
	v_mul_lo_u32 v49, v32, s16
	s_cselect_b32 s3, s7, s3
	v_xor_b32_e32 v27, 8, v20
	s_xor_b32 s3, s3, s45
	s_ashr_i32 s49, s48, 31
	s_sub_i32 s3, s3, s45
	s_waitcnt lgkmcnt(0)
	s_mul_i32 s11, s12, s11
	s_mul_i32 s4, s3, s43
	s_mul_hi_u32 s15, s3, s42
	s_ashr_i32 s41, s3, 31
	s_mul_i32 s51, s3, s42
	v_cmp_eq_u32_e64 s3, 0, v13
	v_xor_b32_e32 v13, 2, v20
	s_add_i32 s4, s15, s4
	s_mul_i32 s41, s41, s42
	s_mul_i32 s45, s45, s10
	s_add_i32 s50, s4, s41
	v_cmp_gt_i32_e32 vcc_lo, 32, v13
	s_cmp_lg_u64 s[22:23], 0
	v_add_co_u32 v39, s41, s40, v21
	s_cselect_b32 s15, -1, 0
	v_cndmask_b32_e32 v13, v20, v13, vcc_lo
	v_cmp_gt_i32_e32 vcc_lo, 32, v26
	v_add_nc_u32_e32 v36, s16, v49
	s_lshl_b32 s4, s5, 7
	v_add_co_ci_u32_e64 v40, null, s26, 0, s41
	v_cndmask_b32_e32 v29, v20, v26, vcc_lo
	v_cmp_gt_i32_e32 vcc_lo, 32, v27
	s_add_u32 s41, s18, s17
	s_addc_u32 s42, s19, s27
	s_add_u32 s43, s41, s40
	s_addc_u32 s44, s42, s26
	v_cndmask_b32_e32 v31, v20, v27, vcc_lo
	v_cmp_gt_i32_e32 vcc_lo, 32, v28
	v_lshlrev_b32_e32 v27, 2, v29
	s_lshl_b64 s[46:47], s[8:9], 1
	s_mov_b32 s5, s9
	s_add_u32 s9, s51, s46
	v_dual_cndmask_b32 v33, v20, v28 :: v_dual_lshlrev_b32 v28, 2, v31
	v_mul_hi_u32_u24_e32 v31, 20, v30
	v_mul_u32_u24_e32 v30, 20, v30
	v_lshlrev_b32_e32 v26, 2, v13
	s_delay_alu instid0(VALU_DEP_4)
	v_lshlrev_b32_e32 v29, 2, v33
	v_lshlrev_b32_e32 v13, 1, v32
	s_addc_u32 s46, s50, s47
	v_mad_u64_u32 v[32:33], null, s12, s10, v[30:31]
	v_dual_mov_b32 v109, 0 :: v_dual_add_nc_u32 v30, v34, v12
	s_add_u32 s22, s22, s48
	s_addc_u32 s23, s23, s49
	s_add_u32 s9, s22, s9
	v_or_b32_e32 v38, v12, v34
	s_delay_alu instid0(VALU_DEP_3) | instskip(SKIP_3) | instid1(VALU_DEP_1)
	v_add3_u32 v31, s11, s45, v33
	v_mul_lo_u32 v33, s6, v30
	s_addc_u32 s10, s23, s46
	v_add_co_u32 v12, s9, s9, v13
	v_add_co_ci_u32_e64 v13, null, s10, 0, s9
	v_add_co_u32 v34, vcc_lo, v32, s33
	v_add_co_ci_u32_e32 v41, vcc_lo, s39, v31, vcc_lo
	v_ashrrev_i32_e32 v42, 31, v33
	v_add_co_u32 v12, vcc_lo, v12, 2
	v_add_co_ci_u32_e32 v13, vcc_lo, 0, v13, vcc_lo
	v_add_co_u32 v43, vcc_lo, v34, v33
	s_delay_alu instid0(VALU_DEP_4) | instskip(SKIP_3) | instid1(VALU_DEP_3)
	v_add_co_ci_u32_e32 v41, vcc_lo, v41, v42, vcc_lo
	v_add_nc_u32_e32 v34, 2, v30
	v_add_co_u32 v35, vcc_lo, v32, v35
	v_add_co_ci_u32_e32 v44, vcc_lo, 0, v31, vcc_lo
	v_mul_lo_u32 v34, s6, v34
	s_delay_alu instid0(VALU_DEP_3) | instskip(NEXT) | instid1(VALU_DEP_3)
	v_add_co_u32 v45, vcc_lo, v35, s33
	v_add_co_ci_u32_e32 v46, vcc_lo, s39, v44, vcc_lo
	v_add_nc_u32_e32 v47, 4, v30
	s_delay_alu instid0(VALU_DEP_3) | instskip(NEXT) | instid1(VALU_DEP_3)
	v_add_co_u32 v45, vcc_lo, v45, v33
	v_add_co_ci_u32_e32 v42, vcc_lo, v46, v42, vcc_lo
	v_ashrrev_i32_e32 v33, 31, v34
	s_delay_alu instid0(VALU_DEP_4) | instskip(SKIP_2) | instid1(VALU_DEP_4)
	v_mul_lo_u32 v46, s6, v47
	v_add_co_u32 v47, vcc_lo, v32, v34
	v_add_nc_u32_e32 v51, 30, v30
	v_add_co_ci_u32_e32 v48, vcc_lo, v31, v33, vcc_lo
	v_add_co_u32 v52, vcc_lo, v35, v34
	v_add_co_ci_u32_e32 v53, vcc_lo, v44, v33, vcc_lo
	v_ashrrev_i32_e32 v33, 31, v46
	v_mul_lo_u32 v34, s6, v51
	v_add_co_u32 v51, vcc_lo, v32, v46
	v_add_nc_u32_e32 v55, 28, v30
	s_delay_alu instid0(VALU_DEP_4)
	v_add_co_ci_u32_e32 v54, vcc_lo, v31, v33, vcc_lo
	v_add_co_u32 v46, vcc_lo, v35, v46
	v_add_co_ci_u32_e32 v56, vcc_lo, v44, v33, vcc_lo
	v_ashrrev_i32_e32 v33, 31, v34
	v_mul_lo_u32 v55, s6, v55
	v_add_co_u32 v57, vcc_lo, v35, v34
	v_add_nc_u32_e32 v59, 26, v30
	s_delay_alu instid0(VALU_DEP_4)
	;; [unrolled: 8-line block ×11, first 2 shown]
	v_add_co_ci_u32_e32 v94, vcc_lo, v44, v33, vcc_lo
	v_add_co_u32 v96, vcc_lo, v32, v55
	v_add_co_ci_u32_e32 v97, vcc_lo, v31, v33, vcc_lo
	v_ashrrev_i32_e32 v33, 31, v34
	v_mul_lo_u32 v55, s6, v95
	v_add_nc_u32_e32 v30, 6, v30
	v_add_co_u32 v95, vcc_lo, v35, v34
	s_delay_alu instid0(VALU_DEP_4) | instskip(NEXT) | instid1(VALU_DEP_3)
	v_add_co_ci_u32_e32 v98, vcc_lo, v44, v33, vcc_lo
	v_mul_lo_u32 v30, s6, v30
	v_add_co_u32 v99, vcc_lo, v32, v34
	v_add_co_ci_u32_e32 v100, vcc_lo, v31, v33, vcc_lo
	v_ashrrev_i32_e32 v33, 31, v55
	v_add_co_u32 v101, vcc_lo, v35, v55
	v_ashrrev_i32_e32 v34, 31, v30
	v_ashrrev_i32_e32 v37, 31, v36
	s_delay_alu instid0(VALU_DEP_4)
	v_add_co_ci_u32_e32 v102, vcc_lo, v44, v33, vcc_lo
	v_add_co_u32 v103, vcc_lo, v32, v55
	v_add_co_ci_u32_e32 v104, vcc_lo, v31, v33, vcc_lo
	v_add_co_u32 v105, vcc_lo, v35, v30
	;; [unrolled: 2-line block ×4, first 2 shown]
	v_add_co_ci_u32_e32 v32, vcc_lo, v40, v37, vcc_lo
	v_lshlrev_b32_e32 v30, 1, v38
	s_delay_alu instid0(VALU_DEP_3) | instskip(NEXT) | instid1(VALU_DEP_3)
	v_add_co_u32 v31, vcc_lo, s41, v31
	v_add_co_ci_u32_e32 v32, vcc_lo, s42, v32, vcc_lo
	v_add_co_u32 v33, vcc_lo, s43, v36
	v_add_co_ci_u32_e32 v34, vcc_lo, s44, v37, vcc_lo
	;; [unrolled: 2-line block ×4, first 2 shown]
	v_ashrrev_i32_e32 v50, 31, v49
	v_add_co_u32 v39, vcc_lo, v45, s20
	v_add_co_ci_u32_e32 v40, vcc_lo, s21, v42, vcc_lo
	v_add_co_u32 v41, vcc_lo, v37, v49
	s_delay_alu instid0(VALU_DEP_4) | instskip(NEXT) | instid1(VALU_DEP_4)
	v_add_co_ci_u32_e32 v42, vcc_lo, v38, v50, vcc_lo
	v_add_co_u32 v37, vcc_lo, v39, 4
	s_delay_alu instid0(VALU_DEP_4)
	v_add_co_ci_u32_e32 v38, vcc_lo, 0, v40, vcc_lo
	s_lshl_b64 s[10:11], s[4:5], 1
	v_add_co_u32 v39, vcc_lo, s18, v41
	s_add_u32 s5, s20, s33
	v_add_co_ci_u32_e32 v40, vcc_lo, s19, v42, vcc_lo
	s_addc_u32 s9, s21, s39
	v_add_co_u32 v43, vcc_lo, s5, v52
	v_add_co_ci_u32_e32 v44, vcc_lo, s9, v53, vcc_lo
	v_add_co_u32 v41, vcc_lo, s5, v47
	v_add_co_ci_u32_e32 v42, vcc_lo, s9, v48, vcc_lo
	s_delay_alu instid0(VALU_DEP_4) | instskip(NEXT) | instid1(VALU_DEP_4)
	v_add_co_u32 v43, vcc_lo, v43, 4
	v_add_co_ci_u32_e32 v44, vcc_lo, 0, v44, vcc_lo
	v_add_co_u32 v47, vcc_lo, s5, v46
	v_add_co_ci_u32_e32 v48, vcc_lo, s9, v56, vcc_lo
	;; [unrolled: 2-line block ×3, first 2 shown]
	s_delay_alu instid0(VALU_DEP_4) | instskip(NEXT) | instid1(VALU_DEP_4)
	v_add_co_u32 v47, vcc_lo, v47, 4
	v_add_co_ci_u32_e32 v48, vcc_lo, 0, v48, vcc_lo
	s_add_u32 s17, s40, s17
	s_addc_u32 s20, s26, s27
	v_add_co_u32 v51, vcc_lo, s5, v57
	s_add_u32 s17, s18, s17
	v_add_co_ci_u32_e32 v52, vcc_lo, s9, v58, vcc_lo
	s_addc_u32 s18, s19, s20
	v_add_co_u32 v49, vcc_lo, s17, v49
	v_add_co_ci_u32_e32 v50, vcc_lo, s18, v50, vcc_lo
	v_add_co_u32 v51, vcc_lo, v51, 4
	v_add_co_ci_u32_e32 v52, vcc_lo, 0, v52, vcc_lo
	;; [unrolled: 2-line block ×4, first 2 shown]
	s_delay_alu instid0(VALU_DEP_4) | instskip(NEXT) | instid1(VALU_DEP_4)
	v_add_co_u32 v55, vcc_lo, v55, 4
	v_add_co_ci_u32_e32 v56, vcc_lo, 0, v56, vcc_lo
	v_add_co_u32 v59, vcc_lo, s5, v63
	v_add_co_ci_u32_e32 v60, vcc_lo, s9, v66, vcc_lo
	v_add_co_u32 v57, vcc_lo, s5, v64
	v_add_co_ci_u32_e32 v58, vcc_lo, s9, v65, vcc_lo
	s_delay_alu instid0(VALU_DEP_4) | instskip(NEXT) | instid1(VALU_DEP_4)
	v_add_co_u32 v59, vcc_lo, v59, 4
	v_add_co_ci_u32_e32 v60, vcc_lo, 0, v60, vcc_lo
	v_add_co_u32 v63, vcc_lo, s5, v67
	v_add_co_ci_u32_e32 v64, vcc_lo, s9, v70, vcc_lo
	v_add_co_u32 v61, vcc_lo, s5, v68
	v_add_co_ci_u32_e32 v62, vcc_lo, s9, v69, vcc_lo
	;; [unrolled: 7-line block ×11, first 2 shown]
	s_delay_alu instid0(VALU_DEP_4) | instskip(NEXT) | instid1(VALU_DEP_4)
	v_add_co_u32 v99, vcc_lo, v99, 4
	v_add_co_ci_u32_e32 v100, vcc_lo, 0, v100, vcc_lo
	v_add_co_u32 v101, vcc_lo, s5, v107
	v_mov_b32_e32 v107, 0xfeffffff
	v_or_b32_e32 v23, 16, v21
	v_or_b32_e32 v24, 24, v21
	v_add_co_ci_u32_e32 v102, vcc_lo, s9, v108, vcc_lo
	v_dual_mov_b32 v104, 0 :: v_dual_and_b32 v103, 4, v15
	s_mul_i32 s7, s8, s6
	s_mul_i32 s5, s8, s16
	;; [unrolled: 1-line block ×4, first 2 shown]
.LBB0_19:                               ; =>This Inner Loop Header: Depth=1
	v_add_co_u32 v105, vcc_lo, v49, s5
	v_add_co_ci_u32_e32 v106, vcc_lo, 0, v50, vcc_lo
	v_add_co_u32 v111, vcc_lo, v39, s5
	v_add_co_ci_u32_e32 v112, vcc_lo, 0, v40, vcc_lo
	s_and_b32 vcc_lo, exec_lo, s15
	global_load_b32 v108, v[111:112], off offset:6
	s_clause 0x1
	global_load_b32 v113, v[105:106], off
	global_load_u16 v114, v[105:106], off offset:4
	s_waitcnt vmcnt(2)
	v_and_b32_e32 v117, 0xf0f0f0f, v108
	v_lshrrev_b32_e32 v108, 4, v108
	s_waitcnt vmcnt(0)
	v_perm_b32 v114, v113, v114, 0x1000706
	s_delay_alu instid0(VALU_DEP_2) | instskip(NEXT) | instid1(VALU_DEP_2)
	v_and_b32_e32 v108, 0xf0f0f0f, v108
	v_ashrrev_i32_e32 v115, v21, v114
	s_delay_alu instid0(VALU_DEP_1) | instskip(SKIP_3) | instid1(VALU_DEP_4)
	v_lshlrev_b32_e32 v116, 4, v115
	v_lshlrev_b32_e32 v118, 11, v115
	v_lshlrev_b32_e32 v119, 18, v115
	v_lshlrev_b32_e32 v115, 25, v115
	v_and_b32_e32 v116, 16, v116
	s_delay_alu instid0(VALU_DEP_4) | instskip(NEXT) | instid1(VALU_DEP_4)
	v_and_b32_e32 v118, 0x1000, v118
	v_and_b32_e32 v119, 0x100000, v119
	s_delay_alu instid0(VALU_DEP_4) | instskip(NEXT) | instid1(VALU_DEP_1)
	v_and_b32_e32 v115, 0x10000000, v115
	v_or3_b32 v115, v115, v117, v119
	v_ashrrev_i32_e32 v117, v22, v114
	s_delay_alu instid0(VALU_DEP_2)
	v_or3_b32 v115, v115, v116, v118
	global_load_b32 v116, v[111:112], off offset:14
	v_lshlrev_b32_e32 v118, 4, v117
	v_lshlrev_b32_e32 v120, 11, v117
	v_lshlrev_b32_e32 v121, 18, v117
	v_lshlrev_b32_e32 v117, 25, v117
	v_dot4_i32_iu8 v115, v115, v4, 0 neg_lo:[1,1,0]
	v_and_b32_e32 v118, 16, v118
	v_and_b32_e32 v120, 0x1000, v120
	;; [unrolled: 1-line block ×4, first 2 shown]
	v_cvt_f32_i32_e32 v115, v115
	s_delay_alu instid0(VALU_DEP_1) | instskip(NEXT) | instid1(VALU_DEP_1)
	v_fma_f32 v115, v0, v115, -v1
	v_fma_mix_f32 v115, v115, v113, 0 op_sel_hi:[0,1,0]
	s_waitcnt vmcnt(0)
	v_and_b32_e32 v119, 0xf0f0f0f, v116
	s_delay_alu instid0(VALU_DEP_1) | instskip(NEXT) | instid1(VALU_DEP_1)
	v_or3_b32 v117, v117, v119, v121
	v_or3_b32 v117, v117, v118, v120
	s_delay_alu instid0(VALU_DEP_1) | instskip(NEXT) | instid1(VALU_DEP_1)
	v_dot4_i32_iu8 v117, v117, v5, 0 neg_lo:[1,1,0]
	v_cvt_f32_i32_e32 v117, v117
	s_delay_alu instid0(VALU_DEP_1) | instskip(NEXT) | instid1(VALU_DEP_1)
	v_fma_f32 v117, v0, v117, -v1
	v_fma_mix_f32 v115, v117, v113, v115 op_sel_hi:[0,1,0]
	v_ashrrev_i32_e32 v117, v23, v114
	v_ashrrev_i32_e32 v114, v24, v114
	s_delay_alu instid0(VALU_DEP_2) | instskip(SKIP_3) | instid1(VALU_DEP_4)
	v_lshlrev_b32_e32 v118, 4, v117
	v_lshlrev_b32_e32 v119, 11, v117
	;; [unrolled: 1-line block ×4, first 2 shown]
	v_and_b32_e32 v118, 16, v118
	s_delay_alu instid0(VALU_DEP_4) | instskip(NEXT) | instid1(VALU_DEP_4)
	v_and_b32_e32 v119, 0x1000, v119
	v_and_b32_e32 v120, 0x100000, v120
	s_delay_alu instid0(VALU_DEP_4) | instskip(NEXT) | instid1(VALU_DEP_1)
	v_and_b32_e32 v117, 0x10000000, v117
	v_or3_b32 v108, v117, v108, v120
	v_lshlrev_b32_e32 v117, 11, v114
	s_delay_alu instid0(VALU_DEP_2) | instskip(SKIP_1) | instid1(VALU_DEP_3)
	v_or3_b32 v108, v108, v118, v119
	v_lshlrev_b32_e32 v118, 18, v114
	v_and_b32_e32 v117, 0x1000, v117
	s_delay_alu instid0(VALU_DEP_3) | instskip(NEXT) | instid1(VALU_DEP_3)
	v_dot4_i32_iu8 v108, v108, v6, 0 neg_lo:[1,1,0]
	v_and_b32_e32 v118, 0x100000, v118
	s_delay_alu instid0(VALU_DEP_2) | instskip(NEXT) | instid1(VALU_DEP_1)
	v_cvt_f32_i32_e32 v108, v108
	v_fma_f32 v108, v0, v108, -v1
	s_delay_alu instid0(VALU_DEP_1) | instskip(SKIP_3) | instid1(VALU_DEP_3)
	v_fma_mix_f32 v108, v108, v113, v115 op_sel_hi:[0,1,0]
	v_lshrrev_b32_e32 v115, 4, v116
	v_lshlrev_b32_e32 v116, 4, v114
	v_lshlrev_b32_e32 v114, 25, v114
	v_and_b32_e32 v115, 0xf0f0f0f, v115
	s_delay_alu instid0(VALU_DEP_3) | instskip(NEXT) | instid1(VALU_DEP_3)
	v_and_b32_e32 v116, 16, v116
	v_and_b32_e32 v114, 0x10000000, v114
	s_delay_alu instid0(VALU_DEP_1) | instskip(NEXT) | instid1(VALU_DEP_1)
	v_or3_b32 v114, v118, v114, v116
	v_or3_b32 v114, v114, v117, v115
	s_delay_alu instid0(VALU_DEP_1) | instskip(NEXT) | instid1(VALU_DEP_1)
	v_dot4_i32_iu8 v114, v114, v7, 0 neg_lo:[1,1,0]
	v_cvt_f32_i32_e32 v114, v114
	s_delay_alu instid0(VALU_DEP_1) | instskip(NEXT) | instid1(VALU_DEP_1)
	v_fma_f32 v114, v0, v114, -v1
	v_fma_mix_f32 v108, v114, v113, v108 op_sel_hi:[0,1,0]
	global_load_b32 v113, v[111:112], off offset:28
	s_clause 0x1
	global_load_b32 v114, v[105:106], off offset:22
	global_load_u16 v105, v[105:106], off offset:26
	s_waitcnt vmcnt(2)
	v_and_b32_e32 v116, 0xf0f0f0f, v113
	s_waitcnt vmcnt(0)
	v_perm_b32 v105, v114, v105, 0x1000706
	s_delay_alu instid0(VALU_DEP_1) | instskip(NEXT) | instid1(VALU_DEP_1)
	v_ashrrev_i32_e32 v106, v21, v105
	v_lshlrev_b32_e32 v115, 4, v106
	v_lshlrev_b32_e32 v117, 11, v106
	;; [unrolled: 1-line block ×4, first 2 shown]
	s_delay_alu instid0(VALU_DEP_4) | instskip(NEXT) | instid1(VALU_DEP_4)
	v_and_b32_e32 v115, 16, v115
	v_and_b32_e32 v117, 0x1000, v117
	s_delay_alu instid0(VALU_DEP_4) | instskip(NEXT) | instid1(VALU_DEP_4)
	v_and_b32_e32 v118, 0x100000, v118
	v_and_b32_e32 v106, 0x10000000, v106
	s_delay_alu instid0(VALU_DEP_1) | instskip(NEXT) | instid1(VALU_DEP_1)
	v_or3_b32 v106, v106, v116, v118
	v_or3_b32 v106, v106, v115, v117
	s_delay_alu instid0(VALU_DEP_1) | instskip(NEXT) | instid1(VALU_DEP_1)
	v_dot4_i32_iu8 v106, v106, v8, 0 neg_lo:[1,1,0]
	v_cvt_f32_i32_e32 v106, v106
	s_delay_alu instid0(VALU_DEP_1) | instskip(NEXT) | instid1(VALU_DEP_1)
	v_fma_f32 v106, v2, v106, -v3
	v_fma_mix_f32 v106, v106, v114, v108 op_sel_hi:[0,1,0]
	global_load_b32 v108, v[111:112], off offset:36
	v_ashrrev_i32_e32 v111, v22, v105
	s_delay_alu instid0(VALU_DEP_1) | instskip(SKIP_3) | instid1(VALU_DEP_4)
	v_lshlrev_b32_e32 v112, 4, v111
	v_lshlrev_b32_e32 v116, 11, v111
	;; [unrolled: 1-line block ×4, first 2 shown]
	v_and_b32_e32 v112, 16, v112
	s_delay_alu instid0(VALU_DEP_4) | instskip(NEXT) | instid1(VALU_DEP_4)
	v_and_b32_e32 v116, 0x1000, v116
	v_and_b32_e32 v117, 0x100000, v117
	s_delay_alu instid0(VALU_DEP_4) | instskip(SKIP_3) | instid1(VALU_DEP_2)
	v_and_b32_e32 v111, 0x10000000, v111
	s_waitcnt vmcnt(0)
	v_and_b32_e32 v115, 0xf0f0f0f, v108
	v_lshrrev_b32_e32 v108, 4, v108
	v_or3_b32 v111, v111, v115, v117
	s_delay_alu instid0(VALU_DEP_2) | instskip(NEXT) | instid1(VALU_DEP_2)
	v_and_b32_e32 v108, 0xf0f0f0f, v108
	v_or3_b32 v111, v111, v112, v116
	v_ashrrev_i32_e32 v112, v23, v105
	v_ashrrev_i32_e32 v105, v24, v105
	s_delay_alu instid0(VALU_DEP_3) | instskip(NEXT) | instid1(VALU_DEP_3)
	v_dot4_i32_iu8 v111, v111, v9, 0 neg_lo:[1,1,0]
	v_lshlrev_b32_e32 v115, 11, v112
	v_lshlrev_b32_e32 v116, 18, v112
	s_delay_alu instid0(VALU_DEP_3) | instskip(NEXT) | instid1(VALU_DEP_3)
	v_cvt_f32_i32_e32 v111, v111
	v_and_b32_e32 v115, 0x1000, v115
	s_delay_alu instid0(VALU_DEP_3) | instskip(NEXT) | instid1(VALU_DEP_3)
	v_and_b32_e32 v116, 0x100000, v116
	v_fma_f32 v111, v2, v111, -v3
	s_delay_alu instid0(VALU_DEP_1) | instskip(SKIP_3) | instid1(VALU_DEP_3)
	v_fma_mix_f32 v106, v111, v114, v106 op_sel_hi:[0,1,0]
	v_lshrrev_b32_e32 v111, 4, v113
	v_lshlrev_b32_e32 v113, 4, v112
	v_lshlrev_b32_e32 v112, 25, v112
	v_and_b32_e32 v111, 0xf0f0f0f, v111
	s_delay_alu instid0(VALU_DEP_3) | instskip(NEXT) | instid1(VALU_DEP_3)
	v_and_b32_e32 v113, 16, v113
	v_and_b32_e32 v112, 0x10000000, v112
	s_delay_alu instid0(VALU_DEP_1) | instskip(SKIP_1) | instid1(VALU_DEP_2)
	v_or3_b32 v111, v112, v111, v116
	v_lshlrev_b32_e32 v112, 11, v105
	v_or3_b32 v111, v111, v113, v115
	v_lshlrev_b32_e32 v113, 18, v105
	s_delay_alu instid0(VALU_DEP_3) | instskip(NEXT) | instid1(VALU_DEP_3)
	v_and_b32_e32 v112, 0x1000, v112
	v_dot4_i32_iu8 v111, v111, v10, 0 neg_lo:[1,1,0]
	s_delay_alu instid0(VALU_DEP_3) | instskip(NEXT) | instid1(VALU_DEP_2)
	v_and_b32_e32 v113, 0x100000, v113
	v_cvt_f32_i32_e32 v111, v111
	s_delay_alu instid0(VALU_DEP_1) | instskip(NEXT) | instid1(VALU_DEP_1)
	v_fma_f32 v111, v2, v111, -v3
	v_fma_mix_f32 v106, v111, v114, v106 op_sel_hi:[0,1,0]
	v_lshlrev_b32_e32 v111, 4, v105
	v_lshlrev_b32_e32 v105, 25, v105
	s_delay_alu instid0(VALU_DEP_2) | instskip(NEXT) | instid1(VALU_DEP_2)
	v_and_b32_e32 v111, 16, v111
	v_and_b32_e32 v105, 0x10000000, v105
	s_delay_alu instid0(VALU_DEP_1) | instskip(NEXT) | instid1(VALU_DEP_1)
	v_or3_b32 v105, v113, v105, v111
	v_or3_b32 v105, v105, v112, v108
	s_delay_alu instid0(VALU_DEP_1) | instskip(NEXT) | instid1(VALU_DEP_1)
	v_dot4_i32_iu8 v105, v105, v11, 0 neg_lo:[1,1,0]
	v_cvt_f32_i32_e32 v105, v105
	s_delay_alu instid0(VALU_DEP_1) | instskip(NEXT) | instid1(VALU_DEP_1)
	v_fma_f32 v105, v2, v105, -v3
	v_fma_mix_f32 v105, v105, v114, v106 op_sel_hi:[0,1,0]
	ds_bpermute_b32 v106, v25, v105
	s_waitcnt lgkmcnt(0)
	v_add_f32_e32 v105, v105, v106
	s_cbranch_vccz .LBB0_21
; %bb.20:                               ;   in Loop: Header=BB0_19 Depth=1
	global_load_u16 v106, v[12:13], off offset:-2
	s_waitcnt vmcnt(0)
	v_fma_mix_f32 v105, v16, v106, v105 op_sel_hi:[0,1,0]
.LBB0_21:                               ;   in Loop: Header=BB0_19 Depth=1
	v_add_co_u32 v111, vcc_lo, v33, s5
	v_add_co_ci_u32_e32 v112, vcc_lo, 0, v34, vcc_lo
	v_add_co_u32 v113, vcc_lo, v31, s5
	v_add_co_ci_u32_e32 v114, vcc_lo, 0, v32, vcc_lo
	s_and_not1_b32 vcc_lo, exec_lo, s15
	global_load_b32 v106, v[113:114], off offset:6
	s_clause 0x1
	global_load_b32 v108, v[111:112], off
	global_load_u16 v115, v[111:112], off offset:4
	s_waitcnt vmcnt(2)
	v_and_b32_e32 v118, 0xf0f0f0f, v106
	v_lshrrev_b32_e32 v106, 4, v106
	s_waitcnt vmcnt(0)
	v_perm_b32 v115, v108, v115, 0x1000706
	s_delay_alu instid0(VALU_DEP_2) | instskip(NEXT) | instid1(VALU_DEP_2)
	v_and_b32_e32 v106, 0xf0f0f0f, v106
	v_ashrrev_i32_e32 v116, v21, v115
	s_delay_alu instid0(VALU_DEP_1) | instskip(SKIP_3) | instid1(VALU_DEP_4)
	v_lshlrev_b32_e32 v117, 4, v116
	v_lshlrev_b32_e32 v119, 11, v116
	;; [unrolled: 1-line block ×4, first 2 shown]
	v_and_b32_e32 v117, 16, v117
	s_delay_alu instid0(VALU_DEP_4) | instskip(NEXT) | instid1(VALU_DEP_4)
	v_and_b32_e32 v119, 0x1000, v119
	v_and_b32_e32 v120, 0x100000, v120
	s_delay_alu instid0(VALU_DEP_4) | instskip(NEXT) | instid1(VALU_DEP_1)
	v_and_b32_e32 v116, 0x10000000, v116
	v_or3_b32 v116, v116, v118, v120
	v_ashrrev_i32_e32 v118, v22, v115
	s_delay_alu instid0(VALU_DEP_2)
	v_or3_b32 v116, v116, v117, v119
	global_load_b32 v117, v[113:114], off offset:14
	v_lshlrev_b32_e32 v119, 4, v118
	v_lshlrev_b32_e32 v121, 11, v118
	v_lshlrev_b32_e32 v122, 18, v118
	v_lshlrev_b32_e32 v118, 25, v118
	v_dot4_i32_iu8 v116, v116, v4, 0 neg_lo:[1,1,0]
	v_and_b32_e32 v119, 16, v119
	v_and_b32_e32 v121, 0x1000, v121
	;; [unrolled: 1-line block ×4, first 2 shown]
	v_cvt_f32_i32_e32 v116, v116
	s_delay_alu instid0(VALU_DEP_1) | instskip(NEXT) | instid1(VALU_DEP_1)
	v_fma_f32 v116, v0, v116, -v1
	v_fma_mix_f32 v116, v116, v108, 0 op_sel_hi:[0,1,0]
	s_waitcnt vmcnt(0)
	v_and_b32_e32 v120, 0xf0f0f0f, v117
	s_delay_alu instid0(VALU_DEP_1) | instskip(NEXT) | instid1(VALU_DEP_1)
	v_or3_b32 v118, v118, v120, v122
	v_or3_b32 v118, v118, v119, v121
	s_delay_alu instid0(VALU_DEP_1) | instskip(NEXT) | instid1(VALU_DEP_1)
	v_dot4_i32_iu8 v118, v118, v5, 0 neg_lo:[1,1,0]
	v_cvt_f32_i32_e32 v118, v118
	s_delay_alu instid0(VALU_DEP_1) | instskip(NEXT) | instid1(VALU_DEP_1)
	v_fma_f32 v118, v0, v118, -v1
	v_fma_mix_f32 v116, v118, v108, v116 op_sel_hi:[0,1,0]
	v_ashrrev_i32_e32 v118, v23, v115
	v_ashrrev_i32_e32 v115, v24, v115
	s_delay_alu instid0(VALU_DEP_2) | instskip(SKIP_3) | instid1(VALU_DEP_4)
	v_lshlrev_b32_e32 v119, 4, v118
	v_lshlrev_b32_e32 v120, 11, v118
	;; [unrolled: 1-line block ×4, first 2 shown]
	v_and_b32_e32 v119, 16, v119
	s_delay_alu instid0(VALU_DEP_4) | instskip(NEXT) | instid1(VALU_DEP_4)
	v_and_b32_e32 v120, 0x1000, v120
	v_and_b32_e32 v121, 0x100000, v121
	s_delay_alu instid0(VALU_DEP_4) | instskip(NEXT) | instid1(VALU_DEP_1)
	v_and_b32_e32 v118, 0x10000000, v118
	v_or3_b32 v106, v118, v106, v121
	v_lshlrev_b32_e32 v118, 11, v115
	s_delay_alu instid0(VALU_DEP_2) | instskip(SKIP_1) | instid1(VALU_DEP_3)
	v_or3_b32 v106, v106, v119, v120
	v_lshlrev_b32_e32 v119, 18, v115
	v_and_b32_e32 v118, 0x1000, v118
	s_delay_alu instid0(VALU_DEP_3) | instskip(NEXT) | instid1(VALU_DEP_3)
	v_dot4_i32_iu8 v106, v106, v6, 0 neg_lo:[1,1,0]
	v_and_b32_e32 v119, 0x100000, v119
	s_delay_alu instid0(VALU_DEP_2) | instskip(NEXT) | instid1(VALU_DEP_1)
	v_cvt_f32_i32_e32 v106, v106
	v_fma_f32 v106, v0, v106, -v1
	s_delay_alu instid0(VALU_DEP_1) | instskip(SKIP_3) | instid1(VALU_DEP_3)
	v_fma_mix_f32 v106, v106, v108, v116 op_sel_hi:[0,1,0]
	v_lshrrev_b32_e32 v116, 4, v117
	v_lshlrev_b32_e32 v117, 4, v115
	v_lshlrev_b32_e32 v115, 25, v115
	v_and_b32_e32 v116, 0xf0f0f0f, v116
	s_delay_alu instid0(VALU_DEP_3) | instskip(NEXT) | instid1(VALU_DEP_3)
	v_and_b32_e32 v117, 16, v117
	v_and_b32_e32 v115, 0x10000000, v115
	s_delay_alu instid0(VALU_DEP_1) | instskip(NEXT) | instid1(VALU_DEP_1)
	v_or3_b32 v115, v119, v115, v117
	v_or3_b32 v115, v115, v118, v116
	s_delay_alu instid0(VALU_DEP_1) | instskip(NEXT) | instid1(VALU_DEP_1)
	v_dot4_i32_iu8 v115, v115, v7, 0 neg_lo:[1,1,0]
	v_cvt_f32_i32_e32 v115, v115
	s_delay_alu instid0(VALU_DEP_1) | instskip(NEXT) | instid1(VALU_DEP_1)
	v_fma_f32 v115, v0, v115, -v1
	v_fma_mix_f32 v106, v115, v108, v106 op_sel_hi:[0,1,0]
	global_load_b32 v108, v[113:114], off offset:28
	s_clause 0x1
	global_load_b32 v115, v[111:112], off offset:22
	global_load_u16 v111, v[111:112], off offset:26
	s_waitcnt vmcnt(2)
	v_and_b32_e32 v117, 0xf0f0f0f, v108
	v_lshrrev_b32_e32 v108, 4, v108
	s_waitcnt vmcnt(0)
	v_perm_b32 v111, v115, v111, 0x1000706
	s_delay_alu instid0(VALU_DEP_2) | instskip(NEXT) | instid1(VALU_DEP_2)
	v_and_b32_e32 v108, 0xf0f0f0f, v108
	v_ashrrev_i32_e32 v112, v21, v111
	s_delay_alu instid0(VALU_DEP_1) | instskip(SKIP_3) | instid1(VALU_DEP_4)
	v_lshlrev_b32_e32 v116, 4, v112
	v_lshlrev_b32_e32 v118, 11, v112
	;; [unrolled: 1-line block ×4, first 2 shown]
	v_and_b32_e32 v116, 16, v116
	s_delay_alu instid0(VALU_DEP_4) | instskip(NEXT) | instid1(VALU_DEP_4)
	v_and_b32_e32 v118, 0x1000, v118
	v_and_b32_e32 v119, 0x100000, v119
	s_delay_alu instid0(VALU_DEP_4) | instskip(NEXT) | instid1(VALU_DEP_1)
	v_and_b32_e32 v112, 0x10000000, v112
	v_or3_b32 v112, v112, v117, v119
	s_delay_alu instid0(VALU_DEP_1) | instskip(NEXT) | instid1(VALU_DEP_1)
	v_or3_b32 v112, v112, v116, v118
	v_dot4_i32_iu8 v112, v112, v8, 0 neg_lo:[1,1,0]
	s_delay_alu instid0(VALU_DEP_1) | instskip(NEXT) | instid1(VALU_DEP_1)
	v_cvt_f32_i32_e32 v112, v112
	v_fma_f32 v112, v2, v112, -v3
	s_delay_alu instid0(VALU_DEP_1) | instskip(SKIP_2) | instid1(VALU_DEP_1)
	v_fma_mix_f32 v106, v112, v115, v106 op_sel_hi:[0,1,0]
	global_load_b32 v112, v[113:114], off offset:36
	v_ashrrev_i32_e32 v113, v22, v111
	v_lshlrev_b32_e32 v114, 4, v113
	v_lshlrev_b32_e32 v117, 11, v113
	v_lshlrev_b32_e32 v118, 18, v113
	v_lshlrev_b32_e32 v113, 25, v113
	s_delay_alu instid0(VALU_DEP_4) | instskip(NEXT) | instid1(VALU_DEP_4)
	v_and_b32_e32 v114, 16, v114
	v_and_b32_e32 v117, 0x1000, v117
	s_delay_alu instid0(VALU_DEP_4) | instskip(NEXT) | instid1(VALU_DEP_4)
	v_and_b32_e32 v118, 0x100000, v118
	v_and_b32_e32 v113, 0x10000000, v113
	s_waitcnt vmcnt(0)
	v_and_b32_e32 v116, 0xf0f0f0f, v112
	s_delay_alu instid0(VALU_DEP_1) | instskip(NEXT) | instid1(VALU_DEP_1)
	v_or3_b32 v113, v113, v116, v118
	v_or3_b32 v113, v113, v114, v117
	s_delay_alu instid0(VALU_DEP_1) | instskip(NEXT) | instid1(VALU_DEP_1)
	v_dot4_i32_iu8 v113, v113, v9, 0 neg_lo:[1,1,0]
	v_cvt_f32_i32_e32 v113, v113
	s_delay_alu instid0(VALU_DEP_1) | instskip(NEXT) | instid1(VALU_DEP_1)
	v_fma_f32 v113, v2, v113, -v3
	v_fma_mix_f32 v106, v113, v115, v106 op_sel_hi:[0,1,0]
	v_ashrrev_i32_e32 v113, v23, v111
	v_ashrrev_i32_e32 v111, v24, v111
	s_delay_alu instid0(VALU_DEP_2) | instskip(SKIP_3) | instid1(VALU_DEP_4)
	v_lshlrev_b32_e32 v114, 4, v113
	v_lshlrev_b32_e32 v116, 11, v113
	;; [unrolled: 1-line block ×4, first 2 shown]
	v_and_b32_e32 v114, 16, v114
	s_delay_alu instid0(VALU_DEP_4) | instskip(NEXT) | instid1(VALU_DEP_4)
	v_and_b32_e32 v116, 0x1000, v116
	v_and_b32_e32 v117, 0x100000, v117
	s_delay_alu instid0(VALU_DEP_4) | instskip(NEXT) | instid1(VALU_DEP_1)
	v_and_b32_e32 v113, 0x10000000, v113
	v_or3_b32 v108, v113, v108, v117
	v_lshlrev_b32_e32 v113, 11, v111
	s_delay_alu instid0(VALU_DEP_2) | instskip(SKIP_1) | instid1(VALU_DEP_3)
	v_or3_b32 v108, v108, v114, v116
	v_lshlrev_b32_e32 v114, 18, v111
	v_and_b32_e32 v113, 0x1000, v113
	s_delay_alu instid0(VALU_DEP_3) | instskip(NEXT) | instid1(VALU_DEP_3)
	v_dot4_i32_iu8 v108, v108, v10, 0 neg_lo:[1,1,0]
	v_and_b32_e32 v114, 0x100000, v114
	s_delay_alu instid0(VALU_DEP_2) | instskip(NEXT) | instid1(VALU_DEP_1)
	v_cvt_f32_i32_e32 v108, v108
	v_fma_f32 v108, v2, v108, -v3
	s_delay_alu instid0(VALU_DEP_1) | instskip(SKIP_3) | instid1(VALU_DEP_3)
	v_fma_mix_f32 v106, v108, v115, v106 op_sel_hi:[0,1,0]
	v_lshrrev_b32_e32 v108, 4, v112
	v_lshlrev_b32_e32 v112, 4, v111
	v_lshlrev_b32_e32 v111, 25, v111
	v_and_b32_e32 v108, 0xf0f0f0f, v108
	s_delay_alu instid0(VALU_DEP_3) | instskip(NEXT) | instid1(VALU_DEP_3)
	v_and_b32_e32 v112, 16, v112
	v_and_b32_e32 v111, 0x10000000, v111
	s_delay_alu instid0(VALU_DEP_1) | instskip(NEXT) | instid1(VALU_DEP_1)
	v_or3_b32 v111, v114, v111, v112
	v_or3_b32 v108, v111, v113, v108
	s_delay_alu instid0(VALU_DEP_1) | instskip(NEXT) | instid1(VALU_DEP_1)
	v_dot4_i32_iu8 v108, v108, v11, 0 neg_lo:[1,1,0]
	v_cvt_f32_i32_e32 v108, v108
	s_delay_alu instid0(VALU_DEP_1) | instskip(NEXT) | instid1(VALU_DEP_1)
	v_fma_f32 v108, v2, v108, -v3
	v_fma_mix_f32 v106, v108, v115, v106 op_sel_hi:[0,1,0]
	ds_bpermute_b32 v108, v25, v106
	s_waitcnt lgkmcnt(0)
	v_add_f32_e32 v108, v106, v108
	s_cbranch_vccnz .LBB0_23
; %bb.22:                               ;   in Loop: Header=BB0_19 Depth=1
	global_load_u16 v106, v[12:13], off
	s_waitcnt vmcnt(0)
	v_fma_mix_f32 v108, v16, v106, v108 op_sel_hi:[0,1,0]
.LBB0_23:                               ;   in Loop: Header=BB0_19 Depth=1
	s_delay_alu instid0(VALU_DEP_1) | instskip(SKIP_2) | instid1(SALU_CYCLE_1)
	v_dual_add_f32 v106, 0x40051340, v105 :: v_dual_add_f32 v111, 0x40051340, v108
	v_cndmask_b32_e64 v105, v108, v105, s3
	s_add_i32 s8, s8, s4
	s_cmp_ge_i32 s8, s38
	s_delay_alu instid0(VALU_DEP_2) | instskip(SKIP_3) | instid1(VALU_DEP_1)
	v_max3_f32 v106, v107, v106, v111
	ds_bpermute_b32 v111, v26, v106
	s_waitcnt lgkmcnt(0)
	v_max_f32_e32 v111, v111, v111
	v_max_f32_e32 v106, v106, v111
	ds_bpermute_b32 v111, v27, v106
	s_waitcnt lgkmcnt(0)
	v_max_f32_e32 v111, v111, v111
	s_delay_alu instid0(VALU_DEP_1) | instskip(SKIP_3) | instid1(VALU_DEP_1)
	v_max_f32_e32 v106, v106, v111
	ds_bpermute_b32 v111, v28, v106
	s_waitcnt lgkmcnt(0)
	v_max_f32_e32 v111, v111, v111
	v_max_f32_e32 v106, v106, v111
	ds_bpermute_b32 v111, v29, v106
	s_waitcnt lgkmcnt(0)
	v_max_f32_e32 v111, v111, v111
	s_delay_alu instid0(VALU_DEP_1) | instskip(NEXT) | instid1(VALU_DEP_1)
	v_max_f32_e32 v106, v106, v111
	v_sub_f32_e32 v107, v107, v106
	s_delay_alu instid0(VALU_DEP_1) | instskip(NEXT) | instid1(VALU_DEP_1)
	v_dual_sub_f32 v105, v105, v106 :: v_dual_mul_f32 v108, 0x3fb8aa3b, v107
	v_fma_f32 v111, 0x3fb8aa3b, v107, -v108
	v_rndne_f32_e32 v112, v108
	s_delay_alu instid0(VALU_DEP_1) | instskip(NEXT) | instid1(VALU_DEP_1)
	v_dual_fmac_f32 v111, 0x32a5705f, v107 :: v_dual_sub_f32 v108, v108, v112
	v_add_f32_e32 v108, v108, v111
	v_cvt_i32_f32_e32 v111, v112
	v_cmp_ngt_f32_e32 vcc_lo, 0xc2ce8ed0, v107
	s_delay_alu instid0(VALU_DEP_3) | instskip(SKIP_2) | instid1(VALU_DEP_1)
	v_exp_f32_e32 v108, v108
	s_waitcnt_depctr 0xfff
	v_ldexp_f32 v108, v108, v111
	v_cndmask_b32_e32 v108, 0, v108, vcc_lo
	v_cmp_nlt_f32_e32 vcc_lo, 0x42b17218, v107
	s_delay_alu instid0(VALU_DEP_2) | instskip(SKIP_2) | instid1(VALU_DEP_3)
	v_cndmask_b32_e32 v107, 0x7f800000, v108, vcc_lo
	v_mul_f32_e32 v108, 0x3fb8aa3b, v105
	v_cmp_ngt_f32_e32 vcc_lo, 0xc2ce8ed0, v105
	v_cvt_f16_f32_e32 v119, v107
	s_delay_alu instid0(VALU_DEP_3) | instskip(SKIP_1) | instid1(VALU_DEP_1)
	v_fma_f32 v111, 0x3fb8aa3b, v105, -v108
	v_rndne_f32_e32 v112, v108
	v_dual_fmac_f32 v111, 0x32a5705f, v105 :: v_dual_sub_f32 v108, v108, v112
	s_delay_alu instid0(VALU_DEP_1) | instskip(SKIP_1) | instid1(VALU_DEP_2)
	v_add_f32_e32 v108, v108, v111
	v_cvt_i32_f32_e32 v111, v112
	v_exp_f32_e32 v108, v108
	s_waitcnt_depctr 0xfff
	v_ldexp_f32 v108, v108, v111
	s_delay_alu instid0(VALU_DEP_1) | instskip(SKIP_1) | instid1(VALU_DEP_2)
	v_cndmask_b32_e32 v108, 0, v108, vcc_lo
	v_cmp_nlt_f32_e32 vcc_lo, 0x42b17218, v105
	v_cndmask_b32_e32 v105, 0x7f800000, v108, vcc_lo
	v_add_co_u32 v111, vcc_lo, v35, s7
	v_add_co_ci_u32_e32 v112, vcc_lo, 0, v36, vcc_lo
	v_add_co_u32 v113, vcc_lo, v37, s7
	s_delay_alu instid0(VALU_DEP_4)
	v_cvt_f16_f32_e32 v108, v105
	v_add_co_ci_u32_e32 v114, vcc_lo, 0, v38, vcc_lo
	global_load_b32 v111, v[111:112], off
	v_fmac_f32_e32 v105, v104, v107
	ds_store_b16 v18, v108
	global_load_b32 v108, v[113:114], off
	s_waitcnt vmcnt(0)
	v_ashrrev_i32_e32 v108, v103, v108
	s_delay_alu instid0(VALU_DEP_1) | instskip(SKIP_3) | instid1(VALU_DEP_4)
	v_lshrrev_b32_e32 v114, 8, v108
	v_and_b32_e32 v113, 15, v108
	v_lshrrev_b32_e32 v115, 16, v108
	v_bfe_u32 v108, v108, 24, 4
	v_and_b32_e32 v114, 15, v114
	s_delay_alu instid0(VALU_DEP_4) | instskip(NEXT) | instid1(VALU_DEP_4)
	v_cvt_f16_u16_e32 v112, v113
	v_and_b32_e32 v115, 15, v115
	s_delay_alu instid0(VALU_DEP_4) | instskip(NEXT) | instid1(VALU_DEP_4)
	v_cvt_f16_u16_e32 v108, v108
	v_cvt_f16_u16_e32 v113, v114
	s_delay_alu instid0(VALU_DEP_1) | instskip(NEXT) | instid1(VALU_DEP_1)
	v_pack_b32_f16 v112, v112, v113
	v_pk_fma_f16 v120, v111, v112, v111 op_sel:[0,0,1] op_sel_hi:[0,1,1]
	v_cvt_f16_u16_e32 v112, v115
	s_delay_alu instid0(VALU_DEP_1) | instskip(NEXT) | instid1(VALU_DEP_1)
	v_pack_b32_f16 v108, v112, v108
	v_pk_fma_f16 v121, v111, v108, v111 op_sel:[0,0,1] op_sel_hi:[0,1,1]
	ds_load_u16 v122, v30
	ds_load_u16 v123, v30 offset:4
	ds_load_u16 v124, v30 offset:8
	;; [unrolled: 1-line block ×15, first 2 shown]
	s_waitcnt lgkmcnt(15)
	v_pk_mul_f16 v120, v122, v120 op_sel_hi:[0,1]
	s_delay_alu instid0(VALU_DEP_1) | instskip(SKIP_1) | instid1(VALU_DEP_1)
	v_pk_fma_f16 v129, v119, v109, v120 op_sel_hi:[0,1,1]
	v_pk_mul_f16 v109, v122, v121 op_sel_hi:[0,1]
	v_pk_fma_f16 v121, v119, v110, v109 op_sel_hi:[0,1,1]
	v_add_co_u32 v109, vcc_lo, v41, s7
	v_add_co_ci_u32_e32 v110, vcc_lo, 0, v42, vcc_lo
	v_add_co_u32 v119, vcc_lo, v43, s7
	v_add_co_ci_u32_e32 v120, vcc_lo, 0, v44, vcc_lo
	global_load_b32 v109, v[109:110], off
	global_load_b32 v119, v[119:120], off
	s_waitcnt vmcnt(0)
	v_ashrrev_i32_e32 v119, v103, v119
	s_delay_alu instid0(VALU_DEP_1) | instskip(SKIP_3) | instid1(VALU_DEP_4)
	v_lshrrev_b32_e32 v122, 8, v119
	v_and_b32_e32 v120, 15, v119
	v_lshrrev_b32_e32 v130, 16, v119
	v_bfe_u32 v119, v119, 24, 4
	v_and_b32_e32 v122, 15, v122
	s_delay_alu instid0(VALU_DEP_4) | instskip(NEXT) | instid1(VALU_DEP_4)
	v_cvt_f16_u16_e32 v110, v120
	v_and_b32_e32 v130, 15, v130
	s_delay_alu instid0(VALU_DEP_4) | instskip(NEXT) | instid1(VALU_DEP_4)
	v_cvt_f16_u16_e32 v119, v119
	v_cvt_f16_u16_e32 v120, v122
	s_delay_alu instid0(VALU_DEP_1) | instskip(NEXT) | instid1(VALU_DEP_4)
	v_pack_b32_f16 v110, v110, v120
	v_cvt_f16_u16_e64 v120, v130
	s_delay_alu instid0(VALU_DEP_2) | instskip(NEXT) | instid1(VALU_DEP_2)
	v_pk_fma_f16 v110, v109, v110, v109 op_sel:[0,0,1] op_sel_hi:[0,1,1]
	v_pack_b32_f16 v119, v120, v119
	s_waitcnt lgkmcnt(14)
	s_delay_alu instid0(VALU_DEP_2) | instskip(NEXT) | instid1(VALU_DEP_2)
	v_pk_fma_f16 v122, v123, v110, v129 op_sel_hi:[0,1,1]
	v_pk_fma_f16 v109, v109, v119, v109 op_sel:[0,0,1] op_sel_hi:[0,1,1]
	s_delay_alu instid0(VALU_DEP_1)
	v_pk_fma_f16 v121, v123, v109, v121 op_sel_hi:[0,1,1]
	v_add_co_u32 v109, vcc_lo, v45, s7
	v_add_co_ci_u32_e32 v110, vcc_lo, 0, v46, vcc_lo
	v_add_co_u32 v119, vcc_lo, v47, s7
	v_add_co_ci_u32_e32 v120, vcc_lo, 0, v48, vcc_lo
	global_load_b32 v109, v[109:110], off
	global_load_b32 v119, v[119:120], off
	s_waitcnt vmcnt(0)
	v_ashrrev_i32_e32 v119, v103, v119
	s_delay_alu instid0(VALU_DEP_1) | instskip(SKIP_3) | instid1(VALU_DEP_4)
	v_lshrrev_b32_e32 v123, 8, v119
	v_and_b32_e32 v120, 15, v119
	v_lshrrev_b32_e32 v129, 16, v119
	v_bfe_u32 v119, v119, 24, 4
	v_and_b32_e32 v123, 15, v123
	s_delay_alu instid0(VALU_DEP_4) | instskip(NEXT) | instid1(VALU_DEP_4)
	v_cvt_f16_u16_e32 v110, v120
	v_and_b32_e32 v129, 15, v129
	s_delay_alu instid0(VALU_DEP_4) | instskip(NEXT) | instid1(VALU_DEP_4)
	v_cvt_f16_u16_e32 v119, v119
	v_cvt_f16_u16_e32 v120, v123
	s_delay_alu instid0(VALU_DEP_1) | instskip(NEXT) | instid1(VALU_DEP_4)
	v_pack_b32_f16 v110, v110, v120
	v_cvt_f16_u16_e64 v120, v129
	s_delay_alu instid0(VALU_DEP_2) | instskip(NEXT) | instid1(VALU_DEP_2)
	v_pk_fma_f16 v110, v109, v110, v109 op_sel:[0,0,1] op_sel_hi:[0,1,1]
	v_pack_b32_f16 v119, v120, v119
	s_waitcnt lgkmcnt(13)
	s_delay_alu instid0(VALU_DEP_2) | instskip(NEXT) | instid1(VALU_DEP_2)
	v_pk_fma_f16 v122, v124, v110, v122 op_sel_hi:[0,1,1]
	v_pk_fma_f16 v109, v109, v119, v109 op_sel:[0,0,1] op_sel_hi:[0,1,1]
	s_delay_alu instid0(VALU_DEP_1)
	v_pk_fma_f16 v121, v124, v109, v121 op_sel_hi:[0,1,1]
	v_add_co_u32 v109, vcc_lo, v101, s7
	v_add_co_ci_u32_e32 v110, vcc_lo, 0, v102, vcc_lo
	v_add_co_u32 v119, vcc_lo, v99, s7
	v_add_co_ci_u32_e32 v120, vcc_lo, 0, v100, vcc_lo
	global_load_b32 v109, v[109:110], off
	global_load_b32 v119, v[119:120], off
	s_waitcnt vmcnt(0)
	v_ashrrev_i32_e32 v119, v103, v119
	s_delay_alu instid0(VALU_DEP_1) | instskip(SKIP_3) | instid1(VALU_DEP_4)
	v_lshrrev_b32_e32 v123, 8, v119
	v_and_b32_e32 v120, 15, v119
	v_lshrrev_b32_e32 v124, 16, v119
	v_bfe_u32 v119, v119, 24, 4
	v_and_b32_e32 v123, 15, v123
	s_delay_alu instid0(VALU_DEP_4) | instskip(NEXT) | instid1(VALU_DEP_4)
	v_cvt_f16_u16_e32 v110, v120
	v_and_b32_e32 v124, 15, v124
	s_delay_alu instid0(VALU_DEP_4) | instskip(NEXT) | instid1(VALU_DEP_4)
	v_cvt_f16_u16_e32 v119, v119
	v_cvt_f16_u16_e32 v120, v123
	s_delay_alu instid0(VALU_DEP_1) | instskip(NEXT) | instid1(VALU_DEP_4)
	v_pack_b32_f16 v110, v110, v120
	v_cvt_f16_u16_e32 v120, v124
	s_delay_alu instid0(VALU_DEP_2) | instskip(NEXT) | instid1(VALU_DEP_2)
	v_pk_fma_f16 v110, v109, v110, v109 op_sel:[0,0,1] op_sel_hi:[0,1,1]
	v_pack_b32_f16 v119, v120, v119
	s_waitcnt lgkmcnt(12)
	s_delay_alu instid0(VALU_DEP_2) | instskip(NEXT) | instid1(VALU_DEP_2)
	v_pk_fma_f16 v122, v125, v110, v122 op_sel_hi:[0,1,1]
	v_pk_fma_f16 v109, v109, v119, v109 op_sel:[0,0,1] op_sel_hi:[0,1,1]
	s_delay_alu instid0(VALU_DEP_1)
	v_pk_fma_f16 v121, v125, v109, v121 op_sel_hi:[0,1,1]
	v_add_co_u32 v109, vcc_lo, v97, s7
	v_add_co_ci_u32_e32 v110, vcc_lo, 0, v98, vcc_lo
	v_add_co_u32 v119, vcc_lo, v95, s7
	v_add_co_ci_u32_e32 v120, vcc_lo, 0, v96, vcc_lo
	global_load_b32 v109, v[109:110], off
	global_load_b32 v119, v[119:120], off
	s_waitcnt vmcnt(0)
	v_ashrrev_i32_e32 v119, v103, v119
	s_delay_alu instid0(VALU_DEP_1) | instskip(SKIP_3) | instid1(VALU_DEP_4)
	v_lshrrev_b32_e32 v123, 8, v119
	v_and_b32_e32 v120, 15, v119
	v_lshrrev_b32_e32 v124, 16, v119
	v_bfe_u32 v119, v119, 24, 4
	v_and_b32_e32 v123, 15, v123
	s_delay_alu instid0(VALU_DEP_4) | instskip(NEXT) | instid1(VALU_DEP_4)
	v_cvt_f16_u16_e32 v110, v120
	v_and_b32_e32 v124, 15, v124
	s_delay_alu instid0(VALU_DEP_4) | instskip(NEXT) | instid1(VALU_DEP_4)
	v_cvt_f16_u16_e32 v119, v119
	v_cvt_f16_u16_e32 v120, v123
	s_delay_alu instid0(VALU_DEP_1) | instskip(NEXT) | instid1(VALU_DEP_4)
	v_pack_b32_f16 v110, v110, v120
	v_cvt_f16_u16_e32 v120, v124
	;; [unrolled: 32-line block ×12, first 2 shown]
	s_delay_alu instid0(VALU_DEP_2) | instskip(NEXT) | instid1(VALU_DEP_2)
	v_pk_fma_f16 v110, v109, v110, v109 op_sel:[0,0,1] op_sel_hi:[0,1,1]
	v_pack_b32_f16 v112, v113, v112
	s_delay_alu instid0(VALU_DEP_1) | instskip(SKIP_1) | instid1(VALU_DEP_3)
	v_pk_fma_f16 v112, v109, v112, v109 op_sel:[0,0,1] op_sel_hi:[0,1,1]
	s_waitcnt lgkmcnt(1)
	v_pk_fma_f16 v109, v111, v110, v114 op_sel_hi:[0,1,1]
	s_delay_alu instid0(VALU_DEP_2)
	v_pk_fma_f16 v110, v111, v112, v115 op_sel_hi:[0,1,1]
	v_add_co_u32 v115, vcc_lo, v53, s7
	v_add_co_ci_u32_e32 v116, vcc_lo, 0, v54, vcc_lo
	v_add_co_u32 v111, vcc_lo, v51, s7
	v_add_co_ci_u32_e32 v112, vcc_lo, 0, v52, vcc_lo
	global_load_b32 v115, v[115:116], off
	v_add_co_u32 v31, vcc_lo, v31, s9
	global_load_b32 v111, v[111:112], off
	v_add_co_ci_u32_e32 v32, vcc_lo, 0, v32, vcc_lo
	v_add_co_u32 v33, vcc_lo, v33, s9
	v_add_co_ci_u32_e32 v34, vcc_lo, 0, v34, vcc_lo
	v_add_co_u32 v12, vcc_lo, v12, s10
	v_add_co_ci_u32_e32 v13, vcc_lo, s11, v13, vcc_lo
	v_add_co_u32 v35, vcc_lo, v35, s6
	v_add_co_ci_u32_e32 v36, vcc_lo, 0, v36, vcc_lo
	v_add_co_u32 v37, vcc_lo, v37, s6
	v_add_co_ci_u32_e32 v38, vcc_lo, 0, v38, vcc_lo
	v_add_co_u32 v39, vcc_lo, v39, s9
	v_add_co_ci_u32_e32 v40, vcc_lo, 0, v40, vcc_lo
	v_add_co_u32 v41, vcc_lo, v41, s6
	v_add_co_ci_u32_e32 v42, vcc_lo, 0, v42, vcc_lo
	v_add_co_u32 v43, vcc_lo, v43, s6
	v_add_co_ci_u32_e32 v44, vcc_lo, 0, v44, vcc_lo
	v_add_co_u32 v45, vcc_lo, v45, s6
	v_add_co_ci_u32_e32 v46, vcc_lo, 0, v46, vcc_lo
	v_add_co_u32 v47, vcc_lo, v47, s6
	v_add_co_ci_u32_e32 v48, vcc_lo, 0, v48, vcc_lo
	v_add_co_u32 v49, vcc_lo, v49, s9
	v_add_co_ci_u32_e32 v50, vcc_lo, 0, v50, vcc_lo
	v_add_co_u32 v51, vcc_lo, v51, s6
	v_add_co_ci_u32_e32 v52, vcc_lo, 0, v52, vcc_lo
	v_add_co_u32 v53, vcc_lo, v53, s6
	v_add_co_ci_u32_e32 v54, vcc_lo, 0, v54, vcc_lo
	v_add_co_u32 v55, vcc_lo, v55, s6
	v_add_co_ci_u32_e32 v56, vcc_lo, 0, v56, vcc_lo
	v_add_co_u32 v57, vcc_lo, v57, s6
	v_add_co_ci_u32_e32 v58, vcc_lo, 0, v58, vcc_lo
	v_add_co_u32 v59, vcc_lo, v59, s6
	v_add_co_ci_u32_e32 v60, vcc_lo, 0, v60, vcc_lo
	v_add_co_u32 v61, vcc_lo, v61, s6
	v_add_co_ci_u32_e32 v62, vcc_lo, 0, v62, vcc_lo
	v_add_co_u32 v63, vcc_lo, v63, s6
	v_add_co_ci_u32_e32 v64, vcc_lo, 0, v64, vcc_lo
	v_add_co_u32 v65, vcc_lo, v65, s6
	v_add_co_ci_u32_e32 v66, vcc_lo, 0, v66, vcc_lo
	v_add_co_u32 v67, vcc_lo, v67, s6
	v_add_co_ci_u32_e32 v68, vcc_lo, 0, v68, vcc_lo
	v_add_co_u32 v69, vcc_lo, v69, s6
	v_add_co_ci_u32_e32 v70, vcc_lo, 0, v70, vcc_lo
	v_add_co_u32 v71, vcc_lo, v71, s6
	v_add_co_ci_u32_e32 v72, vcc_lo, 0, v72, vcc_lo
	v_add_co_u32 v73, vcc_lo, v73, s6
	v_add_co_ci_u32_e32 v74, vcc_lo, 0, v74, vcc_lo
	v_add_co_u32 v75, vcc_lo, v75, s6
	v_add_co_ci_u32_e32 v76, vcc_lo, 0, v76, vcc_lo
	v_add_co_u32 v77, vcc_lo, v77, s6
	v_add_co_ci_u32_e32 v78, vcc_lo, 0, v78, vcc_lo
	v_add_co_u32 v79, vcc_lo, v79, s6
	v_add_co_ci_u32_e32 v80, vcc_lo, 0, v80, vcc_lo
	v_add_co_u32 v81, vcc_lo, v81, s6
	v_add_co_ci_u32_e32 v82, vcc_lo, 0, v82, vcc_lo
	v_add_co_u32 v83, vcc_lo, v83, s6
	v_add_co_ci_u32_e32 v84, vcc_lo, 0, v84, vcc_lo
	v_add_co_u32 v85, vcc_lo, v85, s6
	v_add_co_ci_u32_e32 v86, vcc_lo, 0, v86, vcc_lo
	v_add_co_u32 v87, vcc_lo, v87, s6
	v_add_co_ci_u32_e32 v88, vcc_lo, 0, v88, vcc_lo
	v_add_co_u32 v89, vcc_lo, v89, s6
	v_add_co_ci_u32_e32 v90, vcc_lo, 0, v90, vcc_lo
	v_add_co_u32 v91, vcc_lo, v91, s6
	v_add_co_ci_u32_e32 v92, vcc_lo, 0, v92, vcc_lo
	v_add_co_u32 v93, vcc_lo, v93, s6
	v_add_co_ci_u32_e32 v94, vcc_lo, 0, v94, vcc_lo
	v_add_co_u32 v95, vcc_lo, v95, s6
	v_add_co_ci_u32_e32 v96, vcc_lo, 0, v96, vcc_lo
	v_add_co_u32 v97, vcc_lo, v97, s6
	v_add_co_ci_u32_e32 v98, vcc_lo, 0, v98, vcc_lo
	v_add_co_u32 v99, vcc_lo, v99, s6
	v_add_co_ci_u32_e32 v100, vcc_lo, 0, v100, vcc_lo
	v_add_co_u32 v101, vcc_lo, v101, s6
	v_add_co_ci_u32_e32 v102, vcc_lo, 0, v102, vcc_lo
	s_waitcnt vmcnt(0)
	v_ashrrev_i32_e32 v112, v103, v111
	s_delay_alu instid0(VALU_DEP_1) | instskip(SKIP_1) | instid1(VALU_DEP_2)
	v_lshrrev_b32_e32 v111, 8, v112
	v_and_b32_e32 v113, 15, v112
	v_and_b32_e32 v114, 15, v111
	v_lshrrev_b32_e32 v111, 16, v112
	v_bfe_u32 v112, v112, 24, 4
	s_delay_alu instid0(VALU_DEP_4) | instskip(NEXT) | instid1(VALU_DEP_4)
	v_cvt_f16_u16_e32 v113, v113
	v_cvt_f16_u16_e32 v114, v114
	s_delay_alu instid0(VALU_DEP_4) | instskip(NEXT) | instid1(VALU_DEP_4)
	v_and_b32_e32 v111, 15, v111
	v_cvt_f16_u16_e32 v112, v112
	s_delay_alu instid0(VALU_DEP_3) | instskip(NEXT) | instid1(VALU_DEP_3)
	v_pack_b32_f16 v113, v113, v114
	v_cvt_f16_u16_e32 v111, v111
	s_delay_alu instid0(VALU_DEP_2) | instskip(NEXT) | instid1(VALU_DEP_2)
	v_pk_fma_f16 v113, v115, v113, v115 op_sel:[0,0,1] op_sel_hi:[0,1,1]
	v_pack_b32_f16 v111, v111, v112
	s_waitcnt lgkmcnt(0)
	s_delay_alu instid0(VALU_DEP_2) | instskip(NEXT) | instid1(VALU_DEP_2)
	v_pk_fma_f16 v109, v108, v113, v109 op_sel_hi:[0,1,1]
	v_pk_fma_f16 v111, v115, v111, v115 op_sel:[0,0,1] op_sel_hi:[0,1,1]
	s_delay_alu instid0(VALU_DEP_1)
	v_pk_fma_f16 v110, v108, v111, v110 op_sel_hi:[0,1,1]
	s_cbranch_scc1 .LBB0_25
; %bb.24:                               ;   in Loop: Header=BB0_19 Depth=1
	v_dual_mov_b32 v107, v106 :: v_dual_mov_b32 v104, v105
	s_branch .LBB0_19
.LBB0_25:
	v_or_b32_e32 v0, s14, v14
	s_cmp_lg_u64 s[24:25], 0
	s_cselect_b32 s3, -1, 0
	s_delay_alu instid0(VALU_DEP_1) | instskip(SKIP_1) | instid1(SALU_CYCLE_1)
	v_cmp_eq_u32_e32 vcc_lo, 0, v0
	s_and_b32 s4, vcc_lo, s3
	s_and_saveexec_b32 s3, s4
	s_cbranch_execz .LBB0_27
; %bb.26:
	s_lshl_b64 s[4:5], s[36:37], 2
	v_max_f32_e32 v0, v106, v106
	s_add_u32 s4, s24, s4
	s_addc_u32 s5, s25, s5
	s_load_b32 s4, s[4:5], 0x0
	s_waitcnt lgkmcnt(0)
	v_max_f32_e64 v1, s4, s4
	s_delay_alu instid0(VALU_DEP_1) | instskip(NEXT) | instid1(VALU_DEP_1)
	v_max_f32_e32 v0, v1, v0
	v_sub_f32_e32 v1, s4, v0
	s_delay_alu instid0(VALU_DEP_1) | instskip(NEXT) | instid1(VALU_DEP_1)
	v_mul_f32_e32 v3, 0x3fb8aa3b, v1
	v_fma_f32 v5, 0x3fb8aa3b, v1, -v3
	v_rndne_f32_e32 v6, v3
	s_delay_alu instid0(VALU_DEP_2) | instskip(NEXT) | instid1(VALU_DEP_2)
	v_dual_fmac_f32 v5, 0x32a5705f, v1 :: v_dual_sub_f32 v2, v106, v0
	v_dual_sub_f32 v3, v3, v6 :: v_dual_mov_b32 v106, v0
	s_delay_alu instid0(VALU_DEP_2) | instskip(SKIP_1) | instid1(VALU_DEP_2)
	v_mul_f32_e32 v4, 0x3fb8aa3b, v2
	v_cmp_ngt_f32_e32 vcc_lo, 0xc2ce8ed0, v1
	v_fma_f32 v7, 0x3fb8aa3b, v2, -v4
	v_rndne_f32_e32 v8, v4
	s_delay_alu instid0(VALU_DEP_1) | instskip(SKIP_3) | instid1(VALU_DEP_4)
	v_dual_fmac_f32 v7, 0x32a5705f, v2 :: v_dual_sub_f32 v4, v4, v8
	v_add_f32_e32 v3, v3, v5
	v_cvt_i32_f32_e32 v5, v6
	v_cvt_i32_f32_e32 v6, v8
	v_add_f32_e32 v4, v4, v7
	s_delay_alu instid0(VALU_DEP_4) | instskip(NEXT) | instid1(VALU_DEP_1)
	v_exp_f32_e32 v3, v3
	v_exp_f32_e32 v4, v4
	s_waitcnt_depctr 0xfff
	v_ldexp_f32 v3, v3, v5
	v_ldexp_f32 v4, v4, v6
	s_delay_alu instid0(VALU_DEP_2) | instskip(SKIP_1) | instid1(VALU_DEP_3)
	v_cndmask_b32_e32 v3, 0, v3, vcc_lo
	v_cmp_ngt_f32_e32 vcc_lo, 0xc2ce8ed0, v2
	v_cndmask_b32_e32 v4, 0, v4, vcc_lo
	v_cmp_nlt_f32_e32 vcc_lo, 0x42b17218, v1
	s_delay_alu instid0(VALU_DEP_4) | instskip(SKIP_1) | instid1(VALU_DEP_4)
	v_cndmask_b32_e32 v1, 0x7f800000, v3, vcc_lo
	v_cmp_nlt_f32_e32 vcc_lo, 0x42b17218, v2
	v_cndmask_b32_e32 v2, 0x7f800000, v4, vcc_lo
	v_cmp_eq_u32_e32 vcc_lo, 0, v15
	s_delay_alu instid0(VALU_DEP_4) | instskip(NEXT) | instid1(VALU_DEP_1)
	v_cndmask_b32_e32 v1, 0, v1, vcc_lo
	v_fmac_f32_e32 v1, v105, v2
	s_delay_alu instid0(VALU_DEP_1) | instskip(SKIP_1) | instid1(VALU_DEP_1)
	v_mov_b32_e32 v105, v1
	v_cvt_f16_f32_e32 v3, v2
	v_pk_mul_f16 v109, v3, v109 op_sel_hi:[0,1]
	v_pk_mul_f16 v110, v3, v110 op_sel_hi:[0,1]
.LBB0_27:
	s_or_b32 exec_lo, exec_lo, s3
	s_and_saveexec_b32 s3, s2
	s_cbranch_execz .LBB0_29
; %bb.28:
	v_dual_mov_b32 v0, 0xfeffffff :: v_dual_mov_b32 v1, 0
	v_add_nc_u32_e32 v2, 0x400, v19
	ds_store_2addr_b32 v2, v0, v1 offset1:32
.LBB0_29:
	s_or_b32 exec_lo, exec_lo, s3
	v_cmp_eq_u32_e32 vcc_lo, 0, v15
	v_lshlrev_b32_e32 v7, 2, v14
	s_waitcnt lgkmcnt(0)
	s_barrier
	buffer_gl0_inv
	s_and_saveexec_b32 s2, vcc_lo
	s_cbranch_execz .LBB0_31
; %bb.30:
	ds_store_b32 v7, v106 offset:1024
.LBB0_31:
	s_or_b32 exec_lo, exec_lo, s2
	s_waitcnt lgkmcnt(0)
	s_barrier
	buffer_gl0_inv
	ds_load_b32 v0, v19 offset:1024
	v_xor_b32_e32 v1, 16, v20
	v_xor_b32_e32 v3, 8, v20
	;; [unrolled: 1-line block ×4, first 2 shown]
	v_lshlrev_b32_e32 v12, 3, v15
	v_cmp_gt_i32_e64 s2, 32, v1
	s_delay_alu instid0(VALU_DEP_1) | instskip(SKIP_1) | instid1(VALU_DEP_2)
	v_cndmask_b32_e64 v1, v20, v1, s2
	v_cmp_gt_i32_e64 s2, 32, v3
	v_lshlrev_b32_e32 v2, 2, v1
	s_delay_alu instid0(VALU_DEP_2)
	v_cndmask_b32_e64 v3, v20, v3, s2
	v_cmp_gt_i32_e64 s2, 32, v4
	s_waitcnt lgkmcnt(0)
	ds_bpermute_b32 v1, v2, v0
	v_max_f32_e32 v0, v0, v0
	v_cndmask_b32_e64 v4, v20, v4, s2
	v_cmp_gt_i32_e64 s2, 32, v5
	s_delay_alu instid0(VALU_DEP_2) | instskip(NEXT) | instid1(VALU_DEP_2)
	v_lshlrev_b32_e32 v4, 2, v4
	v_cndmask_b32_e64 v5, v20, v5, s2
	s_delay_alu instid0(VALU_DEP_1) | instskip(SKIP_1) | instid1(VALU_DEP_1)
	v_lshlrev_b32_e32 v6, 2, v5
	v_xor_b32_e32 v5, 1, v20
	v_cmp_gt_i32_e64 s2, 32, v5
	s_waitcnt lgkmcnt(0)
	v_max_f32_e32 v1, v1, v1
	v_lshlrev_b32_e32 v3, 2, v3
	s_delay_alu instid0(VALU_DEP_3) | instskip(NEXT) | instid1(VALU_DEP_3)
	v_cndmask_b32_e64 v5, v20, v5, s2
	v_max_f32_e32 v0, v0, v1
	s_delay_alu instid0(VALU_DEP_2) | instskip(SKIP_3) | instid1(VALU_DEP_1)
	v_lshlrev_b32_e32 v5, 2, v5
	ds_bpermute_b32 v1, v3, v0
	s_waitcnt lgkmcnt(0)
	v_max_f32_e32 v1, v1, v1
	v_max_f32_e32 v0, v0, v1
	ds_bpermute_b32 v1, v4, v0
	s_waitcnt lgkmcnt(0)
	v_max_f32_e32 v1, v1, v1
	s_delay_alu instid0(VALU_DEP_1) | instskip(SKIP_3) | instid1(VALU_DEP_1)
	v_max_f32_e32 v0, v0, v1
	ds_bpermute_b32 v1, v6, v0
	s_waitcnt lgkmcnt(0)
	v_max_f32_e32 v1, v1, v1
	v_max_f32_e32 v0, v0, v1
	ds_bpermute_b32 v1, v5, v0
	s_waitcnt lgkmcnt(0)
	v_max_f32_e32 v1, v1, v1
	s_delay_alu instid0(VALU_DEP_1) | instskip(NEXT) | instid1(VALU_DEP_1)
	v_max_f32_e32 v0, v0, v1
	v_sub_f32_e32 v1, v106, v0
	s_delay_alu instid0(VALU_DEP_1) | instskip(SKIP_1) | instid1(VALU_DEP_2)
	v_mul_f32_e32 v8, 0x3fb8aa3b, v1
	v_cmp_ngt_f32_e64 s2, 0xc2ce8ed0, v1
	v_fma_f32 v9, 0x3fb8aa3b, v1, -v8
	v_rndne_f32_e32 v10, v8
	s_delay_alu instid0(VALU_DEP_1) | instskip(NEXT) | instid1(VALU_DEP_1)
	v_dual_fmamk_f32 v9, v1, 0x32a5705f, v9 :: v_dual_sub_f32 v8, v8, v10
	v_add_f32_e32 v8, v8, v9
	v_cvt_i32_f32_e32 v9, v10
	s_delay_alu instid0(VALU_DEP_2) | instskip(SKIP_2) | instid1(VALU_DEP_1)
	v_exp_f32_e32 v8, v8
	s_waitcnt_depctr 0xfff
	v_ldexp_f32 v8, v8, v9
	v_cndmask_b32_e64 v8, 0, v8, s2
	v_cmp_nlt_f32_e64 s2, 0x42b17218, v1
	s_delay_alu instid0(VALU_DEP_1) | instskip(NEXT) | instid1(VALU_DEP_1)
	v_cndmask_b32_e64 v1, 0x7f800000, v8, s2
	v_mul_f32_e32 v8, v105, v1
	ds_bpermute_b32 v8, v2, v8
	s_waitcnt lgkmcnt(0)
	v_fmac_f32_e32 v8, v105, v1
	v_cvt_f16_f32_e32 v1, v1
	ds_bpermute_b32 v9, v3, v8
	s_waitcnt lgkmcnt(0)
	v_add_f32_e32 v8, v8, v9
	ds_bpermute_b32 v9, v4, v8
	s_waitcnt lgkmcnt(0)
	v_add_f32_e32 v8, v8, v9
	;; [unrolled: 3-line block ×3, first 2 shown]
	v_and_b32_e32 v8, 0x380, v12
	v_pk_mul_f16 v9, v1, v110 op_sel_hi:[0,1]
	ds_bpermute_b32 v11, v5, v10
	v_lshl_add_u32 v13, v14, 8, v8
	v_pk_mul_f16 v8, v1, v109 op_sel_hi:[0,1]
	s_delay_alu instid0(VALU_DEP_2)
	v_and_or_b32 v12, 0x78, v12, v13
	ds_store_b64 v12, v[8:9]
	s_waitcnt lgkmcnt(1)
	v_add_f32_e32 v1, v10, v11
	s_and_saveexec_b32 s2, vcc_lo
	s_cbranch_execz .LBB0_33
; %bb.32:
	ds_store_b32 v7, v1 offset:1152
.LBB0_33:
	s_or_b32 exec_lo, exec_lo, s2
	s_delay_alu instid0(SALU_CYCLE_1)
	s_mov_b32 s2, exec_lo
	s_waitcnt lgkmcnt(0)
	s_barrier
	buffer_gl0_inv
                                        ; implicit-def: $sgpr3
	v_cmpx_lt_u32_e32 63, v17
	s_xor_b32 s2, exec_lo, s2
	s_cbranch_execz .LBB0_35
; %bb.34:
	s_load_b32 s3, s[0:1], 0xd4
                                        ; implicit-def: $vgpr19
                                        ; implicit-def: $vgpr2
                                        ; implicit-def: $vgpr3
                                        ; implicit-def: $vgpr4
                                        ; implicit-def: $vgpr6
                                        ; implicit-def: $vgpr5
                                        ; implicit-def: $vgpr18
.LBB0_35:
	s_or_saveexec_b32 s2, s2
	s_waitcnt lgkmcnt(0)
	v_mov_b32_e32 v7, s3
	s_mul_i32 s3, s12, s34
	s_xor_b32 exec_lo, exec_lo, s2
	s_cbranch_execz .LBB0_37
; %bb.36:
	ds_load_b32 v1, v19 offset:1152
	ds_load_u16 v7, v18
	ds_load_u16 v8, v18 offset:128
	ds_load_u16 v9, v18 offset:256
	;; [unrolled: 1-line block ×6, first 2 shown]
	s_load_b32 s0, s[0:1], 0xd4
	s_waitcnt lgkmcnt(0)
	ds_bpermute_b32 v2, v2, v1
	s_cmp_eq_u32 s0, 1
	s_waitcnt lgkmcnt(0)
	v_add_f32_e32 v1, v1, v2
	ds_bpermute_b32 v2, v3, v1
	v_cvt_f32_f16_e32 v3, v7
	v_cvt_f32_f16_e32 v7, v10
	s_delay_alu instid0(VALU_DEP_2) | instskip(SKIP_4) | instid1(VALU_DEP_1)
	v_add_f32_e32 v3, 0, v3
	s_waitcnt lgkmcnt(0)
	v_add_f32_e32 v1, v1, v2
	ds_bpermute_b32 v2, v4, v1
	v_cvt_f32_f16_e32 v4, v8
	v_add_f32_e32 v3, v3, v4
	ds_load_u16 v4, v18 offset:896
	s_waitcnt lgkmcnt(1)
	v_add_f32_e32 v1, v1, v2
	ds_bpermute_b32 v2, v6, v1
	v_cvt_f32_f16_e32 v6, v9
	s_waitcnt lgkmcnt(1)
	v_cvt_f32_f16_e32 v4, v4
	s_delay_alu instid0(VALU_DEP_2) | instskip(SKIP_1) | instid1(VALU_DEP_2)
	v_add_f32_e32 v3, v3, v6
	v_cvt_f32_f16_e32 v6, v12
	v_add_f32_e32 v3, v3, v7
	s_waitcnt lgkmcnt(0)
	v_add_f32_e32 v1, v1, v2
	v_cvt_f32_f16_e32 v2, v11
	ds_bpermute_b32 v5, v5, v1
	v_add_f32_e32 v2, v3, v2
	v_cvt_f32_f16_e32 v3, v13
	s_waitcnt lgkmcnt(0)
	s_delay_alu instid0(VALU_DEP_2) | instskip(NEXT) | instid1(VALU_DEP_1)
	v_dual_add_f32 v1, v1, v5 :: v_dual_add_f32 v2, v2, v6
	v_add_f32_e32 v2, v2, v3
	s_delay_alu instid0(VALU_DEP_1) | instskip(NEXT) | instid1(VALU_DEP_1)
	v_add_f32_e32 v4, v2, v4
	v_div_scale_f32 v2, null, v1, v1, v4
	v_div_scale_f32 v6, vcc_lo, v4, v1, v4
	s_delay_alu instid0(VALU_DEP_2) | instskip(SKIP_2) | instid1(VALU_DEP_1)
	v_rcp_f32_e32 v3, v2
	s_waitcnt_depctr 0xfff
	v_fma_f32 v5, -v2, v3, 1.0
	v_fmac_f32_e32 v3, v5, v3
	s_delay_alu instid0(VALU_DEP_1) | instskip(NEXT) | instid1(VALU_DEP_1)
	v_mul_f32_e32 v5, v6, v3
	v_fma_f32 v7, -v2, v5, v6
	s_delay_alu instid0(VALU_DEP_1) | instskip(SKIP_1) | instid1(VALU_DEP_2)
	v_fmac_f32_e32 v5, v7, v3
	v_mov_b32_e32 v7, s0
	v_fma_f32 v2, -v2, v5, v6
	s_delay_alu instid0(VALU_DEP_1)
	v_div_fmas_f32 v2, v2, v3, v5
	s_cselect_b32 vcc_lo, -1, 0
	s_add_i32 s1, s3, s13
	v_mov_b32_e32 v3, 0
	s_mul_i32 s1, s1, s35
	v_div_fixup_f32 v5, v2, v1, v4
	s_add_i32 s1, s1, s36
	s_delay_alu instid0(SALU_CYCLE_1) | instskip(NEXT) | instid1(SALU_CYCLE_1)
	s_mul_i32 s1, s0, s1
	s_add_i32 s1, s1, s14
	s_delay_alu instid0(VALU_DEP_1) | instskip(SKIP_1) | instid1(VALU_DEP_1)
	v_cndmask_b32_e32 v4, v4, v5, vcc_lo
	v_lshl_or_b32 v2, s1, 6, v17
	v_lshlrev_b64 v[2:3], 2, v[2:3]
	s_delay_alu instid0(VALU_DEP_1) | instskip(NEXT) | instid1(VALU_DEP_2)
	v_add_co_u32 v2, vcc_lo, s28, v2
	v_add_co_ci_u32_e32 v3, vcc_lo, s29, v3, vcc_lo
	global_store_b32 v[2:3], v4, off
.LBB0_37:
	s_or_b32 exec_lo, exec_lo, s2
	v_cmp_ne_u32_e32 vcc_lo, 1, v7
	v_cmp_eq_u32_e64 s0, 0, v17
	s_delay_alu instid0(VALU_DEP_1) | instskip(NEXT) | instid1(SALU_CYCLE_1)
	s_and_b32 s0, s0, vcc_lo
	s_and_saveexec_b32 s1, s0
	s_cbranch_execz .LBB0_39
; %bb.38:
	s_add_i32 s0, s3, s13
	s_delay_alu instid0(SALU_CYCLE_1) | instskip(NEXT) | instid1(SALU_CYCLE_1)
	s_mul_i32 s0, s0, s35
	s_add_i32 s0, s0, s36
	s_delay_alu instid0(SALU_CYCLE_1) | instskip(SKIP_1) | instid1(VALU_DEP_1)
	v_mad_u64_u32 v[2:3], null, v7, s0, s[14:15]
	v_mov_b32_e32 v3, 0
	v_lshlrev_b64 v[2:3], 3, v[2:3]
	s_delay_alu instid0(VALU_DEP_1) | instskip(NEXT) | instid1(VALU_DEP_2)
	v_add_co_u32 v2, vcc_lo, s30, v2
	v_add_co_ci_u32_e32 v3, vcc_lo, s31, v3, vcc_lo
	global_store_b64 v[2:3], v[0:1], off
.LBB0_39:
	s_nop 0
	s_sendmsg sendmsg(MSG_DEALLOC_VGPRS)
	s_endpgm
	.section	.rodata,"a",@progbits
	.p2align	6, 0x0
	.amdhsa_kernel _ZL18flash_attn_ext_vecILi64ELi1EL9ggml_type6ELS0_3ELb0EEvPKcS2_S2_S2_S2_PKiPfP15HIP_vector_typeIfLj2EEffffjfiS6_IjLj3EEiiiiiiiiiiiliiliiiiil
		.amdhsa_group_segment_fixed_size 1280
		.amdhsa_private_segment_fixed_size 0
		.amdhsa_kernarg_size 464
		.amdhsa_user_sgpr_count 13
		.amdhsa_user_sgpr_dispatch_ptr 0
		.amdhsa_user_sgpr_queue_ptr 0
		.amdhsa_user_sgpr_kernarg_segment_ptr 1
		.amdhsa_user_sgpr_dispatch_id 0
		.amdhsa_user_sgpr_private_segment_size 0
		.amdhsa_wavefront_size32 1
		.amdhsa_uses_dynamic_stack 0
		.amdhsa_enable_private_segment 0
		.amdhsa_system_sgpr_workgroup_id_x 1
		.amdhsa_system_sgpr_workgroup_id_y 1
		.amdhsa_system_sgpr_workgroup_id_z 1
		.amdhsa_system_sgpr_workgroup_info 0
		.amdhsa_system_vgpr_workitem_id 1
		.amdhsa_next_free_vgpr 131
		.amdhsa_next_free_sgpr 52
		.amdhsa_reserve_vcc 1
		.amdhsa_float_round_mode_32 0
		.amdhsa_float_round_mode_16_64 0
		.amdhsa_float_denorm_mode_32 3
		.amdhsa_float_denorm_mode_16_64 3
		.amdhsa_dx10_clamp 1
		.amdhsa_ieee_mode 1
		.amdhsa_fp16_overflow 0
		.amdhsa_workgroup_processor_mode 1
		.amdhsa_memory_ordered 1
		.amdhsa_forward_progress 0
		.amdhsa_shared_vgpr_count 0
		.amdhsa_exception_fp_ieee_invalid_op 0
		.amdhsa_exception_fp_denorm_src 0
		.amdhsa_exception_fp_ieee_div_zero 0
		.amdhsa_exception_fp_ieee_overflow 0
		.amdhsa_exception_fp_ieee_underflow 0
		.amdhsa_exception_fp_ieee_inexact 0
		.amdhsa_exception_int_div_zero 0
	.end_amdhsa_kernel
	.section	.text._ZL18flash_attn_ext_vecILi64ELi1EL9ggml_type6ELS0_3ELb0EEvPKcS2_S2_S2_S2_PKiPfP15HIP_vector_typeIfLj2EEffffjfiS6_IjLj3EEiiiiiiiiiiiliiliiiiil,"axG",@progbits,_ZL18flash_attn_ext_vecILi64ELi1EL9ggml_type6ELS0_3ELb0EEvPKcS2_S2_S2_S2_PKiPfP15HIP_vector_typeIfLj2EEffffjfiS6_IjLj3EEiiiiiiiiiiiliiliiiiil,comdat
.Lfunc_end0:
	.size	_ZL18flash_attn_ext_vecILi64ELi1EL9ggml_type6ELS0_3ELb0EEvPKcS2_S2_S2_S2_PKiPfP15HIP_vector_typeIfLj2EEffffjfiS6_IjLj3EEiiiiiiiiiiiliiliiiiil, .Lfunc_end0-_ZL18flash_attn_ext_vecILi64ELi1EL9ggml_type6ELS0_3ELb0EEvPKcS2_S2_S2_S2_PKiPfP15HIP_vector_typeIfLj2EEffffjfiS6_IjLj3EEiiiiiiiiiiiliiliiiiil
                                        ; -- End function
	.section	.AMDGPU.csdata,"",@progbits
; Kernel info:
; codeLenInByte = 12896
; NumSgprs: 54
; NumVgprs: 131
; ScratchSize: 0
; MemoryBound: 0
; FloatMode: 240
; IeeeMode: 1
; LDSByteSize: 1280 bytes/workgroup (compile time only)
; SGPRBlocks: 6
; VGPRBlocks: 16
; NumSGPRsForWavesPerEU: 54
; NumVGPRsForWavesPerEU: 131
; Occupancy: 10
; WaveLimiterHint : 0
; COMPUTE_PGM_RSRC2:SCRATCH_EN: 0
; COMPUTE_PGM_RSRC2:USER_SGPR: 13
; COMPUTE_PGM_RSRC2:TRAP_HANDLER: 0
; COMPUTE_PGM_RSRC2:TGID_X_EN: 1
; COMPUTE_PGM_RSRC2:TGID_Y_EN: 1
; COMPUTE_PGM_RSRC2:TGID_Z_EN: 1
; COMPUTE_PGM_RSRC2:TIDIG_COMP_CNT: 1
	.section	.text._ZL25flash_attn_mask_to_KV_maxILi1EEvPK7__half2Piiii,"axG",@progbits,_ZL25flash_attn_mask_to_KV_maxILi1EEvPK7__half2Piiii,comdat
	.globl	_ZL25flash_attn_mask_to_KV_maxILi1EEvPK7__half2Piiii ; -- Begin function _ZL25flash_attn_mask_to_KV_maxILi1EEvPK7__half2Piiii
	.p2align	8
	.type	_ZL25flash_attn_mask_to_KV_maxILi1EEvPK7__half2Piiii,@function
_ZL25flash_attn_mask_to_KV_maxILi1EEvPK7__half2Piiii: ; @_ZL25flash_attn_mask_to_KV_maxILi1EEvPK7__half2Piiii
; %bb.0:
	s_load_b128 s[4:7], s[0:1], 0x0
	s_mov_b32 s2, exec_lo
	v_cmpx_gt_u32_e32 32, v0
	s_cbranch_execz .LBB1_2
; %bb.1:
	v_dual_mov_b32 v2, 1 :: v_dual_lshlrev_b32 v1, 2, v0
	ds_store_b32 v1, v2
.LBB1_2:
	s_or_b32 exec_lo, exec_lo, s2
	s_clause 0x1
	s_load_b128 s[8:11], s[0:1], 0x10
	s_load_b32 s1, s[0:1], 0x20
	v_dual_mov_b32 v2, 0 :: v_dual_and_b32 v1, 31, v0
	v_lshrrev_b32_e32 v3, 3, v0
	s_waitcnt lgkmcnt(0)
	s_barrier
	s_delay_alu instid0(VALU_DEP_2) | instskip(SKIP_3) | instid1(SALU_CYCLE_1)
	v_lshlrev_b32_e32 v4, 2, v1
	buffer_gl0_inv
	s_mul_i32 s0, s15, s10
	s_mul_i32 s2, s14, s9
	s_add_i32 s2, s0, s2
	v_cmp_eq_u32_e64 s0, 0, v1
	s_ashr_i32 s3, s2, 31
	s_delay_alu instid0(SALU_CYCLE_1) | instskip(NEXT) | instid1(SALU_CYCLE_1)
	s_lshl_b64 s[10:11], s[2:3], 2
	s_add_u32 s3, s4, s10
	s_addc_u32 s4, s5, s11
	s_lshl_b32 s5, s8, 8
	s_branch .LBB1_4
	.p2align	6
.LBB1_3:                                ;   in Loop: Header=BB1_4 Depth=1
	s_or_b32 exec_lo, exec_lo, s9
	s_waitcnt lgkmcnt(0)
	s_barrier
	buffer_gl0_inv
	ds_load_b32 v1, v4
	s_waitcnt lgkmcnt(0)
	s_barrier
	buffer_gl0_inv
	;;#ASMSTART
	;;#ASMEND
	v_cmp_ne_u32_e32 vcc_lo, 0, v1
	s_cmp_lg_u32 vcc_lo, exec_lo
	s_cselect_b32 s8, -1, 0
	s_delay_alu instid0(SALU_CYCLE_1)
	s_and_b32 vcc_lo, exec_lo, s8
	s_cbranch_vccnz .LBB1_8
.LBB1_4:                                ; =>This Inner Loop Header: Depth=1
	s_mov_b32 s2, s5
	s_addk_i32 s5, 0xff00
	s_delay_alu instid0(SALU_CYCLE_1)
	s_cmp_lt_i32 s5, 0
	s_cbranch_scc1 .LBB1_7
; %bb.5:                                ;   in Loop: Header=BB1_4 Depth=1
	s_lshr_b32 s9, s5, 1
	s_mov_b32 s8, exec_lo
	v_add_nc_u32_e32 v1, s9, v0
	s_delay_alu instid0(VALU_DEP_1) | instskip(NEXT) | instid1(VALU_DEP_1)
	v_lshlrev_b64 v[5:6], 2, v[1:2]
	v_add_co_u32 v5, vcc_lo, s3, v5
	s_delay_alu instid0(VALU_DEP_2) | instskip(SKIP_4) | instid1(VALU_DEP_2)
	v_add_co_ci_u32_e32 v6, vcc_lo, s4, v6, vcc_lo
	global_load_b32 v1, v[5:6], off
	s_waitcnt vmcnt(0)
	v_lshrrev_b32_e32 v5, 16, v1
	v_cmp_class_f16_e64 s9, v1, 0x204
	v_and_b32_e32 v5, 0x7fff, v5
	s_delay_alu instid0(VALU_DEP_1) | instskip(NEXT) | instid1(VALU_DEP_3)
	v_cmp_eq_f16_e32 vcc_lo, 0x7c00, v5
	s_and_b32 s9, s9, vcc_lo
	s_delay_alu instid0(SALU_CYCLE_1) | instskip(SKIP_1) | instid1(VALU_DEP_1)
	v_cndmask_b32_e64 v1, 0, 1, s9
	;;#ASMSTART
	;;#ASMEND
	v_cmp_ne_u32_e32 vcc_lo, 0, v1
	s_and_saveexec_b32 s9, s0
	s_cbranch_execz .LBB1_3
; %bb.6:                                ;   in Loop: Header=BB1_4 Depth=1
	s_cmp_eq_u32 vcc_lo, s8
	s_cselect_b32 s8, -1, 0
	s_delay_alu instid0(SALU_CYCLE_1)
	v_cndmask_b32_e64 v1, 0, 1, s8
	ds_store_b32 v3, v1
	s_branch .LBB1_3
.LBB1_7:                                ;   in Loop: Header=BB1_4 Depth=1
                                        ; implicit-def: $sgpr5
	s_cbranch_execz .LBB1_4
.LBB1_8:
	s_mov_b32 s0, exec_lo
	v_cmpx_eq_u32_e32 0, v0
	s_cbranch_execz .LBB1_10
; %bb.9:
	s_mul_i32 s0, s1, s15
	v_dual_mov_b32 v0, 0 :: v_dual_mov_b32 v1, s2
	s_add_i32 s0, s0, s14
	s_delay_alu instid0(SALU_CYCLE_1) | instskip(NEXT) | instid1(SALU_CYCLE_1)
	s_ashr_i32 s1, s0, 31
	s_lshl_b64 s[0:1], s[0:1], 2
	s_delay_alu instid0(SALU_CYCLE_1)
	s_add_u32 s0, s6, s0
	s_addc_u32 s1, s7, s1
	global_store_b32 v0, v1, s[0:1]
.LBB1_10:
	s_nop 0
	s_sendmsg sendmsg(MSG_DEALLOC_VGPRS)
	s_endpgm
	.section	.rodata,"a",@progbits
	.p2align	6, 0x0
	.amdhsa_kernel _ZL25flash_attn_mask_to_KV_maxILi1EEvPK7__half2Piiii
		.amdhsa_group_segment_fixed_size 128
		.amdhsa_private_segment_fixed_size 0
		.amdhsa_kernarg_size 288
		.amdhsa_user_sgpr_count 14
		.amdhsa_user_sgpr_dispatch_ptr 0
		.amdhsa_user_sgpr_queue_ptr 0
		.amdhsa_user_sgpr_kernarg_segment_ptr 1
		.amdhsa_user_sgpr_dispatch_id 0
		.amdhsa_user_sgpr_private_segment_size 0
		.amdhsa_wavefront_size32 1
		.amdhsa_uses_dynamic_stack 0
		.amdhsa_enable_private_segment 0
		.amdhsa_system_sgpr_workgroup_id_x 1
		.amdhsa_system_sgpr_workgroup_id_y 1
		.amdhsa_system_sgpr_workgroup_id_z 0
		.amdhsa_system_sgpr_workgroup_info 0
		.amdhsa_system_vgpr_workitem_id 0
		.amdhsa_next_free_vgpr 7
		.amdhsa_next_free_sgpr 16
		.amdhsa_reserve_vcc 1
		.amdhsa_float_round_mode_32 0
		.amdhsa_float_round_mode_16_64 0
		.amdhsa_float_denorm_mode_32 3
		.amdhsa_float_denorm_mode_16_64 3
		.amdhsa_dx10_clamp 1
		.amdhsa_ieee_mode 1
		.amdhsa_fp16_overflow 0
		.amdhsa_workgroup_processor_mode 1
		.amdhsa_memory_ordered 1
		.amdhsa_forward_progress 0
		.amdhsa_shared_vgpr_count 0
		.amdhsa_exception_fp_ieee_invalid_op 0
		.amdhsa_exception_fp_denorm_src 0
		.amdhsa_exception_fp_ieee_div_zero 0
		.amdhsa_exception_fp_ieee_overflow 0
		.amdhsa_exception_fp_ieee_underflow 0
		.amdhsa_exception_fp_ieee_inexact 0
		.amdhsa_exception_int_div_zero 0
	.end_amdhsa_kernel
	.section	.text._ZL25flash_attn_mask_to_KV_maxILi1EEvPK7__half2Piiii,"axG",@progbits,_ZL25flash_attn_mask_to_KV_maxILi1EEvPK7__half2Piiii,comdat
.Lfunc_end1:
	.size	_ZL25flash_attn_mask_to_KV_maxILi1EEvPK7__half2Piiii, .Lfunc_end1-_ZL25flash_attn_mask_to_KV_maxILi1EEvPK7__half2Piiii
                                        ; -- End function
	.section	.AMDGPU.csdata,"",@progbits
; Kernel info:
; codeLenInByte = 456
; NumSgprs: 18
; NumVgprs: 7
; ScratchSize: 0
; MemoryBound: 0
; FloatMode: 240
; IeeeMode: 1
; LDSByteSize: 128 bytes/workgroup (compile time only)
; SGPRBlocks: 2
; VGPRBlocks: 0
; NumSGPRsForWavesPerEU: 18
; NumVGPRsForWavesPerEU: 7
; Occupancy: 16
; WaveLimiterHint : 0
; COMPUTE_PGM_RSRC2:SCRATCH_EN: 0
; COMPUTE_PGM_RSRC2:USER_SGPR: 14
; COMPUTE_PGM_RSRC2:TRAP_HANDLER: 0
; COMPUTE_PGM_RSRC2:TGID_X_EN: 1
; COMPUTE_PGM_RSRC2:TGID_Y_EN: 1
; COMPUTE_PGM_RSRC2:TGID_Z_EN: 0
; COMPUTE_PGM_RSRC2:TIDIG_COMP_CNT: 0
	.section	.text._ZL33flash_attn_stream_k_fixup_uniformILi64ELi1ELi1EEvPfPK15HIP_vector_typeIfLj2EEiiiiiiS1_IjLj3EES5_S5_,"axG",@progbits,_ZL33flash_attn_stream_k_fixup_uniformILi64ELi1ELi1EEvPfPK15HIP_vector_typeIfLj2EEiiiiiiS1_IjLj3EES5_S5_,comdat
	.globl	_ZL33flash_attn_stream_k_fixup_uniformILi64ELi1ELi1EEvPfPK15HIP_vector_typeIfLj2EEiiiiiiS1_IjLj3EES5_S5_ ; -- Begin function _ZL33flash_attn_stream_k_fixup_uniformILi64ELi1ELi1EEvPfPK15HIP_vector_typeIfLj2EEiiiiiiS1_IjLj3EES5_S5_
	.p2align	8
	.type	_ZL33flash_attn_stream_k_fixup_uniformILi64ELi1ELi1EEvPfPK15HIP_vector_typeIfLj2EEiiiiiiS1_IjLj3EES5_S5_,@function
_ZL33flash_attn_stream_k_fixup_uniformILi64ELi1ELi1EEvPfPK15HIP_vector_typeIfLj2EEiiiiiiS1_IjLj3EES5_S5_: ; @_ZL33flash_attn_stream_k_fixup_uniformILi64ELi1ELi1EEvPfPK15HIP_vector_typeIfLj2EEiiiiiiS1_IjLj3EES5_S5_
; %bb.0:
	s_clause 0x1
	s_load_b256 s[4:11], s[0:1], 0x1c
	s_load_b128 s[16:19], s[0:1], 0x3c
	s_waitcnt lgkmcnt(0)
	s_mul_hi_u32 s2, s7, s13
	s_delay_alu instid0(SALU_CYCLE_1) | instskip(NEXT) | instid1(SALU_CYCLE_1)
	s_add_i32 s2, s13, s2
	s_lshr_b32 s7, s2, s8
	s_delay_alu instid0(SALU_CYCLE_1) | instskip(SKIP_2) | instid1(SALU_CYCLE_1)
	s_mul_i32 s2, s7, s9
	s_load_b64 s[8:9], s[0:1], 0x10
	s_sub_i32 s2, s13, s2
	s_mul_hi_u32 s3, s2, s10
	s_delay_alu instid0(SALU_CYCLE_1) | instskip(NEXT) | instid1(SALU_CYCLE_1)
	s_add_i32 s3, s2, s3
	s_lshr_b32 s10, s3, s11
	s_delay_alu instid0(SALU_CYCLE_1) | instskip(NEXT) | instid1(SALU_CYCLE_1)
	s_mul_i32 s3, s10, s16
	s_sub_i32 s2, s2, s3
	s_delay_alu instid0(SALU_CYCLE_1) | instskip(NEXT) | instid1(SALU_CYCLE_1)
	s_mul_hi_u32 s3, s2, s17
	s_add_i32 s3, s2, s3
	s_delay_alu instid0(SALU_CYCLE_1) | instskip(NEXT) | instid1(SALU_CYCLE_1)
	s_lshr_b32 s12, s3, s18
	s_mul_i32 s3, s12, s19
	s_delay_alu instid0(SALU_CYCLE_1) | instskip(NEXT) | instid1(SALU_CYCLE_1)
	s_sub_i32 s11, s2, s3
	s_add_i32 s11, s11, s14
	s_waitcnt lgkmcnt(0)
	s_cmp_lt_i32 s11, s8
	s_cselect_b32 s2, -1, 0
	s_add_i32 s12, s12, s15
	s_delay_alu instid0(SALU_CYCLE_1) | instskip(SKIP_1) | instid1(SALU_CYCLE_1)
	s_cmp_lt_i32 s12, s5
	s_cselect_b32 s3, -1, 0
	s_and_b32 s2, s2, s3
	s_delay_alu instid0(SALU_CYCLE_1)
	s_and_not1_b32 vcc_lo, exec_lo, s2
	s_cbranch_vccnz .LBB2_6
; %bb.1:
	s_mul_i32 s7, s7, s8
	s_mul_i32 s10, s10, s5
	s_add_i32 s5, s11, s7
	s_load_b128 s[0:3], s[0:1], 0x0
	s_add_i32 s7, s12, s10
	s_mul_i32 s5, s5, s9
	s_delay_alu instid0(SALU_CYCLE_1) | instskip(SKIP_4) | instid1(SALU_CYCLE_1)
	s_add_i32 s7, s7, s5
	s_mul_i32 s5, s13, s6
	v_lshl_or_b32 v1, s7, 6, v0
	s_add_i32 s7, s14, s15
	s_add_i32 s6, s5, s6
	;; [unrolled: 1-line block ×3, first 2 shown]
	s_delay_alu instid0(VALU_DEP_1) | instskip(NEXT) | instid1(VALU_DEP_1)
	v_ashrrev_i32_e32 v2, 31, v1
	v_lshlrev_b64 v[1:2], 2, v[1:2]
	s_waitcnt lgkmcnt(0)
	s_delay_alu instid0(VALU_DEP_1) | instskip(NEXT) | instid1(VALU_DEP_2)
	v_add_co_u32 v1, vcc_lo, s0, v1
	v_add_co_ci_u32_e32 v2, vcc_lo, s1, v2, vcc_lo
	s_add_i32 s0, s8, -1
	s_delay_alu instid0(SALU_CYCLE_1) | instskip(SKIP_2) | instid1(SALU_CYCLE_1)
	s_ashr_i32 s1, s0, 31
	global_load_b32 v5, v[1:2], off
	s_lshl_b64 s[0:1], s[0:1], 3
	s_add_u32 s0, s2, s0
	s_addc_u32 s1, s3, s1
	s_add_i32 s10, s6, -2
	s_load_b32 s9, s[0:1], 0x4
	s_cmp_lt_i32 s10, s5
	s_cbranch_scc1 .LBB2_4
; %bb.2:
	s_load_b32 s10, s[0:1], 0x0
	v_lshl_or_b32 v0, s8, 6, v0
	s_lshl_b32 s0, s4, 2
	s_waitcnt lgkmcnt(0)
	v_mov_b32_e32 v6, s9
	s_ashr_i32 s1, s0, 31
	s_delay_alu instid0(SALU_CYCLE_1)
	s_lshl_b64 s[0:1], s[0:1], 2
	v_add_nc_u32_e32 v3, 0xffffff80, v0
	s_add_u32 s0, s2, s0
	s_addc_u32 s1, s3, s1
	s_add_i32 s6, s6, -1
	s_add_i32 s4, s7, s4
	v_mov_b32_e32 v0, s10
.LBB2_3:                                ; =>This Inner Loop Header: Depth=1
	v_ashrrev_i32_e32 v4, 31, v3
	s_add_i32 s6, s6, -1
	s_delay_alu instid0(SALU_CYCLE_1) | instskip(NEXT) | instid1(SALU_CYCLE_1)
	s_add_i32 s8, s6, s4
	s_ashr_i32 s9, s8, 31
	s_delay_alu instid0(VALU_DEP_1)
	v_lshlrev_b64 v[7:8], 2, v[3:4]
	s_lshl_b64 s[8:9], s[8:9], 3
	v_subrev_nc_u32_e32 v3, 64, v3
	s_add_u32 s8, s2, s8
	s_addc_u32 s9, s3, s9
	s_cmp_le_i32 s6, s5
	v_add_co_u32 v7, vcc_lo, s0, v7
	v_add_co_ci_u32_e32 v8, vcc_lo, s1, v8, vcc_lo
	s_load_b64 s[8:9], s[8:9], 0x0
	global_load_b32 v4, v[7:8], off
	v_max_f32_e32 v7, v0, v0
	s_waitcnt lgkmcnt(0)
	v_max_f32_e64 v8, s8, s8
	s_delay_alu instid0(VALU_DEP_1) | instskip(NEXT) | instid1(VALU_DEP_1)
	v_max_f32_e32 v7, v7, v8
	v_sub_f32_e32 v8, s8, v7
	s_delay_alu instid0(VALU_DEP_1) | instskip(NEXT) | instid1(VALU_DEP_1)
	v_dual_sub_f32 v0, v0, v7 :: v_dual_mul_f32 v9, 0x3fb8aa3b, v8
	v_fma_f32 v10, 0x3fb8aa3b, v8, -v9
	v_rndne_f32_e32 v11, v9
	s_delay_alu instid0(VALU_DEP_3) | instskip(NEXT) | instid1(VALU_DEP_2)
	v_mul_f32_e32 v12, 0x3fb8aa3b, v0
	v_dual_fmac_f32 v10, 0x32a5705f, v8 :: v_dual_sub_f32 v9, v9, v11
	v_cvt_i32_f32_e32 v11, v11
	s_delay_alu instid0(VALU_DEP_3) | instskip(SKIP_1) | instid1(VALU_DEP_4)
	v_fma_f32 v13, 0x3fb8aa3b, v0, -v12
	v_rndne_f32_e32 v14, v12
	v_add_f32_e32 v9, v9, v10
	v_cmp_ngt_f32_e32 vcc_lo, 0xc2ce8ed0, v8
	s_delay_alu instid0(VALU_DEP_3) | instskip(NEXT) | instid1(VALU_DEP_3)
	v_sub_f32_e32 v10, v12, v14
	v_exp_f32_e32 v9, v9
	s_waitcnt_depctr 0xfff
	v_ldexp_f32 v9, v9, v11
	v_cvt_i32_f32_e32 v11, v14
	s_delay_alu instid0(VALU_DEP_2) | instskip(SKIP_1) | instid1(VALU_DEP_2)
	v_cndmask_b32_e32 v9, 0, v9, vcc_lo
	v_cmp_nlt_f32_e32 vcc_lo, 0x42b17218, v8
	v_cndmask_b32_e32 v9, 0x7f800000, v9, vcc_lo
	v_cmp_ngt_f32_e32 vcc_lo, 0xc2ce8ed0, v0
	v_fmac_f32_e32 v13, 0x32a5705f, v0
	s_delay_alu instid0(VALU_DEP_1) | instskip(NEXT) | instid1(VALU_DEP_1)
	v_add_f32_e32 v10, v10, v13
	v_exp_f32_e32 v10, v10
	s_waitcnt_depctr 0xfff
	v_ldexp_f32 v10, v10, v11
	s_delay_alu instid0(VALU_DEP_1)
	v_dual_mov_b32 v11, v6 :: v_dual_cndmask_b32 v10, 0, v10
	v_cmp_le_f32_e32 vcc_lo, 0xc1a00000, v8
	s_waitcnt vmcnt(1)
	v_dual_cndmask_b32 v8, 0, v9 :: v_dual_mov_b32 v9, v5
	v_cmp_nlt_f32_e32 vcc_lo, 0x42b17218, v0
	v_cndmask_b32_e32 v5, 0x7f800000, v10, vcc_lo
	s_delay_alu instid0(VALU_DEP_3) | instskip(SKIP_2) | instid1(VALU_DEP_3)
	v_mul_f32_e32 v10, s9, v8
	v_cmp_le_f32_e32 vcc_lo, 0xc1a00000, v0
	v_mov_b32_e32 v0, v7
	v_mov_b32_e32 v6, v10
	s_waitcnt vmcnt(0)
	v_dual_cndmask_b32 v12, 0, v5 :: v_dual_mul_f32 v5, v4, v8
	s_delay_alu instid0(VALU_DEP_1) | instskip(NEXT) | instid1(VALU_DEP_2)
	v_fmac_f32_e32 v6, v11, v12
	v_fmac_f32_e32 v5, v9, v12
	s_cbranch_scc0 .LBB2_3
	s_branch .LBB2_5
.LBB2_4:
	s_waitcnt lgkmcnt(0)
	v_mov_b32_e32 v6, s9
.LBB2_5:
	s_waitcnt vmcnt(0)
	s_delay_alu instid0(VALU_DEP_1) | instskip(NEXT) | instid1(VALU_DEP_1)
	v_div_scale_f32 v0, null, v6, v6, v5
	v_rcp_f32_e32 v3, v0
	s_waitcnt_depctr 0xfff
	v_fma_f32 v4, -v0, v3, 1.0
	s_delay_alu instid0(VALU_DEP_1) | instskip(SKIP_1) | instid1(VALU_DEP_1)
	v_fmac_f32_e32 v3, v4, v3
	v_div_scale_f32 v4, vcc_lo, v5, v6, v5
	v_mul_f32_e32 v7, v4, v3
	s_delay_alu instid0(VALU_DEP_1) | instskip(NEXT) | instid1(VALU_DEP_1)
	v_fma_f32 v8, -v0, v7, v4
	v_fmac_f32_e32 v7, v8, v3
	s_delay_alu instid0(VALU_DEP_1) | instskip(NEXT) | instid1(VALU_DEP_1)
	v_fma_f32 v0, -v0, v7, v4
	v_div_fmas_f32 v0, v0, v3, v7
	s_delay_alu instid0(VALU_DEP_1)
	v_div_fixup_f32 v0, v0, v6, v5
	global_store_b32 v[1:2], v0, off
.LBB2_6:
	s_nop 0
	s_sendmsg sendmsg(MSG_DEALLOC_VGPRS)
	s_endpgm
	.section	.rodata,"a",@progbits
	.p2align	6, 0x0
	.amdhsa_kernel _ZL33flash_attn_stream_k_fixup_uniformILi64ELi1ELi1EEvPfPK15HIP_vector_typeIfLj2EEiiiiiiS1_IjLj3EES5_S5_
		.amdhsa_group_segment_fixed_size 0
		.amdhsa_private_segment_fixed_size 0
		.amdhsa_kernarg_size 76
		.amdhsa_user_sgpr_count 13
		.amdhsa_user_sgpr_dispatch_ptr 0
		.amdhsa_user_sgpr_queue_ptr 0
		.amdhsa_user_sgpr_kernarg_segment_ptr 1
		.amdhsa_user_sgpr_dispatch_id 0
		.amdhsa_user_sgpr_private_segment_size 0
		.amdhsa_wavefront_size32 1
		.amdhsa_uses_dynamic_stack 0
		.amdhsa_enable_private_segment 0
		.amdhsa_system_sgpr_workgroup_id_x 1
		.amdhsa_system_sgpr_workgroup_id_y 1
		.amdhsa_system_sgpr_workgroup_id_z 1
		.amdhsa_system_sgpr_workgroup_info 0
		.amdhsa_system_vgpr_workitem_id 0
		.amdhsa_next_free_vgpr 15
		.amdhsa_next_free_sgpr 20
		.amdhsa_reserve_vcc 1
		.amdhsa_float_round_mode_32 0
		.amdhsa_float_round_mode_16_64 0
		.amdhsa_float_denorm_mode_32 3
		.amdhsa_float_denorm_mode_16_64 3
		.amdhsa_dx10_clamp 1
		.amdhsa_ieee_mode 1
		.amdhsa_fp16_overflow 0
		.amdhsa_workgroup_processor_mode 1
		.amdhsa_memory_ordered 1
		.amdhsa_forward_progress 0
		.amdhsa_shared_vgpr_count 0
		.amdhsa_exception_fp_ieee_invalid_op 0
		.amdhsa_exception_fp_denorm_src 0
		.amdhsa_exception_fp_ieee_div_zero 0
		.amdhsa_exception_fp_ieee_overflow 0
		.amdhsa_exception_fp_ieee_underflow 0
		.amdhsa_exception_fp_ieee_inexact 0
		.amdhsa_exception_int_div_zero 0
	.end_amdhsa_kernel
	.section	.text._ZL33flash_attn_stream_k_fixup_uniformILi64ELi1ELi1EEvPfPK15HIP_vector_typeIfLj2EEiiiiiiS1_IjLj3EES5_S5_,"axG",@progbits,_ZL33flash_attn_stream_k_fixup_uniformILi64ELi1ELi1EEvPfPK15HIP_vector_typeIfLj2EEiiiiiiS1_IjLj3EES5_S5_,comdat
.Lfunc_end2:
	.size	_ZL33flash_attn_stream_k_fixup_uniformILi64ELi1ELi1EEvPfPK15HIP_vector_typeIfLj2EEiiiiiiS1_IjLj3EES5_S5_, .Lfunc_end2-_ZL33flash_attn_stream_k_fixup_uniformILi64ELi1ELi1EEvPfPK15HIP_vector_typeIfLj2EEiiiiiiS1_IjLj3EES5_S5_
                                        ; -- End function
	.section	.AMDGPU.csdata,"",@progbits
; Kernel info:
; codeLenInByte = 908
; NumSgprs: 22
; NumVgprs: 15
; ScratchSize: 0
; MemoryBound: 0
; FloatMode: 240
; IeeeMode: 1
; LDSByteSize: 0 bytes/workgroup (compile time only)
; SGPRBlocks: 2
; VGPRBlocks: 1
; NumSGPRsForWavesPerEU: 22
; NumVGPRsForWavesPerEU: 15
; Occupancy: 16
; WaveLimiterHint : 0
; COMPUTE_PGM_RSRC2:SCRATCH_EN: 0
; COMPUTE_PGM_RSRC2:USER_SGPR: 13
; COMPUTE_PGM_RSRC2:TRAP_HANDLER: 0
; COMPUTE_PGM_RSRC2:TGID_X_EN: 1
; COMPUTE_PGM_RSRC2:TGID_Y_EN: 1
; COMPUTE_PGM_RSRC2:TGID_Z_EN: 1
; COMPUTE_PGM_RSRC2:TIDIG_COMP_CNT: 0
	.section	.text._ZL33flash_attn_stream_k_fixup_generalILi64ELi1ELi1EEvPfPK15HIP_vector_typeIfLj2EEiiiiS1_IjLj3EES5_S5_S5_,"axG",@progbits,_ZL33flash_attn_stream_k_fixup_generalILi64ELi1ELi1EEvPfPK15HIP_vector_typeIfLj2EEiiiiS1_IjLj3EES5_S5_S5_,comdat
	.globl	_ZL33flash_attn_stream_k_fixup_generalILi64ELi1ELi1EEvPfPK15HIP_vector_typeIfLj2EEiiiiS1_IjLj3EES5_S5_S5_ ; -- Begin function _ZL33flash_attn_stream_k_fixup_generalILi64ELi1ELi1EEvPfPK15HIP_vector_typeIfLj2EEiiiiS1_IjLj3EES5_S5_S5_
	.p2align	8
	.type	_ZL33flash_attn_stream_k_fixup_generalILi64ELi1ELi1EEvPfPK15HIP_vector_typeIfLj2EEiiiiS1_IjLj3EES5_S5_S5_,@function
_ZL33flash_attn_stream_k_fixup_generalILi64ELi1ELi1EEvPfPK15HIP_vector_typeIfLj2EEiiiiS1_IjLj3EES5_S5_S5_: ; @_ZL33flash_attn_stream_k_fixup_generalILi64ELi1ELi1EEvPfPK15HIP_vector_typeIfLj2EEiiiiS1_IjLj3EES5_S5_S5_
; %bb.0:
	s_clause 0x1
	s_load_b128 s[4:7], s[0:1], 0x10
	s_load_b32 s20, s[0:1], 0x50
	s_mov_b32 s2, 0
	s_waitcnt lgkmcnt(0)
	s_mul_hi_i32 s3, s7, s13
	s_mul_i32 s12, s7, s13
	s_cmp_lg_u64 s[2:3], 0
	s_cbranch_scc0 .LBB3_21
; %bb.1:
	v_cvt_f32_ubyte0_e32 v1, 0
	v_cvt_f32_u32_e32 v2, s20
	s_sub_u32 s10, 0, s20
	s_subb_u32 s11, 0, 0
	s_delay_alu instid0(VALU_DEP_1) | instskip(NEXT) | instid1(VALU_DEP_1)
	v_fmamk_f32 v1, v1, 0x4f800000, v2
	v_rcp_f32_e32 v1, v1
	s_waitcnt_depctr 0xfff
	v_mul_f32_e32 v1, 0x5f7ffffc, v1
	s_delay_alu instid0(VALU_DEP_1) | instskip(NEXT) | instid1(VALU_DEP_1)
	v_mul_f32_e32 v2, 0x2f800000, v1
	v_trunc_f32_e32 v2, v2
	s_delay_alu instid0(VALU_DEP_1) | instskip(SKIP_1) | instid1(VALU_DEP_2)
	v_fmamk_f32 v1, v2, 0xcf800000, v1
	v_cvt_u32_f32_e32 v2, v2
	v_cvt_u32_f32_e32 v1, v1
	s_delay_alu instid0(VALU_DEP_2) | instskip(NEXT) | instid1(VALU_DEP_2)
	v_readfirstlane_b32 s8, v2
	v_readfirstlane_b32 s9, v1
	s_delay_alu instid0(VALU_DEP_2) | instskip(NEXT) | instid1(VALU_DEP_1)
	s_mul_i32 s16, s10, s8
	s_mul_hi_u32 s18, s10, s9
	s_mul_i32 s17, s11, s9
	s_add_i32 s16, s18, s16
	s_mul_i32 s19, s10, s9
	s_add_i32 s16, s16, s17
	s_mul_hi_u32 s18, s9, s19
	s_mul_hi_u32 s21, s8, s19
	s_mul_i32 s17, s8, s19
	s_mul_hi_u32 s19, s9, s16
	s_mul_i32 s9, s9, s16
	s_mul_hi_u32 s22, s8, s16
	s_add_u32 s9, s18, s9
	s_addc_u32 s18, 0, s19
	s_add_u32 s9, s9, s17
	s_mul_i32 s16, s8, s16
	s_addc_u32 s9, s18, s21
	s_addc_u32 s17, s22, 0
	s_add_u32 s9, s9, s16
	s_addc_u32 s16, 0, s17
	v_add_co_u32 v1, s9, v1, s9
	s_delay_alu instid0(VALU_DEP_1) | instskip(SKIP_1) | instid1(VALU_DEP_1)
	s_cmp_lg_u32 s9, 0
	s_addc_u32 s8, s8, s16
	v_readfirstlane_b32 s9, v1
	s_mul_i32 s16, s10, s8
	s_delay_alu instid0(VALU_DEP_1)
	s_mul_hi_u32 s17, s10, s9
	s_mul_i32 s11, s11, s9
	s_add_i32 s16, s17, s16
	s_mul_i32 s10, s10, s9
	s_add_i32 s16, s16, s11
	s_mul_hi_u32 s17, s8, s10
	s_mul_i32 s18, s8, s10
	s_mul_hi_u32 s10, s9, s10
	s_mul_hi_u32 s19, s9, s16
	s_mul_i32 s9, s9, s16
	s_mul_hi_u32 s11, s8, s16
	s_add_u32 s9, s10, s9
	s_addc_u32 s10, 0, s19
	s_add_u32 s9, s9, s18
	s_mul_i32 s16, s8, s16
	s_addc_u32 s9, s10, s17
	s_addc_u32 s10, s11, 0
	s_add_u32 s9, s9, s16
	s_addc_u32 s10, 0, s10
	v_add_co_u32 v1, s9, v1, s9
	s_delay_alu instid0(VALU_DEP_1) | instskip(SKIP_2) | instid1(SALU_CYCLE_1)
	s_cmp_lg_u32 s9, 0
	s_addc_u32 s16, s8, s10
	s_ashr_i32 s8, s3, 31
	s_add_u32 s10, s12, s8
	s_addc_u32 s11, s3, s8
	v_readfirstlane_b32 s3, v1
	s_mov_b32 s9, s8
	s_delay_alu instid0(SALU_CYCLE_1) | instskip(NEXT) | instid1(SALU_CYCLE_1)
	s_xor_b64 s[10:11], s[10:11], s[8:9]
	s_mul_i32 s18, s10, s16
	s_delay_alu instid0(VALU_DEP_1)
	s_mul_hi_u32 s19, s10, s3
	s_mul_hi_u32 s17, s10, s16
	;; [unrolled: 1-line block ×3, first 2 shown]
	s_mul_i32 s3, s11, s3
	s_add_u32 s18, s19, s18
	s_addc_u32 s17, 0, s17
	s_mul_hi_u32 s21, s11, s16
	s_add_u32 s3, s18, s3
	s_mul_i32 s16, s11, s16
	s_addc_u32 s3, s17, s22
	s_addc_u32 s17, s21, 0
	s_add_u32 s3, s3, s16
	s_addc_u32 s16, 0, s17
	s_mul_i32 s18, s20, s3
	s_add_u32 s17, s3, 1
	v_sub_co_u32 v1, s10, s10, s18
	s_mul_hi_u32 s18, s20, s3
	s_addc_u32 s19, s16, 0
	s_mul_i32 s21, s20, s16
	s_delay_alu instid0(VALU_DEP_1)
	v_sub_co_u32 v2, s22, v1, s20
	s_add_u32 s23, s3, 2
	s_addc_u32 s24, s16, 0
	s_add_i32 s18, s18, s21
	s_cmp_lg_u32 s10, 0
	v_readfirstlane_b32 s10, v2
	s_subb_u32 s11, s11, s18
	s_cmp_lg_u32 s22, 0
	s_subb_u32 s18, s11, 0
	s_delay_alu instid0(VALU_DEP_1) | instskip(SKIP_4) | instid1(SALU_CYCLE_1)
	s_cmp_ge_u32 s10, s20
	s_cselect_b32 s10, -1, 0
	s_cmp_eq_u32 s18, 0
	v_readfirstlane_b32 s18, v1
	s_cselect_b32 s10, s10, -1
	s_cmp_lg_u32 s10, 0
	s_cselect_b32 s10, s23, s17
	s_cselect_b32 s17, s24, s19
	s_cmp_ge_u32 s18, s20
	s_cselect_b32 s18, -1, 0
	s_cmp_eq_u32 s11, 0
	s_cselect_b32 s11, s18, -1
	s_delay_alu instid0(SALU_CYCLE_1) | instskip(SKIP_2) | instid1(SALU_CYCLE_1)
	s_cmp_lg_u32 s11, 0
	s_cselect_b32 s11, s17, s16
	s_cselect_b32 s10, s10, s3
	s_xor_b64 s[10:11], s[10:11], s[8:9]
	s_delay_alu instid0(SALU_CYCLE_1)
	s_sub_u32 s16, s10, s8
	s_load_b128 s[8:11], s[0:1], 0x44
	s_and_not1_b32 vcc_lo, exec_lo, s2
	s_cbranch_vccnz .LBB3_3
.LBB3_2:
	v_cvt_f32_u32_e32 v1, s20
	s_sub_i32 s3, 0, s20
	s_delay_alu instid0(VALU_DEP_1) | instskip(SKIP_2) | instid1(VALU_DEP_1)
	v_rcp_iflag_f32_e32 v1, v1
	s_waitcnt_depctr 0xfff
	v_mul_f32_e32 v1, 0x4f7ffffe, v1
	v_cvt_u32_f32_e32 v1, v1
	s_delay_alu instid0(VALU_DEP_1) | instskip(NEXT) | instid1(VALU_DEP_1)
	v_readfirstlane_b32 s2, v1
	s_mul_i32 s3, s3, s2
	s_delay_alu instid0(SALU_CYCLE_1) | instskip(NEXT) | instid1(SALU_CYCLE_1)
	s_mul_hi_u32 s3, s2, s3
	s_add_i32 s2, s2, s3
	s_delay_alu instid0(SALU_CYCLE_1) | instskip(NEXT) | instid1(SALU_CYCLE_1)
	s_mul_hi_u32 s2, s12, s2
	s_mul_i32 s3, s2, s20
	s_waitcnt lgkmcnt(0)
	s_add_i32 s11, s2, 1
	s_sub_i32 s3, s12, s3
	s_delay_alu instid0(SALU_CYCLE_1)
	s_sub_i32 s12, s3, s20
	s_cmp_ge_u32 s3, s20
	s_cselect_b32 s2, s11, s2
	s_cselect_b32 s3, s12, s3
	s_add_i32 s11, s2, 1
	s_cmp_ge_u32 s3, s20
	s_cselect_b32 s16, s11, s2
.LBB3_3:
	s_waitcnt lgkmcnt(0)
	s_add_i32 s11, s13, 1
	s_mov_b32 s2, 0
	s_mul_hi_i32 s3, s7, s11
	s_mul_i32 s11, s7, s11
	s_cmp_lg_u64 s[2:3], 0
	s_cbranch_scc0 .LBB3_22
; %bb.4:
	v_cvt_f32_ubyte0_e32 v1, 0
	v_cvt_f32_u32_e32 v2, s20
	s_sub_u32 s18, 0, s20
	s_subb_u32 s19, 0, 0
	s_delay_alu instid0(VALU_DEP_1) | instskip(NEXT) | instid1(VALU_DEP_1)
	v_fmamk_f32 v1, v1, 0x4f800000, v2
	v_rcp_f32_e32 v1, v1
	s_waitcnt_depctr 0xfff
	v_mul_f32_e32 v1, 0x5f7ffffc, v1
	s_delay_alu instid0(VALU_DEP_1) | instskip(NEXT) | instid1(VALU_DEP_1)
	v_mul_f32_e32 v2, 0x2f800000, v1
	v_trunc_f32_e32 v2, v2
	s_delay_alu instid0(VALU_DEP_1) | instskip(SKIP_1) | instid1(VALU_DEP_2)
	v_fmamk_f32 v1, v2, 0xcf800000, v1
	v_cvt_u32_f32_e32 v2, v2
	v_cvt_u32_f32_e32 v1, v1
	s_delay_alu instid0(VALU_DEP_2) | instskip(NEXT) | instid1(VALU_DEP_2)
	v_readfirstlane_b32 s12, v2
	v_readfirstlane_b32 s17, v1
	s_delay_alu instid0(VALU_DEP_2) | instskip(NEXT) | instid1(VALU_DEP_1)
	s_mul_i32 s21, s18, s12
	s_mul_hi_u32 s23, s18, s17
	s_mul_i32 s22, s19, s17
	s_add_i32 s21, s23, s21
	s_mul_i32 s24, s18, s17
	s_add_i32 s21, s21, s22
	s_mul_hi_u32 s23, s17, s24
	s_mul_hi_u32 s25, s12, s24
	s_mul_i32 s22, s12, s24
	s_mul_hi_u32 s24, s17, s21
	s_mul_i32 s17, s17, s21
	s_mul_hi_u32 s26, s12, s21
	s_add_u32 s17, s23, s17
	s_addc_u32 s23, 0, s24
	s_add_u32 s17, s17, s22
	s_mul_i32 s21, s12, s21
	s_addc_u32 s17, s23, s25
	s_addc_u32 s22, s26, 0
	s_add_u32 s17, s17, s21
	s_addc_u32 s21, 0, s22
	v_add_co_u32 v1, s17, v1, s17
	s_delay_alu instid0(VALU_DEP_1) | instskip(SKIP_1) | instid1(VALU_DEP_1)
	s_cmp_lg_u32 s17, 0
	s_addc_u32 s12, s12, s21
	v_readfirstlane_b32 s17, v1
	s_mul_i32 s21, s18, s12
	s_delay_alu instid0(VALU_DEP_1)
	s_mul_hi_u32 s22, s18, s17
	s_mul_i32 s19, s19, s17
	s_add_i32 s21, s22, s21
	s_mul_i32 s18, s18, s17
	s_add_i32 s21, s21, s19
	s_mul_hi_u32 s22, s12, s18
	s_mul_i32 s23, s12, s18
	s_mul_hi_u32 s18, s17, s18
	s_mul_hi_u32 s24, s17, s21
	s_mul_i32 s17, s17, s21
	s_mul_hi_u32 s19, s12, s21
	s_add_u32 s17, s18, s17
	s_addc_u32 s18, 0, s24
	s_add_u32 s17, s17, s23
	s_mul_i32 s21, s12, s21
	s_addc_u32 s17, s18, s22
	s_addc_u32 s18, s19, 0
	s_add_u32 s17, s17, s21
	s_addc_u32 s18, 0, s18
	v_add_co_u32 v1, s17, v1, s17
	s_delay_alu instid0(VALU_DEP_1) | instskip(SKIP_2) | instid1(SALU_CYCLE_1)
	s_cmp_lg_u32 s17, 0
	s_addc_u32 s12, s12, s18
	s_ashr_i32 s18, s3, 31
	s_add_u32 s22, s11, s18
	s_addc_u32 s23, s3, s18
	v_readfirstlane_b32 s3, v1
	s_mov_b32 s19, s18
	s_delay_alu instid0(SALU_CYCLE_1) | instskip(NEXT) | instid1(SALU_CYCLE_1)
	s_xor_b64 s[22:23], s[22:23], s[18:19]
	s_mul_i32 s21, s22, s12
	s_delay_alu instid0(VALU_DEP_1)
	s_mul_hi_u32 s24, s22, s3
	s_mul_hi_u32 s17, s22, s12
	;; [unrolled: 1-line block ×3, first 2 shown]
	s_mul_i32 s3, s23, s3
	s_add_u32 s21, s24, s21
	s_addc_u32 s17, 0, s17
	s_mul_hi_u32 s25, s23, s12
	s_add_u32 s3, s21, s3
	s_mul_i32 s12, s23, s12
	s_addc_u32 s3, s17, s26
	s_addc_u32 s17, s25, 0
	s_add_u32 s3, s3, s12
	s_addc_u32 s12, 0, s17
	s_mul_i32 s21, s20, s3
	s_add_u32 s17, s3, 1
	v_sub_co_u32 v1, s21, s22, s21
	s_mul_hi_u32 s22, s20, s3
	s_addc_u32 s24, s12, 0
	s_mul_i32 s25, s20, s12
	s_delay_alu instid0(VALU_DEP_1)
	v_sub_co_u32 v2, s26, v1, s20
	s_add_u32 s27, s3, 2
	s_addc_u32 s28, s12, 0
	s_add_i32 s22, s22, s25
	s_cmp_lg_u32 s21, 0
	v_readfirstlane_b32 s21, v2
	s_subb_u32 s22, s23, s22
	s_cmp_lg_u32 s26, 0
	s_subb_u32 s23, s22, 0
	s_delay_alu instid0(VALU_DEP_1) | instskip(SKIP_4) | instid1(SALU_CYCLE_1)
	s_cmp_ge_u32 s21, s20
	s_cselect_b32 s21, -1, 0
	s_cmp_eq_u32 s23, 0
	v_readfirstlane_b32 s23, v1
	s_cselect_b32 s21, s21, -1
	s_cmp_lg_u32 s21, 0
	s_cselect_b32 s17, s27, s17
	s_cselect_b32 s21, s28, s24
	s_cmp_ge_u32 s23, s20
	s_cselect_b32 s23, -1, 0
	s_cmp_eq_u32 s22, 0
	s_cselect_b32 s22, s23, -1
	s_delay_alu instid0(SALU_CYCLE_1) | instskip(SKIP_2) | instid1(SALU_CYCLE_1)
	s_cmp_lg_u32 s22, 0
	s_cselect_b32 s23, s21, s12
	s_cselect_b32 s22, s17, s3
	s_xor_b64 s[22:23], s[22:23], s[18:19]
	s_delay_alu instid0(SALU_CYCLE_1)
	s_sub_u32 s18, s22, s18
	s_and_not1_b32 vcc_lo, exec_lo, s2
	s_cbranch_vccnz .LBB3_6
.LBB3_5:
	v_cvt_f32_u32_e32 v1, s20
	s_sub_i32 s3, 0, s20
	s_delay_alu instid0(VALU_DEP_1) | instskip(SKIP_2) | instid1(VALU_DEP_1)
	v_rcp_iflag_f32_e32 v1, v1
	s_waitcnt_depctr 0xfff
	v_mul_f32_e32 v1, 0x4f7ffffe, v1
	v_cvt_u32_f32_e32 v1, v1
	s_delay_alu instid0(VALU_DEP_1) | instskip(NEXT) | instid1(VALU_DEP_1)
	v_readfirstlane_b32 s2, v1
	s_mul_i32 s3, s3, s2
	s_delay_alu instid0(SALU_CYCLE_1) | instskip(NEXT) | instid1(SALU_CYCLE_1)
	s_mul_hi_u32 s3, s2, s3
	s_add_i32 s2, s2, s3
	s_delay_alu instid0(SALU_CYCLE_1) | instskip(NEXT) | instid1(SALU_CYCLE_1)
	s_mul_hi_u32 s2, s11, s2
	s_mul_i32 s3, s2, s20
	s_delay_alu instid0(SALU_CYCLE_1)
	s_sub_i32 s3, s11, s3
	s_add_i32 s11, s2, 1
	s_sub_i32 s12, s3, s20
	s_cmp_ge_u32 s3, s20
	s_cselect_b32 s2, s11, s2
	s_cselect_b32 s3, s12, s3
	s_add_i32 s11, s2, 1
	s_cmp_ge_u32 s3, s20
	s_cselect_b32 s18, s11, s2
.LBB3_6:
	s_delay_alu instid0(SALU_CYCLE_1) | instskip(SKIP_3) | instid1(SALU_CYCLE_1)
	s_cmp_eq_u32 s16, s18
	s_mul_hi_u32 s2, s16, s8
	s_cselect_b32 s3, -1, 0
	s_add_i32 s2, s2, s16
	s_lshr_b32 s11, s2, s9
	s_delay_alu instid0(SALU_CYCLE_1) | instskip(NEXT) | instid1(SALU_CYCLE_1)
	s_mul_i32 s2, s11, s10
	s_cmp_eq_u32 s2, s16
	s_mul_hi_u32 s2, s18, s8
	s_cselect_b32 s12, -1, 0
	s_add_i32 s2, s2, s18
	s_delay_alu instid0(SALU_CYCLE_1) | instskip(NEXT) | instid1(SALU_CYCLE_1)
	s_lshr_b32 s2, s2, s9
	s_cmp_eq_u32 s11, s2
	s_mul_i32 s2, s2, s10
	s_cselect_b32 s17, -1, 0
	s_cmp_lg_u32 s2, s18
	s_cselect_b32 s2, -1, 0
	s_or_b32 s3, s3, s12
	s_and_b32 s2, s17, s2
	s_delay_alu instid0(SALU_CYCLE_1) | instskip(NEXT) | instid1(SALU_CYCLE_1)
	s_or_b32 s2, s3, s2
	s_and_b32 vcc_lo, exec_lo, s2
	s_cbranch_vccnz .LBB3_24
; %bb.7:
	s_load_b256 s[24:31], s[0:1], 0x20
	s_waitcnt lgkmcnt(0)
	s_mul_hi_u32 s2, s16, s24
	s_delay_alu instid0(SALU_CYCLE_1) | instskip(NEXT) | instid1(SALU_CYCLE_1)
	s_add_i32 s2, s2, s16
	s_lshr_b32 s17, s2, s25
	s_load_b32 s2, s[0:1], 0x40
	s_mul_i32 s3, s17, s26
	s_delay_alu instid0(SALU_CYCLE_1) | instskip(NEXT) | instid1(SALU_CYCLE_1)
	s_sub_i32 s3, s16, s3
	s_mul_hi_u32 s12, s3, s27
	s_delay_alu instid0(SALU_CYCLE_1) | instskip(NEXT) | instid1(SALU_CYCLE_1)
	s_add_i32 s12, s3, s12
	s_lshr_b32 s18, s12, s28
	s_delay_alu instid0(SALU_CYCLE_1) | instskip(NEXT) | instid1(SALU_CYCLE_1)
	s_mul_i32 s12, s18, s29
	s_sub_i32 s3, s3, s12
	s_delay_alu instid0(SALU_CYCLE_1) | instskip(NEXT) | instid1(SALU_CYCLE_1)
	s_mul_hi_u32 s12, s3, s30
	s_add_i32 s12, s3, s12
	s_delay_alu instid0(SALU_CYCLE_1) | instskip(SKIP_3) | instid1(SALU_CYCLE_1)
	s_lshr_b32 s21, s12, s31
	s_mov_b32 s12, 0
	s_waitcnt lgkmcnt(0)
	s_mul_i32 s2, s21, s2
	s_sub_i32 s2, s3, s2
	s_delay_alu instid0(SALU_CYCLE_1) | instskip(NEXT) | instid1(SALU_CYCLE_1)
	s_mul_hi_u32 s3, s2, s8
	s_add_i32 s2, s2, s3
	s_delay_alu instid0(SALU_CYCLE_1) | instskip(NEXT) | instid1(SALU_CYCLE_1)
	s_lshr_b32 s19, s2, s9
	s_add_i32 s19, s19, s14
	s_delay_alu instid0(SALU_CYCLE_1) | instskip(SKIP_2) | instid1(SALU_CYCLE_1)
	s_cmp_lt_i32 s19, s4
	s_cselect_b32 s2, -1, 0
	s_add_i32 s21, s21, s15
	s_cmp_lt_i32 s21, s6
	s_cselect_b32 s3, -1, 0
	s_delay_alu instid0(SALU_CYCLE_1) | instskip(NEXT) | instid1(SALU_CYCLE_1)
	s_and_b32 s2, s2, s3
	s_and_not1_b32 vcc_lo, exec_lo, s2
	s_cbranch_vccnz .LBB3_24
; %bb.8:
	s_load_b128 s[0:3], s[0:1], 0x0
	s_lshl_b32 s22, s20, 2
	s_mov_b32 s23, s12
	s_add_i32 s14, s14, s15
	s_lshl_b64 s[22:23], s[22:23], 2
	s_mul_i32 s17, s17, s4
	s_mul_i32 s18, s18, s6
	v_cvt_f32_ubyte0_e32 v4, 0
	v_cvt_f32_u32_e32 v5, s20
	s_waitcnt lgkmcnt(0)
	s_add_u32 s6, s2, s22
	s_addc_u32 s15, s3, s23
	s_add_i32 s4, s19, s17
	s_add_i32 s17, s21, s18
	s_mul_i32 s4, s4, s5
	s_delay_alu instid0(SALU_CYCLE_1) | instskip(NEXT) | instid1(SALU_CYCLE_1)
	s_add_i32 s17, s17, s4
	v_lshl_or_b32 v1, s17, 6, v0
	s_delay_alu instid0(VALU_DEP_1) | instskip(NEXT) | instid1(VALU_DEP_1)
	v_ashrrev_i32_e32 v2, 31, v1
	v_lshlrev_b64 v[1:2], 2, v[1:2]
	s_delay_alu instid0(VALU_DEP_1) | instskip(NEXT) | instid1(VALU_DEP_2)
	v_add_co_u32 v1, vcc_lo, s0, v1
	v_add_co_ci_u32_e32 v2, vcc_lo, s1, v2, vcc_lo
	s_add_i32 s0, s14, s13
	s_delay_alu instid0(SALU_CYCLE_1) | instskip(SKIP_2) | instid1(SALU_CYCLE_1)
	s_ashr_i32 s1, s0, 31
	global_load_b32 v3, v[1:2], off
	s_lshl_b64 s[0:1], s[0:1], 3
	s_add_u32 s0, s2, s0
	s_addc_u32 s1, s3, s1
	s_add_i32 s18, s13, -1
	s_load_b64 s[0:1], s[0:1], 0x0
	v_fmac_f32_e32 v5, 0x4f800000, v4
	s_sub_i32 s17, 0, s20
	s_waitcnt lgkmcnt(0)
	v_mov_b32_e32 v8, s0
	s_delay_alu instid0(VALU_DEP_2) | instskip(SKIP_2) | instid1(VALU_DEP_2)
	v_rcp_f32_e32 v4, v5
	v_cvt_f32_u32_e32 v5, s20
	v_mov_b32_e32 v7, s1
	v_rcp_iflag_f32_e32 v5, v5
	s_waitcnt_depctr 0xfff
	v_mul_f32_e32 v4, 0x5f7ffffc, v4
	s_delay_alu instid0(VALU_DEP_1) | instskip(SKIP_1) | instid1(VALU_DEP_2)
	v_mul_f32_e32 v6, 0x2f800000, v4
	v_mul_f32_e32 v9, 0x4f7ffffe, v5
	v_trunc_f32_e32 v6, v6
	s_delay_alu instid0(VALU_DEP_1) | instskip(SKIP_1) | instid1(VALU_DEP_4)
	v_fmac_f32_e32 v4, 0xcf800000, v6
	v_cvt_u32_f32_e32 v5, v6
	v_cvt_u32_f32_e32 v6, v9
	s_delay_alu instid0(VALU_DEP_3)
	v_cvt_u32_f32_e32 v4, v4
.LBB3_9:                                ; =>This Inner Loop Header: Depth=1
	s_mul_hi_i32 s13, s18, s7
	s_mul_i32 s4, s18, s7
	s_cmp_lg_u64 s[12:13], 0
	s_mov_b32 s5, -1
                                        ; implicit-def: $sgpr0_sgpr1
	s_cbranch_scc0 .LBB3_11
; %bb.10:                               ;   in Loop: Header=BB3_9 Depth=1
	v_readfirstlane_b32 s0, v4
	v_readfirstlane_b32 s1, v5
	s_sub_u32 s5, 0, s20
	s_subb_u32 s19, 0, 0
	s_delay_alu instid0(VALU_DEP_2) | instskip(NEXT) | instid1(VALU_DEP_1)
	s_mul_hi_u32 s21, s5, s0
	s_mul_i32 s22, s5, s1
	s_mul_i32 s23, s19, s0
	s_add_i32 s21, s21, s22
	s_mul_i32 s22, s5, s0
	s_add_i32 s21, s21, s23
	s_mul_hi_u32 s23, s0, s22
	s_mul_i32 s24, s0, s21
	s_mul_hi_u32 s0, s0, s21
	s_add_u32 s23, s23, s24
	s_mul_i32 s25, s1, s22
	s_addc_u32 s0, 0, s0
	s_mul_hi_u32 s22, s1, s22
	s_mul_hi_u32 s24, s1, s21
	s_add_u32 s23, s23, s25
	s_addc_u32 s0, s0, s22
	s_mul_i32 s21, s1, s21
	s_addc_u32 s22, s24, 0
	s_add_u32 s0, s0, s21
	s_addc_u32 s21, 0, s22
	v_add_co_u32 v9, s0, v4, s0
	s_delay_alu instid0(VALU_DEP_1) | instskip(SKIP_1) | instid1(VALU_DEP_1)
	s_cmp_lg_u32 s0, 0
	s_addc_u32 s1, s1, s21
	v_readfirstlane_b32 s0, v9
	s_mul_i32 s21, s5, s1
	s_delay_alu instid0(VALU_DEP_1)
	s_mul_hi_u32 s22, s5, s0
	s_mul_i32 s19, s19, s0
	s_add_i32 s21, s22, s21
	s_mul_i32 s5, s5, s0
	s_add_i32 s21, s21, s19
	s_mul_hi_u32 s19, s1, s5
	s_mul_i32 s23, s1, s5
	s_mul_i32 s24, s0, s21
	s_mul_hi_u32 s5, s0, s5
	s_mul_hi_u32 s0, s0, s21
	s_add_u32 s5, s5, s24
	s_addc_u32 s0, 0, s0
	s_mul_hi_u32 s22, s1, s21
	s_add_u32 s5, s5, s23
	s_addc_u32 s0, s0, s19
	s_mul_i32 s5, s1, s21
	s_addc_u32 s19, s22, 0
	s_add_u32 s0, s0, s5
	s_addc_u32 s5, 0, s19
	v_add_co_u32 v9, s0, v9, s0
	s_delay_alu instid0(VALU_DEP_1) | instskip(SKIP_2) | instid1(SALU_CYCLE_1)
	s_cmp_lg_u32 s0, 0
	s_addc_u32 s5, s1, s5
	s_ashr_i32 s0, s13, 31
	s_add_u32 s22, s4, s0
	s_addc_u32 s23, s13, s0
	v_readfirstlane_b32 s13, v9
	s_mov_b32 s1, s0
	s_delay_alu instid0(SALU_CYCLE_1) | instskip(NEXT) | instid1(SALU_CYCLE_1)
	s_xor_b64 s[22:23], s[22:23], s[0:1]
	s_mul_i32 s19, s22, s5
	s_delay_alu instid0(VALU_DEP_1)
	s_mul_hi_u32 s21, s22, s13
	s_mul_hi_u32 s24, s22, s5
	s_add_u32 s19, s21, s19
	s_mul_i32 s25, s23, s13
	s_addc_u32 s21, 0, s24
	s_mul_hi_u32 s13, s23, s13
	s_mul_hi_u32 s24, s23, s5
	s_add_u32 s19, s19, s25
	s_addc_u32 s13, s21, s13
	s_mul_i32 s5, s23, s5
	s_addc_u32 s19, s24, 0
	s_add_u32 s5, s13, s5
	s_addc_u32 s13, 0, s19
	s_mul_i32 s21, s20, s5
	s_add_u32 s19, s5, 1
	v_sub_co_u32 v9, s21, s22, s21
	s_addc_u32 s22, s13, 0
	s_mul_i32 s25, s20, s13
	s_mul_hi_u32 s27, s20, s5
	s_delay_alu instid0(VALU_DEP_1)
	v_sub_co_u32 v10, s26, v9, s20
	s_add_u32 s24, s5, 2
	s_addc_u32 s28, s13, 0
	s_add_i32 s27, s27, s25
	s_cmp_lg_u32 s21, 0
	v_readfirstlane_b32 s21, v10
	s_subb_u32 s23, s23, s27
	s_cmp_lg_u32 s26, 0
	s_subb_u32 s25, s23, 0
	s_delay_alu instid0(VALU_DEP_1) | instskip(SKIP_4) | instid1(SALU_CYCLE_1)
	s_cmp_ge_u32 s21, s20
	s_cselect_b32 s21, -1, 0
	s_cmp_eq_u32 s25, 0
	v_readfirstlane_b32 s25, v9
	s_cselect_b32 s21, s21, -1
	s_cmp_lg_u32 s21, 0
	s_cselect_b32 s19, s24, s19
	s_cselect_b32 s21, s28, s22
	s_cmp_ge_u32 s25, s20
	s_cselect_b32 s22, -1, 0
	s_cmp_eq_u32 s23, 0
	s_cselect_b32 s22, s22, -1
	s_delay_alu instid0(SALU_CYCLE_1) | instskip(SKIP_4) | instid1(SALU_CYCLE_1)
	s_cmp_lg_u32 s22, 0
	s_cselect_b32 s23, s21, s13
	s_cselect_b32 s22, s19, s5
	s_mov_b32 s5, 0
	s_xor_b64 s[22:23], s[22:23], s[0:1]
	s_sub_u32 s0, s22, s0
.LBB3_11:                               ;   in Loop: Header=BB3_9 Depth=1
	s_and_not1_b32 vcc_lo, exec_lo, s5
	s_cbranch_vccnz .LBB3_13
; %bb.12:                               ;   in Loop: Header=BB3_9 Depth=1
	v_readfirstlane_b32 s0, v6
	s_delay_alu instid0(VALU_DEP_1) | instskip(NEXT) | instid1(SALU_CYCLE_1)
	s_mul_i32 s1, s17, s0
	s_mul_hi_u32 s1, s0, s1
	s_delay_alu instid0(SALU_CYCLE_1) | instskip(NEXT) | instid1(SALU_CYCLE_1)
	s_add_i32 s0, s0, s1
	s_mul_hi_u32 s0, s4, s0
	s_delay_alu instid0(SALU_CYCLE_1) | instskip(NEXT) | instid1(SALU_CYCLE_1)
	s_mul_i32 s1, s0, s20
	s_sub_i32 s1, s4, s1
	s_add_i32 s4, s0, 1
	s_sub_i32 s5, s1, s20
	s_cmp_ge_u32 s1, s20
	s_cselect_b32 s0, s4, s0
	s_cselect_b32 s1, s5, s1
	s_add_i32 s4, s0, 1
	s_cmp_ge_u32 s1, s20
	s_cselect_b32 s0, s4, s0
.LBB3_13:                               ;   in Loop: Header=BB3_9 Depth=1
	s_delay_alu instid0(SALU_CYCLE_1)
	s_cmp_lg_u32 s16, s0
	s_cbranch_scc0 .LBB3_17
; %bb.14:                               ;   in Loop: Header=BB3_9 Depth=1
	s_add_i32 s21, s18, s14
	s_mov_b32 s5, s12
	s_add_i32 s4, s21, s20
	s_mul_hi_u32 s1, s0, s8
	s_lshl_b64 s[4:5], s[4:5], 3
	s_mov_b32 s19, s16
	s_add_u32 s4, s2, s4
	s_addc_u32 s5, s3, s5
	s_add_i32 s1, s1, s0
	s_delay_alu instid0(SALU_CYCLE_1) | instskip(NEXT) | instid1(SALU_CYCLE_1)
	s_lshr_b32 s1, s1, s9
	s_mul_i32 s13, s1, s10
	s_delay_alu instid0(SALU_CYCLE_1) | instskip(SKIP_3) | instid1(SALU_CYCLE_1)
	s_cmp_eq_u32 s13, s0
	s_cselect_b32 s13, -1, 0
	s_cmp_lt_u32 s1, s11
	s_cselect_b32 s1, -1, 0
	s_or_b32 s1, s1, s13
	s_mov_b32 s13, -1
	s_and_b32 vcc_lo, exec_lo, s1
	s_mov_b32 s1, s18
	s_cbranch_vccnz .LBB3_16
; %bb.15:                               ;   in Loop: Header=BB3_9 Depth=1
	s_add_i32 s1, s18, -1
	s_mov_b32 s13, 0
	s_mov_b32 s19, s0
.LBB3_16:                               ;   in Loop: Header=BB3_9 Depth=1
	v_lshl_or_b32 v9, s21, 6, v0
	s_load_b64 s[4:5], s[4:5], 0x0
	s_delay_alu instid0(VALU_DEP_1) | instskip(NEXT) | instid1(VALU_DEP_1)
	v_ashrrev_i32_e32 v10, 31, v9
	v_lshlrev_b64 v[9:10], 2, v[9:10]
	s_delay_alu instid0(VALU_DEP_1) | instskip(NEXT) | instid1(VALU_DEP_2)
	v_add_co_u32 v9, vcc_lo, s6, v9
	v_add_co_ci_u32_e32 v10, vcc_lo, s15, v10, vcc_lo
	s_waitcnt lgkmcnt(0)
	v_max_f32_e64 v11, s4, s4
	global_load_b32 v10, v[9:10], off
	v_max_f32_e32 v9, v8, v8
	s_delay_alu instid0(VALU_DEP_1) | instskip(NEXT) | instid1(VALU_DEP_1)
	v_max_f32_e32 v9, v9, v11
	v_sub_f32_e32 v12, v8, v9
	s_delay_alu instid0(VALU_DEP_1) | instskip(NEXT) | instid1(VALU_DEP_1)
	v_dual_mul_f32 v14, 0x3fb8aa3b, v12 :: v_dual_sub_f32 v11, s4, v9
	v_rndne_f32_e32 v18, v14
	s_delay_alu instid0(VALU_DEP_2) | instskip(SKIP_2) | instid1(VALU_DEP_4)
	v_mul_f32_e32 v13, 0x3fb8aa3b, v11
	v_fma_f32 v17, 0x3fb8aa3b, v12, -v14
	v_cmp_ngt_f32_e32 vcc_lo, 0xc2ce8ed0, v11
	v_sub_f32_e32 v14, v14, v18
	s_delay_alu instid0(VALU_DEP_4) | instskip(SKIP_2) | instid1(VALU_DEP_3)
	v_fma_f32 v15, 0x3fb8aa3b, v11, -v13
	v_rndne_f32_e32 v16, v13
	v_fmac_f32_e32 v17, 0x32a5705f, v12
	v_fmac_f32_e32 v15, 0x32a5705f, v11
	s_delay_alu instid0(VALU_DEP_2) | instskip(NEXT) | instid1(VALU_DEP_1)
	v_dual_sub_f32 v13, v13, v16 :: v_dual_add_f32 v14, v14, v17
	v_add_f32_e32 v13, v13, v15
	s_delay_alu instid0(VALU_DEP_2) | instskip(SKIP_2) | instid1(VALU_DEP_3)
	v_exp_f32_e32 v14, v14
	v_cvt_i32_f32_e32 v15, v16
	v_cvt_i32_f32_e32 v16, v18
	v_exp_f32_e32 v13, v13
	s_waitcnt_depctr 0xfff
	v_ldexp_f32 v14, v14, v16
	v_ldexp_f32 v13, v13, v15
	s_delay_alu instid0(VALU_DEP_1) | instskip(SKIP_1) | instid1(VALU_DEP_4)
	v_cndmask_b32_e32 v13, 0, v13, vcc_lo
	v_cmp_ngt_f32_e32 vcc_lo, 0xc2ce8ed0, v12
	v_cndmask_b32_e32 v14, 0, v14, vcc_lo
	v_cmp_nlt_f32_e32 vcc_lo, 0x42b17218, v11
	s_delay_alu instid0(VALU_DEP_4) | instskip(SKIP_1) | instid1(VALU_DEP_4)
	v_cndmask_b32_e32 v13, 0x7f800000, v13, vcc_lo
	v_cmp_nlt_f32_e32 vcc_lo, 0x42b17218, v12
	v_cndmask_b32_e32 v14, 0x7f800000, v14, vcc_lo
	v_cmp_le_f32_e32 vcc_lo, 0xc1a00000, v11
	s_delay_alu instid0(VALU_DEP_4) | instskip(SKIP_1) | instid1(VALU_DEP_4)
	v_cndmask_b32_e32 v11, 0, v13, vcc_lo
	v_cmp_le_f32_e32 vcc_lo, 0xc1a00000, v12
	v_cndmask_b32_e32 v12, 0, v14, vcc_lo
	s_waitcnt vmcnt(0)
	s_delay_alu instid0(VALU_DEP_3) | instskip(NEXT) | instid1(VALU_DEP_1)
	v_mul_f32_e32 v10, v10, v11
	v_dual_mul_f32 v11, s5, v11 :: v_dual_fmac_f32 v10, v3, v12
	s_delay_alu instid0(VALU_DEP_1)
	v_fmac_f32_e32 v11, v7, v12
	s_cbranch_execz .LBB3_18
	s_branch .LBB3_19
.LBB3_17:                               ;   in Loop: Header=BB3_9 Depth=1
                                        ; implicit-def: $sgpr13
                                        ; implicit-def: $vgpr10
                                        ; implicit-def: $vgpr9
                                        ; implicit-def: $vgpr11
                                        ; implicit-def: $sgpr1
                                        ; implicit-def: $sgpr19
.LBB3_18:                               ;   in Loop: Header=BB3_9 Depth=1
	v_mov_b32_e32 v11, v7
	s_waitcnt vmcnt(0)
	v_dual_mov_b32 v9, v8 :: v_dual_mov_b32 v10, v3
	s_add_i32 s1, s18, -1
	s_mov_b32 s13, 0
	s_mov_b32 s19, s16
.LBB3_19:                               ;   in Loop: Header=BB3_9 Depth=1
	s_and_not1_b32 vcc_lo, exec_lo, s13
	s_cbranch_vccz .LBB3_23
; %bb.20:                               ;   in Loop: Header=BB3_9 Depth=1
	v_dual_mov_b32 v7, v11 :: v_dual_mov_b32 v8, v9
	s_waitcnt vmcnt(0)
	v_mov_b32_e32 v3, v10
	s_mov_b32 s16, s19
	s_mov_b32 s18, s1
	s_branch .LBB3_9
.LBB3_21:
                                        ; implicit-def: $sgpr16_sgpr17
	s_load_b128 s[8:11], s[0:1], 0x44
	s_branch .LBB3_2
.LBB3_22:
                                        ; implicit-def: $sgpr18_sgpr19
	s_branch .LBB3_5
.LBB3_23:
	v_div_scale_f32 v0, null, v11, v11, v10
	s_waitcnt vmcnt(0)
	s_delay_alu instid0(VALU_DEP_1) | instskip(SKIP_2) | instid1(VALU_DEP_1)
	v_rcp_f32_e32 v3, v0
	s_waitcnt_depctr 0xfff
	v_fma_f32 v4, -v0, v3, 1.0
	v_fmac_f32_e32 v3, v4, v3
	v_div_scale_f32 v4, vcc_lo, v10, v11, v10
	s_delay_alu instid0(VALU_DEP_1) | instskip(NEXT) | instid1(VALU_DEP_1)
	v_mul_f32_e32 v5, v4, v3
	v_fma_f32 v6, -v0, v5, v4
	s_delay_alu instid0(VALU_DEP_1) | instskip(NEXT) | instid1(VALU_DEP_1)
	v_fmac_f32_e32 v5, v6, v3
	v_fma_f32 v0, -v0, v5, v4
	s_delay_alu instid0(VALU_DEP_1) | instskip(NEXT) | instid1(VALU_DEP_1)
	v_div_fmas_f32 v0, v0, v3, v5
	v_div_fixup_f32 v0, v0, v11, v10
	global_store_b32 v[1:2], v0, off
.LBB3_24:
	s_nop 0
	s_sendmsg sendmsg(MSG_DEALLOC_VGPRS)
	s_endpgm
	.section	.rodata,"a",@progbits
	.p2align	6, 0x0
	.amdhsa_kernel _ZL33flash_attn_stream_k_fixup_generalILi64ELi1ELi1EEvPfPK15HIP_vector_typeIfLj2EEiiiiS1_IjLj3EES5_S5_S5_
		.amdhsa_group_segment_fixed_size 0
		.amdhsa_private_segment_fixed_size 0
		.amdhsa_kernarg_size 336
		.amdhsa_user_sgpr_count 13
		.amdhsa_user_sgpr_dispatch_ptr 0
		.amdhsa_user_sgpr_queue_ptr 0
		.amdhsa_user_sgpr_kernarg_segment_ptr 1
		.amdhsa_user_sgpr_dispatch_id 0
		.amdhsa_user_sgpr_private_segment_size 0
		.amdhsa_wavefront_size32 1
		.amdhsa_uses_dynamic_stack 0
		.amdhsa_enable_private_segment 0
		.amdhsa_system_sgpr_workgroup_id_x 1
		.amdhsa_system_sgpr_workgroup_id_y 1
		.amdhsa_system_sgpr_workgroup_id_z 1
		.amdhsa_system_sgpr_workgroup_info 0
		.amdhsa_system_vgpr_workitem_id 0
		.amdhsa_next_free_vgpr 19
		.amdhsa_next_free_sgpr 32
		.amdhsa_reserve_vcc 1
		.amdhsa_float_round_mode_32 0
		.amdhsa_float_round_mode_16_64 0
		.amdhsa_float_denorm_mode_32 3
		.amdhsa_float_denorm_mode_16_64 3
		.amdhsa_dx10_clamp 1
		.amdhsa_ieee_mode 1
		.amdhsa_fp16_overflow 0
		.amdhsa_workgroup_processor_mode 1
		.amdhsa_memory_ordered 1
		.amdhsa_forward_progress 0
		.amdhsa_shared_vgpr_count 0
		.amdhsa_exception_fp_ieee_invalid_op 0
		.amdhsa_exception_fp_denorm_src 0
		.amdhsa_exception_fp_ieee_div_zero 0
		.amdhsa_exception_fp_ieee_overflow 0
		.amdhsa_exception_fp_ieee_underflow 0
		.amdhsa_exception_fp_ieee_inexact 0
		.amdhsa_exception_int_div_zero 0
	.end_amdhsa_kernel
	.section	.text._ZL33flash_attn_stream_k_fixup_generalILi64ELi1ELi1EEvPfPK15HIP_vector_typeIfLj2EEiiiiS1_IjLj3EES5_S5_S5_,"axG",@progbits,_ZL33flash_attn_stream_k_fixup_generalILi64ELi1ELi1EEvPfPK15HIP_vector_typeIfLj2EEiiiiS1_IjLj3EES5_S5_S5_,comdat
.Lfunc_end3:
	.size	_ZL33flash_attn_stream_k_fixup_generalILi64ELi1ELi1EEvPfPK15HIP_vector_typeIfLj2EEiiiiS1_IjLj3EES5_S5_S5_, .Lfunc_end3-_ZL33flash_attn_stream_k_fixup_generalILi64ELi1ELi1EEvPfPK15HIP_vector_typeIfLj2EEiiiiS1_IjLj3EES5_S5_S5_
                                        ; -- End function
	.section	.AMDGPU.csdata,"",@progbits
; Kernel info:
; codeLenInByte = 3168
; NumSgprs: 34
; NumVgprs: 19
; ScratchSize: 0
; MemoryBound: 0
; FloatMode: 240
; IeeeMode: 1
; LDSByteSize: 0 bytes/workgroup (compile time only)
; SGPRBlocks: 4
; VGPRBlocks: 2
; NumSGPRsForWavesPerEU: 34
; NumVGPRsForWavesPerEU: 19
; Occupancy: 16
; WaveLimiterHint : 0
; COMPUTE_PGM_RSRC2:SCRATCH_EN: 0
; COMPUTE_PGM_RSRC2:USER_SGPR: 13
; COMPUTE_PGM_RSRC2:TRAP_HANDLER: 0
; COMPUTE_PGM_RSRC2:TGID_X_EN: 1
; COMPUTE_PGM_RSRC2:TGID_Y_EN: 1
; COMPUTE_PGM_RSRC2:TGID_Z_EN: 1
; COMPUTE_PGM_RSRC2:TIDIG_COMP_CNT: 0
	.section	.text._ZL26flash_attn_combine_resultsILi64EEvPKfPK15HIP_vector_typeIfLj2EEPfi,"axG",@progbits,_ZL26flash_attn_combine_resultsILi64EEvPKfPK15HIP_vector_typeIfLj2EEPfi,comdat
	.globl	_ZL26flash_attn_combine_resultsILi64EEvPKfPK15HIP_vector_typeIfLj2EEPfi ; -- Begin function _ZL26flash_attn_combine_resultsILi64EEvPKfPK15HIP_vector_typeIfLj2EEPfi
	.p2align	8
	.type	_ZL26flash_attn_combine_resultsILi64EEvPKfPK15HIP_vector_typeIfLj2EEPfi,@function
_ZL26flash_attn_combine_resultsILi64EEvPKfPK15HIP_vector_typeIfLj2EEPfi: ; @_ZL26flash_attn_combine_resultsILi64EEvPKfPK15HIP_vector_typeIfLj2EEPfi
; %bb.0:
	s_clause 0x3
	s_load_b64 s[2:3], s[0:1], 0x20
	s_load_b32 s11, s[0:1], 0x18
	s_load_b128 s[4:7], s[0:1], 0x0
	s_load_b64 s[8:9], s[0:1], 0x10
	v_lshlrev_b32_e32 v5, 2, v0
	s_mov_b32 s12, exec_lo
	s_waitcnt lgkmcnt(0)
	s_mul_i32 s0, s2, s15
	s_lshl_b32 s1, s11, 1
	s_add_i32 s0, s0, s13
	s_delay_alu instid0(SALU_CYCLE_1) | instskip(NEXT) | instid1(SALU_CYCLE_1)
	s_mul_i32 s10, s0, s3
	s_add_i32 s10, s10, s14
	s_delay_alu instid0(SALU_CYCLE_1)
	s_mul_i32 s2, s10, s11
	v_cmpx_gt_i32_e64 s1, v0
	s_cbranch_execz .LBB4_3
; %bb.1:
	s_ashr_i32 s3, s2, 31
	v_dual_mov_b32 v4, v0 :: v_dual_add_nc_u32 v3, 0, v5
	s_lshl_b64 s[14:15], s[2:3], 3
	s_delay_alu instid0(SALU_CYCLE_1) | instskip(SKIP_2) | instid1(VALU_DEP_1)
	s_add_u32 s0, s6, s14
	s_addc_u32 s3, s7, s15
	v_add_co_u32 v1, s0, s0, v5
	v_add_co_ci_u32_e64 v2, null, s3, 0, s0
	s_mov_b32 s3, 0
.LBB4_2:                                ; =>This Inner Loop Header: Depth=1
	global_load_b32 v6, v[1:2], off
	v_add_nc_u32_e32 v4, 64, v4
	v_add_co_u32 v1, vcc_lo, 0x100, v1
	v_add_co_ci_u32_e32 v2, vcc_lo, 0, v2, vcc_lo
	s_delay_alu instid0(VALU_DEP_3) | instskip(NEXT) | instid1(VALU_DEP_1)
	v_cmp_le_i32_e64 s0, s1, v4
	s_or_b32 s3, s0, s3
	s_waitcnt vmcnt(0)
	ds_store_b32 v3, v6
	v_add_nc_u32_e32 v3, 0x100, v3
	s_and_not1_b32 exec_lo, exec_lo, s3
	s_cbranch_execnz .LBB4_2
.LBB4_3:
	s_or_b32 exec_lo, exec_lo, s12
	v_mov_b32_e32 v1, 0
	s_waitcnt lgkmcnt(0)
	s_barrier
	buffer_gl0_inv
	s_cmp_lt_i32 s11, 2
	ds_load_b32 v6, v1
	s_cbranch_scc1 .LBB4_11
; %bb.4:
	s_add_i32 s1, s11, -2
	s_add_i32 s0, s11, -1
	s_cmp_lt_u32 s1, 7
	s_cbranch_scc1 .LBB4_8
; %bb.5:
	s_mov_b32 s3, 0
	s_add_i32 s1, 0, 8
	s_and_b32 s6, s0, -8
	.p2align	6
.LBB4_6:                                ; =>This Inner Loop Header: Depth=1
	v_mov_b32_e32 v9, s1
	s_mov_b32 s7, s3
	s_add_i32 s3, s3, 8
	s_add_i32 s1, s1, 64
	s_cmp_eq_u32 s6, s3
	ds_load_2addr_b32 v[1:2], v9 offset1:2
	ds_load_2addr_b32 v[3:4], v9 offset0:4 offset1:6
	ds_load_2addr_b32 v[7:8], v9 offset0:8 offset1:10
	;; [unrolled: 1-line block ×3, first 2 shown]
	s_waitcnt lgkmcnt(3)
	v_max3_f32 v1, v6, v1, v2
	s_waitcnt lgkmcnt(2)
	s_delay_alu instid0(VALU_DEP_1) | instskip(SKIP_1) | instid1(VALU_DEP_1)
	v_max3_f32 v1, v1, v3, v4
	s_waitcnt lgkmcnt(1)
	v_max3_f32 v1, v1, v7, v8
	s_waitcnt lgkmcnt(0)
	s_delay_alu instid0(VALU_DEP_1)
	v_max3_f32 v6, v1, v9, v10
	s_cbranch_scc0 .LBB4_6
; %bb.7:
	s_add_i32 s1, s7, 9
	s_and_b32 s0, s0, 7
	s_delay_alu instid0(SALU_CYCLE_1)
	s_cmp_eq_u32 s0, 0
	s_cbranch_scc0 .LBB4_9
	s_branch .LBB4_11
.LBB4_8:
	s_mov_b32 s1, 1
	s_and_b32 s0, s0, 7
	s_delay_alu instid0(SALU_CYCLE_1)
	s_cmp_eq_u32 s0, 0
	s_cbranch_scc1 .LBB4_11
.LBB4_9:
	s_lshl_b32 s1, s1, 3
	s_delay_alu instid0(SALU_CYCLE_1)
	s_add_i32 s1, s1, 0
.LBB4_10:                               ; =>This Inner Loop Header: Depth=1
	s_waitcnt lgkmcnt(0)
	s_delay_alu instid0(VALU_DEP_1)
	v_dual_mov_b32 v1, s1 :: v_dual_max_f32 v2, v6, v6
	s_add_i32 s0, s0, -1
	s_add_i32 s1, s1, 8
	s_cmp_lg_u32 s0, 0
	ds_load_b32 v1, v1
	s_waitcnt lgkmcnt(0)
	v_max_f32_e32 v1, v1, v1
	s_delay_alu instid0(VALU_DEP_1)
	v_max_f32_e32 v6, v2, v1
	s_cbranch_scc1 .LBB4_10
.LBB4_11:
	s_cmp_lt_i32 s11, 1
	s_cbranch_scc1 .LBB4_16
; %bb.12:
	s_lshl_b32 s0, s2, 6
	v_mov_b32_e32 v7, 0
	s_ashr_i32 s1, s0, 31
	s_mov_b32 s13, 0
	s_lshl_b64 s[0:1], s[0:1], 2
	s_delay_alu instid0(SALU_CYCLE_1)
	s_add_u32 s6, s4, s0
	s_addc_u32 s7, s5, s1
	s_cmp_lt_u32 s11, 8
	s_cbranch_scc1 .LBB4_17
; %bb.13:
	v_or_b32_e32 v1, 0x1c0, v0
	v_dual_mov_b32 v4, 0 :: v_dual_mov_b32 v7, 0
	v_mov_b32_e32 v8, 0
	s_and_b32 s12, s11, 0x7ffffff8
	s_mov_b32 s14, 0
.LBB4_14:                               ; =>This Inner Loop Header: Depth=1
	s_delay_alu instid0(VALU_DEP_2) | instskip(SKIP_3) | instid1(VALU_DEP_2)
	v_dual_mov_b32 v2, v4 :: v_dual_add_nc_u32 v3, 0xfffffe40, v1
	v_mov_b32_e32 v21, s13
	s_add_i32 s14, s14, 8
	s_add_i32 s13, s13, 64
	v_lshlrev_b64 v[9:10], 2, v[3:4]
	v_add_nc_u32_e32 v3, 0xfffffe80, v1
	v_lshlrev_b64 v[11:12], 2, v[1:2]
	s_cmp_eq_u32 s12, s14
	s_delay_alu instid0(VALU_DEP_2) | instskip(NEXT) | instid1(VALU_DEP_4)
	v_lshlrev_b64 v[13:14], 2, v[3:4]
	v_add_co_u32 v9, vcc_lo, s6, v9
	v_add_co_ci_u32_e32 v10, vcc_lo, s7, v10, vcc_lo
	v_add_nc_u32_e32 v3, 0xfffffec0, v1
	s_delay_alu instid0(VALU_DEP_4)
	v_add_co_u32 v13, vcc_lo, s6, v13
	global_load_b32 v25, v[9:10], off
	v_add_co_ci_u32_e32 v14, vcc_lo, s7, v14, vcc_lo
	v_lshlrev_b64 v[15:16], 2, v[3:4]
	v_add_nc_u32_e32 v3, 0xffffff00, v1
	global_load_b32 v26, v[13:14], off
	v_lshlrev_b64 v[9:10], 2, v[3:4]
	v_add_nc_u32_e32 v3, 0xffffff40, v1
	v_add_co_u32 v13, vcc_lo, s6, v15
	v_add_co_ci_u32_e32 v14, vcc_lo, s7, v16, vcc_lo
	s_delay_alu instid0(VALU_DEP_4) | instskip(NEXT) | instid1(VALU_DEP_4)
	v_add_co_u32 v9, vcc_lo, s6, v9
	v_lshlrev_b64 v[15:16], 2, v[3:4]
	v_add_nc_u32_e32 v3, 0xffffff80, v1
	v_add_co_ci_u32_e32 v10, vcc_lo, s7, v10, vcc_lo
	s_clause 0x1
	global_load_b32 v27, v[13:14], off
	global_load_b32 v28, v[9:10], off
	v_lshlrev_b64 v[13:14], 2, v[3:4]
	v_subrev_nc_u32_e32 v3, 64, v1
	v_add_co_u32 v9, vcc_lo, s6, v15
	v_add_co_ci_u32_e32 v10, vcc_lo, s7, v16, vcc_lo
	s_delay_alu instid0(VALU_DEP_4) | instskip(NEXT) | instid1(VALU_DEP_4)
	v_add_co_u32 v13, vcc_lo, s6, v13
	v_lshlrev_b64 v[2:3], 2, v[3:4]
	v_add_co_ci_u32_e32 v14, vcc_lo, s7, v14, vcc_lo
	s_clause 0x1
	global_load_b32 v29, v[9:10], off
	global_load_b32 v30, v[13:14], off
	v_add_co_u32 v2, vcc_lo, s6, v2
	v_add_co_ci_u32_e32 v3, vcc_lo, s7, v3, vcc_lo
	v_add_co_u32 v9, vcc_lo, s6, v11
	v_add_co_ci_u32_e32 v10, vcc_lo, s7, v12, vcc_lo
	s_clause 0x1
	global_load_b32 v2, v[2:3], off
	global_load_b32 v3, v[9:10], off
	ds_load_2addr_b64 v[9:12], v21 offset1:1
	ds_load_2addr_b64 v[13:16], v21 offset0:2 offset1:3
	ds_load_2addr_b64 v[17:20], v21 offset0:4 offset1:5
	;; [unrolled: 1-line block ×3, first 2 shown]
	v_add_nc_u32_e32 v1, 0x200, v1
	s_waitcnt lgkmcnt(1)
	v_sub_f32_e32 v19, v19, v6
	v_sub_f32_e32 v11, v11, v6
	s_waitcnt lgkmcnt(0)
	v_sub_f32_e32 v23, v23, v6
	s_delay_alu instid0(VALU_DEP_3) | instskip(NEXT) | instid1(VALU_DEP_3)
	v_dual_sub_f32 v13, v13, v6 :: v_dual_mul_f32 v36, 0x3fb8aa3b, v19
	v_mul_f32_e32 v32, 0x3fb8aa3b, v11
	s_delay_alu instid0(VALU_DEP_2) | instskip(SKIP_1) | instid1(VALU_DEP_4)
	v_dual_mul_f32 v38, 0x3fb8aa3b, v23 :: v_dual_mul_f32 v33, 0x3fb8aa3b, v13
	v_cmp_ngt_f32_e32 vcc_lo, 0xc2ce8ed0, v13
	v_fma_f32 v49, 0x3fb8aa3b, v19, -v36
	s_delay_alu instid0(VALU_DEP_4) | instskip(SKIP_4) | instid1(VALU_DEP_4)
	v_fma_f32 v41, 0x3fb8aa3b, v11, -v32
	v_rndne_f32_e32 v42, v32
	v_fma_f32 v43, 0x3fb8aa3b, v13, -v33
	v_rndne_f32_e32 v44, v33
	v_rndne_f32_e32 v54, v38
	v_dual_fmac_f32 v41, 0x32a5705f, v11 :: v_dual_sub_f32 v32, v32, v42
	v_sub_f32_e32 v15, v15, v6
	v_fmac_f32_e32 v43, 0x32a5705f, v13
	v_sub_f32_e32 v33, v33, v44
	v_cvt_i32_f32_e32 v42, v42
	v_dual_add_f32 v32, v32, v41 :: v_dual_sub_f32 v9, v9, v6
	v_mul_f32_e32 v34, 0x3fb8aa3b, v15
	s_delay_alu instid0(VALU_DEP_4) | instskip(SKIP_1) | instid1(VALU_DEP_4)
	v_add_f32_e32 v33, v33, v43
	v_cvt_i32_f32_e32 v44, v44
	v_exp_f32_e32 v32, v32
	v_mul_f32_e32 v31, 0x3fb8aa3b, v9
	v_fma_f32 v45, 0x3fb8aa3b, v15, -v34
	v_rndne_f32_e32 v46, v34
	v_exp_f32_e32 v33, v33
	v_cmp_ngt_f32_e64 s5, 0xc2ce8ed0, v9
	v_fma_f32 v39, 0x3fb8aa3b, v9, -v31
	v_rndne_f32_e32 v40, v31
	v_dual_fmac_f32 v45, 0x32a5705f, v15 :: v_dual_sub_f32 v34, v34, v46
	v_sub_f32_e32 v17, v17, v6
	s_delay_alu instid0(VALU_DEP_4) | instskip(NEXT) | instid1(VALU_DEP_4)
	v_fmac_f32_e32 v39, 0x32a5705f, v9
	v_sub_f32_e32 v31, v31, v40
	v_cvt_i32_f32_e32 v40, v40
	v_add_f32_e32 v34, v34, v45
	v_ldexp_f32 v32, v32, v42
	v_ldexp_f32 v33, v33, v44
	v_add_f32_e32 v31, v31, v39
	v_cvt_i32_f32_e32 v46, v46
	v_exp_f32_e32 v34, v34
	v_cmp_ngt_f32_e64 s0, 0xc2ce8ed0, v15
	v_cmp_ngt_f32_e64 s1, 0xc2ce8ed0, v17
	v_exp_f32_e32 v31, v31
	v_rndne_f32_e32 v50, v36
	s_delay_alu instid0(VALU_DEP_1)
	v_dual_fmac_f32 v49, 0x32a5705f, v19 :: v_dual_sub_f32 v36, v36, v50
	s_waitcnt_depctr 0xfff
	v_ldexp_f32 v34, v34, v46
	v_cvt_i32_f32_e32 v50, v50
	v_ldexp_f32 v31, v31, v40
	v_add_f32_e32 v36, v36, v49
	v_cmp_ngt_f32_e64 s2, 0xc2ce8ed0, v19
	s_delay_alu instid0(VALU_DEP_3) | instskip(SKIP_1) | instid1(VALU_DEP_4)
	v_cndmask_b32_e64 v31, 0, v31, s5
	v_cmp_ngt_f32_e64 s5, 0xc2ce8ed0, v11
	v_exp_f32_e32 v36, v36
	s_delay_alu instid0(VALU_DEP_1) | instskip(SKIP_1) | instid1(VALU_DEP_1)
	v_cndmask_b32_e64 v32, 0, v32, s5
	v_cmp_nlt_f32_e64 s5, 0x42b17218, v9
	v_cndmask_b32_e64 v9, 0x7f800000, v31, s5
	v_cndmask_b32_e32 v31, 0, v33, vcc_lo
	v_cmp_nlt_f32_e32 vcc_lo, 0x42b17218, v11
	s_waitcnt_depctr 0xfff
	v_ldexp_f32 v36, v36, v50
	v_dual_fmac_f32 v8, v9, v10 :: v_dual_cndmask_b32 v11, 0x7f800000, v32
	v_cmp_nlt_f32_e32 vcc_lo, 0x42b17218, v13
	s_delay_alu instid0(VALU_DEP_2)
	v_fmac_f32_e32 v8, v11, v12
	v_cndmask_b32_e32 v10, 0x7f800000, v31, vcc_lo
	v_cmp_nlt_f32_e32 vcc_lo, 0x42b17218, v15
	v_fma_f32 v53, 0x3fb8aa3b, v23, -v38
	v_sub_f32_e32 v38, v38, v54
	v_cvt_i32_f32_e32 v54, v54
	v_fmac_f32_e32 v8, v10, v14
	v_cmp_ngt_f32_e64 s4, 0xc2ce8ed0, v23
	v_fmac_f32_e32 v53, 0x32a5705f, v23
	s_delay_alu instid0(VALU_DEP_1) | instskip(NEXT) | instid1(VALU_DEP_1)
	v_dual_sub_f32 v21, v21, v6 :: v_dual_add_f32 v38, v38, v53
	v_cmp_ngt_f32_e64 s3, 0xc2ce8ed0, v21
	s_delay_alu instid0(VALU_DEP_2)
	v_exp_f32_e32 v38, v38
	s_waitcnt_depctr 0xfff
	v_ldexp_f32 v38, v38, v54
	s_waitcnt vmcnt(7)
	v_fmac_f32_e32 v7, v25, v9
	v_cndmask_b32_e64 v9, 0, v34, s0
	s_delay_alu instid0(VALU_DEP_1)
	v_cndmask_b32_e32 v9, 0x7f800000, v9, vcc_lo
	v_mul_f32_e32 v35, 0x3fb8aa3b, v17
	s_waitcnt vmcnt(6)
	v_fmac_f32_e32 v7, v26, v11
	v_cmp_nlt_f32_e32 vcc_lo, 0x42b17218, v17
	v_fmac_f32_e32 v8, v9, v16
	v_fma_f32 v47, 0x3fb8aa3b, v17, -v35
	v_rndne_f32_e32 v48, v35
	s_delay_alu instid0(VALU_DEP_2) | instskip(NEXT) | instid1(VALU_DEP_2)
	v_fmac_f32_e32 v47, 0x32a5705f, v17
	v_sub_f32_e32 v35, v35, v48
	v_cvt_i32_f32_e32 v48, v48
	s_waitcnt vmcnt(5)
	v_fmac_f32_e32 v7, v27, v10
	v_cndmask_b32_e64 v10, 0, v36, s2
	v_add_f32_e32 v35, v35, v47
	s_waitcnt vmcnt(4)
	s_delay_alu instid0(VALU_DEP_3) | instskip(NEXT) | instid1(VALU_DEP_2)
	v_fmac_f32_e32 v7, v28, v9
	v_exp_f32_e32 v35, v35
	s_waitcnt_depctr 0xfff
	v_ldexp_f32 v35, v35, v48
	s_delay_alu instid0(VALU_DEP_1) | instskip(NEXT) | instid1(VALU_DEP_1)
	v_cndmask_b32_e64 v11, 0, v35, s1
	v_cndmask_b32_e32 v11, 0x7f800000, v11, vcc_lo
	v_mul_f32_e32 v37, 0x3fb8aa3b, v21
	v_cmp_nlt_f32_e32 vcc_lo, 0x42b17218, v19
	s_delay_alu instid0(VALU_DEP_3) | instskip(NEXT) | instid1(VALU_DEP_3)
	v_fmac_f32_e32 v8, v11, v18
	v_fma_f32 v51, 0x3fb8aa3b, v21, -v37
	v_rndne_f32_e32 v52, v37
	s_waitcnt vmcnt(3)
	v_dual_cndmask_b32 v10, 0x7f800000, v10 :: v_dual_fmac_f32 v7, v29, v11
	v_cmp_nlt_f32_e32 vcc_lo, 0x42b17218, v21
	v_fmac_f32_e32 v51, 0x32a5705f, v21
	v_sub_f32_e32 v37, v37, v52
	v_cvt_i32_f32_e32 v52, v52
	v_cndmask_b32_e64 v11, 0, v38, s4
	v_fmac_f32_e32 v8, v10, v20
	s_waitcnt vmcnt(2)
	v_fmac_f32_e32 v7, v30, v10
	v_add_f32_e32 v37, v37, v51
	s_delay_alu instid0(VALU_DEP_1) | instskip(SKIP_2) | instid1(VALU_DEP_1)
	v_exp_f32_e32 v37, v37
	s_waitcnt_depctr 0xfff
	v_ldexp_f32 v37, v37, v52
	v_cndmask_b32_e64 v9, 0, v37, s3
	s_delay_alu instid0(VALU_DEP_1) | instskip(SKIP_1) | instid1(VALU_DEP_2)
	v_cndmask_b32_e32 v9, 0x7f800000, v9, vcc_lo
	v_cmp_nlt_f32_e32 vcc_lo, 0x42b17218, v23
	v_fmac_f32_e32 v8, v9, v22
	s_waitcnt vmcnt(1)
	v_dual_cndmask_b32 v10, 0x7f800000, v11 :: v_dual_fmac_f32 v7, v2, v9
	s_waitcnt vmcnt(0)
	s_delay_alu instid0(VALU_DEP_1)
	v_dual_fmac_f32 v8, v10, v24 :: v_dual_fmac_f32 v7, v3, v10
	s_cbranch_scc0 .LBB4_14
; %bb.15:
	s_and_b32 s0, s11, 7
	s_delay_alu instid0(SALU_CYCLE_1)
	s_cmp_eq_u32 s0, 0
	s_cbranch_scc0 .LBB4_18
	s_branch .LBB4_20
.LBB4_16:
	v_mov_b32_e32 v0, 0x7fc00000
	s_branch .LBB4_21
.LBB4_17:
	v_mov_b32_e32 v8, 0
	s_mov_b32 s12, 0
	s_and_b32 s0, s11, 7
	s_delay_alu instid0(SALU_CYCLE_1)
	s_cmp_eq_u32 s0, 0
	s_cbranch_scc1 .LBB4_20
.LBB4_18:
	v_lshl_or_b32 v0, s12, 6, v0
	v_mov_b32_e32 v1, 0
	s_lshl_b32 s1, s12, 3
	s_delay_alu instid0(SALU_CYCLE_1)
	s_add_i32 s1, s1, 0
	s_set_inst_prefetch_distance 0x1
	.p2align	6
.LBB4_19:                               ; =>This Inner Loop Header: Depth=1
	s_delay_alu instid0(VALU_DEP_1) | instskip(SKIP_2) | instid1(VALU_DEP_2)
	v_lshlrev_b64 v[2:3], 2, v[0:1]
	s_add_i32 s0, s0, -1
	v_add_nc_u32_e32 v0, 64, v0
	v_add_co_u32 v2, vcc_lo, s6, v2
	s_delay_alu instid0(VALU_DEP_3)
	v_add_co_ci_u32_e32 v3, vcc_lo, s7, v3, vcc_lo
	global_load_b32 v4, v[2:3], off
	v_mov_b32_e32 v2, s1
	s_add_i32 s1, s1, 8
	s_cmp_lg_u32 s0, 0
	ds_load_b64 v[2:3], v2
	s_waitcnt lgkmcnt(0)
	v_sub_f32_e32 v2, v2, v6
	s_delay_alu instid0(VALU_DEP_1) | instskip(SKIP_1) | instid1(VALU_DEP_2)
	v_mul_f32_e32 v9, 0x3fb8aa3b, v2
	v_cmp_ngt_f32_e32 vcc_lo, 0xc2ce8ed0, v2
	v_fma_f32 v10, 0x3fb8aa3b, v2, -v9
	v_rndne_f32_e32 v11, v9
	s_delay_alu instid0(VALU_DEP_1) | instskip(NEXT) | instid1(VALU_DEP_1)
	v_dual_fmac_f32 v10, 0x32a5705f, v2 :: v_dual_sub_f32 v9, v9, v11
	v_add_f32_e32 v9, v9, v10
	v_cvt_i32_f32_e32 v10, v11
	s_delay_alu instid0(VALU_DEP_2) | instskip(SKIP_2) | instid1(VALU_DEP_1)
	v_exp_f32_e32 v9, v9
	s_waitcnt_depctr 0xfff
	v_ldexp_f32 v9, v9, v10
	v_cndmask_b32_e32 v9, 0, v9, vcc_lo
	v_cmp_nlt_f32_e32 vcc_lo, 0x42b17218, v2
	s_delay_alu instid0(VALU_DEP_2) | instskip(SKIP_1) | instid1(VALU_DEP_1)
	v_cndmask_b32_e32 v2, 0x7f800000, v9, vcc_lo
	s_waitcnt vmcnt(0)
	v_dual_fmac_f32 v8, v2, v3 :: v_dual_fmac_f32 v7, v4, v2
	s_cbranch_scc1 .LBB4_19
.LBB4_20:
	s_set_inst_prefetch_distance 0x2
	s_delay_alu instid0(VALU_DEP_1) | instskip(NEXT) | instid1(VALU_DEP_1)
	v_div_scale_f32 v0, null, v8, v8, v7
	v_rcp_f32_e32 v1, v0
	s_waitcnt_depctr 0xfff
	v_fma_f32 v2, -v0, v1, 1.0
	s_delay_alu instid0(VALU_DEP_1) | instskip(SKIP_1) | instid1(VALU_DEP_1)
	v_fmac_f32_e32 v1, v2, v1
	v_div_scale_f32 v2, vcc_lo, v7, v8, v7
	v_mul_f32_e32 v3, v2, v1
	s_delay_alu instid0(VALU_DEP_1) | instskip(NEXT) | instid1(VALU_DEP_1)
	v_fma_f32 v4, -v0, v3, v2
	v_fmac_f32_e32 v3, v4, v1
	s_delay_alu instid0(VALU_DEP_1) | instskip(NEXT) | instid1(VALU_DEP_1)
	v_fma_f32 v0, -v0, v3, v2
	v_div_fmas_f32 v0, v0, v1, v3
	s_delay_alu instid0(VALU_DEP_1)
	v_div_fixup_f32 v0, v0, v8, v7
.LBB4_21:
	s_lshl_b32 s0, s10, 6
	s_delay_alu instid0(SALU_CYCLE_1) | instskip(NEXT) | instid1(SALU_CYCLE_1)
	s_ashr_i32 s1, s0, 31
	s_lshl_b64 s[0:1], s[0:1], 2
	s_delay_alu instid0(SALU_CYCLE_1)
	s_add_u32 s0, s8, s0
	s_addc_u32 s1, s9, s1
	global_store_b32 v5, v0, s[0:1]
	s_nop 0
	s_sendmsg sendmsg(MSG_DEALLOC_VGPRS)
	s_endpgm
	.section	.rodata,"a",@progbits
	.p2align	6, 0x0
	.amdhsa_kernel _ZL26flash_attn_combine_resultsILi64EEvPKfPK15HIP_vector_typeIfLj2EEPfi
		.amdhsa_group_segment_fixed_size 0
		.amdhsa_private_segment_fixed_size 0
		.amdhsa_kernarg_size 288
		.amdhsa_user_sgpr_count 13
		.amdhsa_user_sgpr_dispatch_ptr 0
		.amdhsa_user_sgpr_queue_ptr 0
		.amdhsa_user_sgpr_kernarg_segment_ptr 1
		.amdhsa_user_sgpr_dispatch_id 0
		.amdhsa_user_sgpr_private_segment_size 0
		.amdhsa_wavefront_size32 1
		.amdhsa_uses_dynamic_stack 0
		.amdhsa_enable_private_segment 0
		.amdhsa_system_sgpr_workgroup_id_x 1
		.amdhsa_system_sgpr_workgroup_id_y 1
		.amdhsa_system_sgpr_workgroup_id_z 1
		.amdhsa_system_sgpr_workgroup_info 0
		.amdhsa_system_vgpr_workitem_id 0
		.amdhsa_next_free_vgpr 55
		.amdhsa_next_free_sgpr 16
		.amdhsa_reserve_vcc 1
		.amdhsa_float_round_mode_32 0
		.amdhsa_float_round_mode_16_64 0
		.amdhsa_float_denorm_mode_32 3
		.amdhsa_float_denorm_mode_16_64 3
		.amdhsa_dx10_clamp 1
		.amdhsa_ieee_mode 1
		.amdhsa_fp16_overflow 0
		.amdhsa_workgroup_processor_mode 1
		.amdhsa_memory_ordered 1
		.amdhsa_forward_progress 0
		.amdhsa_shared_vgpr_count 0
		.amdhsa_exception_fp_ieee_invalid_op 0
		.amdhsa_exception_fp_denorm_src 0
		.amdhsa_exception_fp_ieee_div_zero 0
		.amdhsa_exception_fp_ieee_overflow 0
		.amdhsa_exception_fp_ieee_underflow 0
		.amdhsa_exception_fp_ieee_inexact 0
		.amdhsa_exception_int_div_zero 0
	.end_amdhsa_kernel
	.section	.text._ZL26flash_attn_combine_resultsILi64EEvPKfPK15HIP_vector_typeIfLj2EEPfi,"axG",@progbits,_ZL26flash_attn_combine_resultsILi64EEvPKfPK15HIP_vector_typeIfLj2EEPfi,comdat
.Lfunc_end4:
	.size	_ZL26flash_attn_combine_resultsILi64EEvPKfPK15HIP_vector_typeIfLj2EEPfi, .Lfunc_end4-_ZL26flash_attn_combine_resultsILi64EEvPKfPK15HIP_vector_typeIfLj2EEPfi
                                        ; -- End function
	.section	.AMDGPU.csdata,"",@progbits
; Kernel info:
; codeLenInByte = 2344
; NumSgprs: 18
; NumVgprs: 55
; ScratchSize: 0
; MemoryBound: 0
; FloatMode: 240
; IeeeMode: 1
; LDSByteSize: 0 bytes/workgroup (compile time only)
; SGPRBlocks: 2
; VGPRBlocks: 6
; NumSGPRsForWavesPerEU: 18
; NumVGPRsForWavesPerEU: 55
; Occupancy: 16
; WaveLimiterHint : 0
; COMPUTE_PGM_RSRC2:SCRATCH_EN: 0
; COMPUTE_PGM_RSRC2:USER_SGPR: 13
; COMPUTE_PGM_RSRC2:TRAP_HANDLER: 0
; COMPUTE_PGM_RSRC2:TGID_X_EN: 1
; COMPUTE_PGM_RSRC2:TGID_Y_EN: 1
; COMPUTE_PGM_RSRC2:TGID_Z_EN: 1
; COMPUTE_PGM_RSRC2:TIDIG_COMP_CNT: 0
	.text
	.p2align	2                               ; -- Begin function __ockl_printf_append_string_n
	.type	__ockl_printf_append_string_n,@function
__ockl_printf_append_string_n:          ; @__ockl_printf_append_string_n
; %bb.0:
	s_waitcnt vmcnt(0) expcnt(0) lgkmcnt(0)
	v_dual_mov_b32 v7, v3 :: v_dual_mov_b32 v6, v2
	v_mov_b32_e32 v3, v0
	v_mbcnt_lo_u32_b32 v32, -1, 0
	s_mov_b32 s0, exec_lo
	s_delay_alu instid0(VALU_DEP_3)
	v_cmpx_ne_u64_e32 0, v[6:7]
	s_xor_b32 s10, exec_lo, s0
	s_cbranch_execz .LBB5_86
; %bb.1:
	s_load_b64 s[2:3], s[8:9], 0x50
	v_dual_mov_b32 v10, 2 :: v_dual_and_b32 v33, 2, v3
	v_dual_mov_b32 v9, 0 :: v_dual_and_b32 v0, -3, v3
	v_mov_b32_e32 v11, 1
	s_mov_b32 s12, 0
	s_mov_b32 s11, 0
	s_branch .LBB5_3
.LBB5_2:                                ;   in Loop: Header=BB5_3 Depth=1
	s_or_b32 exec_lo, exec_lo, s1
	v_sub_co_u32 v4, vcc_lo, v4, v28
	v_sub_co_ci_u32_e32 v5, vcc_lo, v5, v29, vcc_lo
	v_add_co_u32 v6, s0, v6, v28
	s_delay_alu instid0(VALU_DEP_1) | instskip(NEXT) | instid1(VALU_DEP_3)
	v_add_co_ci_u32_e64 v7, s0, v7, v29, s0
	v_cmp_eq_u64_e32 vcc_lo, 0, v[4:5]
	s_or_b32 s11, vcc_lo, s11
	s_delay_alu instid0(SALU_CYCLE_1)
	s_and_not1_b32 exec_lo, exec_lo, s11
	s_cbranch_execz .LBB5_85
.LBB5_3:                                ; =>This Loop Header: Depth=1
                                        ;     Child Loop BB5_6 Depth 2
                                        ;     Child Loop BB5_14 Depth 2
	;; [unrolled: 1-line block ×11, first 2 shown]
	v_cmp_gt_u64_e32 vcc_lo, 56, v[4:5]
	s_mov_b32 s1, exec_lo
                                        ; implicit-def: $vgpr2_vgpr3
                                        ; implicit-def: $sgpr4
	v_dual_cndmask_b32 v29, 0, v5 :: v_dual_cndmask_b32 v28, 56, v4
	v_cmpx_gt_u64_e32 8, v[4:5]
	s_xor_b32 s1, exec_lo, s1
	s_cbranch_execz .LBB5_9
; %bb.4:                                ;   in Loop: Header=BB5_3 Depth=1
	s_waitcnt vmcnt(0)
	v_mov_b32_e32 v2, 0
	v_mov_b32_e32 v3, 0
	s_mov_b64 s[4:5], 0
	s_mov_b32 s6, exec_lo
	v_cmpx_ne_u64_e32 0, v[4:5]
	s_cbranch_execz .LBB5_8
; %bb.5:                                ;   in Loop: Header=BB5_3 Depth=1
	v_lshlrev_b64 v[12:13], 3, v[28:29]
	v_mov_b32_e32 v2, 0
	v_dual_mov_b32 v3, 0 :: v_dual_mov_b32 v14, v7
	v_mov_b32_e32 v13, v6
	s_mov_b32 s7, 0
	.p2align	6
.LBB5_6:                                ;   Parent Loop BB5_3 Depth=1
                                        ; =>  This Inner Loop Header: Depth=2
	flat_load_u8 v8, v[13:14]
	v_mov_b32_e32 v16, s12
	v_add_co_u32 v13, vcc_lo, v13, 1
	v_add_co_ci_u32_e32 v14, vcc_lo, 0, v14, vcc_lo
	s_waitcnt vmcnt(0) lgkmcnt(0)
	v_and_b32_e32 v15, 0xffff, v8
	s_delay_alu instid0(VALU_DEP_1) | instskip(SKIP_3) | instid1(VALU_DEP_2)
	v_lshlrev_b64 v[15:16], s4, v[15:16]
	s_add_u32 s4, s4, 8
	s_addc_u32 s5, s5, 0
	v_cmp_eq_u32_e64 s0, s4, v12
	v_or_b32_e32 v3, v16, v3
	s_delay_alu instid0(VALU_DEP_3) | instskip(NEXT) | instid1(VALU_DEP_3)
	v_or_b32_e32 v2, v15, v2
	s_or_b32 s7, s0, s7
	s_delay_alu instid0(SALU_CYCLE_1)
	s_and_not1_b32 exec_lo, exec_lo, s7
	s_cbranch_execnz .LBB5_6
; %bb.7:                                ;   in Loop: Header=BB5_3 Depth=1
	s_or_b32 exec_lo, exec_lo, s7
.LBB5_8:                                ;   in Loop: Header=BB5_3 Depth=1
	s_delay_alu instid0(SALU_CYCLE_1)
	s_or_b32 exec_lo, exec_lo, s6
	s_mov_b32 s4, 0
.LBB5_9:                                ;   in Loop: Header=BB5_3 Depth=1
	s_or_saveexec_b32 s0, s1
	v_dual_mov_b32 v8, s4 :: v_dual_mov_b32 v25, v7
	v_mov_b32_e32 v24, v6
	s_xor_b32 exec_lo, exec_lo, s0
	s_cbranch_execz .LBB5_11
; %bb.10:                               ;   in Loop: Header=BB5_3 Depth=1
	s_waitcnt vmcnt(0)
	flat_load_b64 v[2:3], v[6:7]
	v_add_co_u32 v24, vcc_lo, v6, 8
	v_add_co_ci_u32_e32 v25, vcc_lo, 0, v7, vcc_lo
	s_waitcnt vmcnt(0) lgkmcnt(0)
	v_and_b32_e32 v8, 0xff, v3
	v_and_b32_e32 v12, 0xff00, v3
	;; [unrolled: 1-line block ×4, first 2 shown]
	v_or3_b32 v2, v2, 0, 0
	s_delay_alu instid0(VALU_DEP_4) | instskip(SKIP_1) | instid1(VALU_DEP_2)
	v_or_b32_e32 v12, v8, v12
	v_add_nc_u32_e32 v8, -8, v28
	v_or3_b32 v3, v12, v13, v3
.LBB5_11:                               ;   in Loop: Header=BB5_3 Depth=1
	s_or_b32 exec_lo, exec_lo, s0
                                        ; implicit-def: $vgpr12_vgpr13
                                        ; implicit-def: $sgpr1
	s_delay_alu instid0(SALU_CYCLE_1) | instskip(NEXT) | instid1(VALU_DEP_2)
	s_mov_b32 s0, exec_lo
	v_cmpx_gt_u32_e32 8, v8
	s_xor_b32 s6, exec_lo, s0
	s_cbranch_execz .LBB5_17
; %bb.12:                               ;   in Loop: Header=BB5_3 Depth=1
	v_mov_b32_e32 v12, 0
	v_mov_b32_e32 v13, 0
	s_mov_b32 s7, exec_lo
	v_cmpx_ne_u32_e32 0, v8
	s_cbranch_execz .LBB5_16
; %bb.13:                               ;   in Loop: Header=BB5_3 Depth=1
	v_mov_b32_e32 v12, 0
	v_mov_b32_e32 v13, 0
	s_mov_b64 s[0:1], 0
	s_mov_b32 s13, 0
	s_mov_b64 s[4:5], 0
	.p2align	6
.LBB5_14:                               ;   Parent Loop BB5_3 Depth=1
                                        ; =>  This Inner Loop Header: Depth=2
	s_delay_alu instid0(SALU_CYCLE_1)
	v_add_co_u32 v14, vcc_lo, v24, s4
	v_add_co_ci_u32_e32 v15, vcc_lo, s5, v25, vcc_lo
	s_add_u32 s4, s4, 1
	s_addc_u32 s5, s5, 0
	v_cmp_eq_u32_e32 vcc_lo, s4, v8
	flat_load_u8 v14, v[14:15]
	s_waitcnt vmcnt(0) lgkmcnt(0)
	v_dual_mov_b32 v15, s12 :: v_dual_and_b32 v14, 0xffff, v14
	s_delay_alu instid0(VALU_DEP_1) | instskip(SKIP_3) | instid1(VALU_DEP_1)
	v_lshlrev_b64 v[14:15], s0, v[14:15]
	s_add_u32 s0, s0, 8
	s_addc_u32 s1, s1, 0
	s_or_b32 s13, vcc_lo, s13
	v_or_b32_e32 v13, v15, v13
	s_delay_alu instid0(VALU_DEP_2)
	v_or_b32_e32 v12, v14, v12
	s_and_not1_b32 exec_lo, exec_lo, s13
	s_cbranch_execnz .LBB5_14
; %bb.15:                               ;   in Loop: Header=BB5_3 Depth=1
	s_or_b32 exec_lo, exec_lo, s13
.LBB5_16:                               ;   in Loop: Header=BB5_3 Depth=1
	s_delay_alu instid0(SALU_CYCLE_1)
	s_or_b32 exec_lo, exec_lo, s7
	s_mov_b32 s1, 0
                                        ; implicit-def: $vgpr8
.LBB5_17:                               ;   in Loop: Header=BB5_3 Depth=1
	s_or_saveexec_b32 s0, s6
	v_mov_b32_e32 v16, s1
	s_xor_b32 exec_lo, exec_lo, s0
	s_cbranch_execz .LBB5_19
; %bb.18:                               ;   in Loop: Header=BB5_3 Depth=1
	flat_load_b64 v[12:13], v[24:25]
	v_add_co_u32 v24, vcc_lo, v24, 8
	v_add_nc_u32_e32 v16, -8, v8
	v_add_co_ci_u32_e32 v25, vcc_lo, 0, v25, vcc_lo
	s_waitcnt vmcnt(0) lgkmcnt(0)
	v_and_b32_e32 v14, 0xff, v13
	v_and_b32_e32 v15, 0xff00, v13
	;; [unrolled: 1-line block ×4, first 2 shown]
	v_or3_b32 v12, v12, 0, 0
	s_delay_alu instid0(VALU_DEP_4) | instskip(NEXT) | instid1(VALU_DEP_1)
	v_or_b32_e32 v14, v14, v15
	v_or3_b32 v13, v14, v17, v13
.LBB5_19:                               ;   in Loop: Header=BB5_3 Depth=1
	s_or_b32 exec_lo, exec_lo, s0
                                        ; implicit-def: $sgpr1
	s_delay_alu instid0(SALU_CYCLE_1)
	s_mov_b32 s0, exec_lo
	v_cmpx_gt_u32_e32 8, v16
	s_xor_b32 s6, exec_lo, s0
	s_cbranch_execz .LBB5_25
; %bb.20:                               ;   in Loop: Header=BB5_3 Depth=1
	v_mov_b32_e32 v14, 0
	v_mov_b32_e32 v15, 0
	s_mov_b32 s7, exec_lo
	v_cmpx_ne_u32_e32 0, v16
	s_cbranch_execz .LBB5_24
; %bb.21:                               ;   in Loop: Header=BB5_3 Depth=1
	v_mov_b32_e32 v14, 0
	v_mov_b32_e32 v15, 0
	s_mov_b64 s[0:1], 0
	s_mov_b32 s13, 0
	s_mov_b64 s[4:5], 0
	.p2align	6
.LBB5_22:                               ;   Parent Loop BB5_3 Depth=1
                                        ; =>  This Inner Loop Header: Depth=2
	s_delay_alu instid0(SALU_CYCLE_1)
	v_add_co_u32 v17, vcc_lo, v24, s4
	v_add_co_ci_u32_e32 v18, vcc_lo, s5, v25, vcc_lo
	s_add_u32 s4, s4, 1
	s_addc_u32 s5, s5, 0
	v_cmp_eq_u32_e32 vcc_lo, s4, v16
	flat_load_u8 v8, v[17:18]
	s_waitcnt vmcnt(0) lgkmcnt(0)
	v_dual_mov_b32 v18, s12 :: v_dual_and_b32 v17, 0xffff, v8
	s_delay_alu instid0(VALU_DEP_1) | instskip(SKIP_3) | instid1(VALU_DEP_1)
	v_lshlrev_b64 v[17:18], s0, v[17:18]
	s_add_u32 s0, s0, 8
	s_addc_u32 s1, s1, 0
	s_or_b32 s13, vcc_lo, s13
	v_or_b32_e32 v15, v18, v15
	s_delay_alu instid0(VALU_DEP_2)
	v_or_b32_e32 v14, v17, v14
	s_and_not1_b32 exec_lo, exec_lo, s13
	s_cbranch_execnz .LBB5_22
; %bb.23:                               ;   in Loop: Header=BB5_3 Depth=1
	s_or_b32 exec_lo, exec_lo, s13
.LBB5_24:                               ;   in Loop: Header=BB5_3 Depth=1
	s_delay_alu instid0(SALU_CYCLE_1)
	s_or_b32 exec_lo, exec_lo, s7
	s_mov_b32 s1, 0
                                        ; implicit-def: $vgpr16
.LBB5_25:                               ;   in Loop: Header=BB5_3 Depth=1
	s_or_saveexec_b32 s0, s6
	v_mov_b32_e32 v8, s1
	s_xor_b32 exec_lo, exec_lo, s0
	s_cbranch_execz .LBB5_27
; %bb.26:                               ;   in Loop: Header=BB5_3 Depth=1
	flat_load_b64 v[14:15], v[24:25]
	v_add_co_u32 v24, vcc_lo, v24, 8
	v_add_co_ci_u32_e32 v25, vcc_lo, 0, v25, vcc_lo
	s_waitcnt vmcnt(0) lgkmcnt(0)
	v_and_b32_e32 v8, 0xff, v15
	v_and_b32_e32 v17, 0xff00, v15
	;; [unrolled: 1-line block ×4, first 2 shown]
	v_or3_b32 v14, v14, 0, 0
	s_delay_alu instid0(VALU_DEP_4) | instskip(SKIP_1) | instid1(VALU_DEP_2)
	v_or_b32_e32 v17, v8, v17
	v_add_nc_u32_e32 v8, -8, v16
	v_or3_b32 v15, v17, v18, v15
.LBB5_27:                               ;   in Loop: Header=BB5_3 Depth=1
	s_or_b32 exec_lo, exec_lo, s0
                                        ; implicit-def: $vgpr16_vgpr17
                                        ; implicit-def: $sgpr1
	s_delay_alu instid0(SALU_CYCLE_1) | instskip(NEXT) | instid1(VALU_DEP_1)
	s_mov_b32 s0, exec_lo
	v_cmpx_gt_u32_e32 8, v8
	s_xor_b32 s6, exec_lo, s0
	s_cbranch_execz .LBB5_33
; %bb.28:                               ;   in Loop: Header=BB5_3 Depth=1
	v_mov_b32_e32 v16, 0
	v_mov_b32_e32 v17, 0
	s_mov_b32 s7, exec_lo
	v_cmpx_ne_u32_e32 0, v8
	s_cbranch_execz .LBB5_32
; %bb.29:                               ;   in Loop: Header=BB5_3 Depth=1
	v_mov_b32_e32 v16, 0
	v_mov_b32_e32 v17, 0
	s_mov_b64 s[0:1], 0
	s_mov_b32 s13, 0
	s_mov_b64 s[4:5], 0
	.p2align	6
.LBB5_30:                               ;   Parent Loop BB5_3 Depth=1
                                        ; =>  This Inner Loop Header: Depth=2
	s_delay_alu instid0(SALU_CYCLE_1)
	v_add_co_u32 v18, vcc_lo, v24, s4
	v_add_co_ci_u32_e32 v19, vcc_lo, s5, v25, vcc_lo
	s_add_u32 s4, s4, 1
	s_addc_u32 s5, s5, 0
	v_cmp_eq_u32_e32 vcc_lo, s4, v8
	flat_load_u8 v18, v[18:19]
	s_waitcnt vmcnt(0) lgkmcnt(0)
	v_dual_mov_b32 v19, s12 :: v_dual_and_b32 v18, 0xffff, v18
	s_delay_alu instid0(VALU_DEP_1) | instskip(SKIP_3) | instid1(VALU_DEP_1)
	v_lshlrev_b64 v[18:19], s0, v[18:19]
	s_add_u32 s0, s0, 8
	s_addc_u32 s1, s1, 0
	s_or_b32 s13, vcc_lo, s13
	v_or_b32_e32 v17, v19, v17
	s_delay_alu instid0(VALU_DEP_2)
	v_or_b32_e32 v16, v18, v16
	s_and_not1_b32 exec_lo, exec_lo, s13
	s_cbranch_execnz .LBB5_30
; %bb.31:                               ;   in Loop: Header=BB5_3 Depth=1
	s_or_b32 exec_lo, exec_lo, s13
.LBB5_32:                               ;   in Loop: Header=BB5_3 Depth=1
	s_delay_alu instid0(SALU_CYCLE_1)
	s_or_b32 exec_lo, exec_lo, s7
	s_mov_b32 s1, 0
                                        ; implicit-def: $vgpr8
.LBB5_33:                               ;   in Loop: Header=BB5_3 Depth=1
	s_or_saveexec_b32 s0, s6
	v_mov_b32_e32 v20, s1
	s_xor_b32 exec_lo, exec_lo, s0
	s_cbranch_execz .LBB5_35
; %bb.34:                               ;   in Loop: Header=BB5_3 Depth=1
	flat_load_b64 v[16:17], v[24:25]
	v_add_co_u32 v24, vcc_lo, v24, 8
	v_add_nc_u32_e32 v20, -8, v8
	v_add_co_ci_u32_e32 v25, vcc_lo, 0, v25, vcc_lo
	s_waitcnt vmcnt(0) lgkmcnt(0)
	v_and_b32_e32 v18, 0xff, v17
	v_and_b32_e32 v19, 0xff00, v17
	;; [unrolled: 1-line block ×4, first 2 shown]
	v_or3_b32 v16, v16, 0, 0
	s_delay_alu instid0(VALU_DEP_4) | instskip(NEXT) | instid1(VALU_DEP_1)
	v_or_b32_e32 v18, v18, v19
	v_or3_b32 v17, v18, v21, v17
.LBB5_35:                               ;   in Loop: Header=BB5_3 Depth=1
	s_or_b32 exec_lo, exec_lo, s0
                                        ; implicit-def: $sgpr1
	s_delay_alu instid0(SALU_CYCLE_1)
	s_mov_b32 s0, exec_lo
	v_cmpx_gt_u32_e32 8, v20
	s_xor_b32 s6, exec_lo, s0
	s_cbranch_execz .LBB5_41
; %bb.36:                               ;   in Loop: Header=BB5_3 Depth=1
	v_mov_b32_e32 v18, 0
	v_mov_b32_e32 v19, 0
	s_mov_b32 s7, exec_lo
	v_cmpx_ne_u32_e32 0, v20
	s_cbranch_execz .LBB5_40
; %bb.37:                               ;   in Loop: Header=BB5_3 Depth=1
	v_mov_b32_e32 v18, 0
	v_mov_b32_e32 v19, 0
	s_mov_b64 s[0:1], 0
	s_mov_b32 s13, 0
	s_mov_b64 s[4:5], 0
	.p2align	6
.LBB5_38:                               ;   Parent Loop BB5_3 Depth=1
                                        ; =>  This Inner Loop Header: Depth=2
	s_delay_alu instid0(SALU_CYCLE_1)
	v_add_co_u32 v21, vcc_lo, v24, s4
	v_add_co_ci_u32_e32 v22, vcc_lo, s5, v25, vcc_lo
	s_add_u32 s4, s4, 1
	s_addc_u32 s5, s5, 0
	v_cmp_eq_u32_e32 vcc_lo, s4, v20
	flat_load_u8 v8, v[21:22]
	s_waitcnt vmcnt(0) lgkmcnt(0)
	v_dual_mov_b32 v22, s12 :: v_dual_and_b32 v21, 0xffff, v8
	s_delay_alu instid0(VALU_DEP_1) | instskip(SKIP_3) | instid1(VALU_DEP_1)
	v_lshlrev_b64 v[21:22], s0, v[21:22]
	s_add_u32 s0, s0, 8
	s_addc_u32 s1, s1, 0
	s_or_b32 s13, vcc_lo, s13
	v_or_b32_e32 v19, v22, v19
	s_delay_alu instid0(VALU_DEP_2)
	v_or_b32_e32 v18, v21, v18
	s_and_not1_b32 exec_lo, exec_lo, s13
	s_cbranch_execnz .LBB5_38
; %bb.39:                               ;   in Loop: Header=BB5_3 Depth=1
	s_or_b32 exec_lo, exec_lo, s13
.LBB5_40:                               ;   in Loop: Header=BB5_3 Depth=1
	s_delay_alu instid0(SALU_CYCLE_1)
	s_or_b32 exec_lo, exec_lo, s7
	s_mov_b32 s1, 0
                                        ; implicit-def: $vgpr20
.LBB5_41:                               ;   in Loop: Header=BB5_3 Depth=1
	s_or_saveexec_b32 s0, s6
	v_mov_b32_e32 v8, s1
	s_xor_b32 exec_lo, exec_lo, s0
	s_cbranch_execz .LBB5_43
; %bb.42:                               ;   in Loop: Header=BB5_3 Depth=1
	flat_load_b64 v[18:19], v[24:25]
	v_add_co_u32 v24, vcc_lo, v24, 8
	v_add_co_ci_u32_e32 v25, vcc_lo, 0, v25, vcc_lo
	s_waitcnt vmcnt(0) lgkmcnt(0)
	v_and_b32_e32 v8, 0xff, v19
	v_and_b32_e32 v21, 0xff00, v19
	;; [unrolled: 1-line block ×4, first 2 shown]
	v_or3_b32 v18, v18, 0, 0
	s_delay_alu instid0(VALU_DEP_4) | instskip(SKIP_1) | instid1(VALU_DEP_2)
	v_or_b32_e32 v21, v8, v21
	v_add_nc_u32_e32 v8, -8, v20
	v_or3_b32 v19, v21, v22, v19
.LBB5_43:                               ;   in Loop: Header=BB5_3 Depth=1
	s_or_b32 exec_lo, exec_lo, s0
                                        ; implicit-def: $vgpr20_vgpr21
                                        ; implicit-def: $sgpr1
	s_delay_alu instid0(SALU_CYCLE_1) | instskip(NEXT) | instid1(VALU_DEP_1)
	s_mov_b32 s0, exec_lo
	v_cmpx_gt_u32_e32 8, v8
	s_xor_b32 s6, exec_lo, s0
	s_cbranch_execz .LBB5_49
; %bb.44:                               ;   in Loop: Header=BB5_3 Depth=1
	v_mov_b32_e32 v20, 0
	v_mov_b32_e32 v21, 0
	s_mov_b32 s7, exec_lo
	v_cmpx_ne_u32_e32 0, v8
	s_cbranch_execz .LBB5_48
; %bb.45:                               ;   in Loop: Header=BB5_3 Depth=1
	v_mov_b32_e32 v20, 0
	v_mov_b32_e32 v21, 0
	s_mov_b64 s[0:1], 0
	s_mov_b32 s13, 0
	s_mov_b64 s[4:5], 0
	.p2align	6
.LBB5_46:                               ;   Parent Loop BB5_3 Depth=1
                                        ; =>  This Inner Loop Header: Depth=2
	s_delay_alu instid0(SALU_CYCLE_1)
	v_add_co_u32 v22, vcc_lo, v24, s4
	v_add_co_ci_u32_e32 v23, vcc_lo, s5, v25, vcc_lo
	s_add_u32 s4, s4, 1
	s_addc_u32 s5, s5, 0
	v_cmp_eq_u32_e32 vcc_lo, s4, v8
	flat_load_u8 v22, v[22:23]
	s_waitcnt vmcnt(0) lgkmcnt(0)
	v_dual_mov_b32 v23, s12 :: v_dual_and_b32 v22, 0xffff, v22
	s_delay_alu instid0(VALU_DEP_1) | instskip(SKIP_3) | instid1(VALU_DEP_1)
	v_lshlrev_b64 v[22:23], s0, v[22:23]
	s_add_u32 s0, s0, 8
	s_addc_u32 s1, s1, 0
	s_or_b32 s13, vcc_lo, s13
	v_or_b32_e32 v21, v23, v21
	s_delay_alu instid0(VALU_DEP_2)
	v_or_b32_e32 v20, v22, v20
	s_and_not1_b32 exec_lo, exec_lo, s13
	s_cbranch_execnz .LBB5_46
; %bb.47:                               ;   in Loop: Header=BB5_3 Depth=1
	s_or_b32 exec_lo, exec_lo, s13
.LBB5_48:                               ;   in Loop: Header=BB5_3 Depth=1
	s_delay_alu instid0(SALU_CYCLE_1)
	s_or_b32 exec_lo, exec_lo, s7
	s_mov_b32 s1, 0
                                        ; implicit-def: $vgpr8
.LBB5_49:                               ;   in Loop: Header=BB5_3 Depth=1
	s_or_saveexec_b32 s0, s6
	v_mov_b32_e32 v26, s1
	s_xor_b32 exec_lo, exec_lo, s0
	s_cbranch_execz .LBB5_51
; %bb.50:                               ;   in Loop: Header=BB5_3 Depth=1
	flat_load_b64 v[20:21], v[24:25]
	v_add_co_u32 v24, vcc_lo, v24, 8
	v_add_nc_u32_e32 v26, -8, v8
	v_add_co_ci_u32_e32 v25, vcc_lo, 0, v25, vcc_lo
	s_waitcnt vmcnt(0) lgkmcnt(0)
	v_and_b32_e32 v22, 0xff, v21
	v_and_b32_e32 v23, 0xff00, v21
	;; [unrolled: 1-line block ×4, first 2 shown]
	v_or3_b32 v20, v20, 0, 0
	s_delay_alu instid0(VALU_DEP_4) | instskip(NEXT) | instid1(VALU_DEP_1)
	v_or_b32_e32 v22, v22, v23
	v_or3_b32 v21, v22, v27, v21
.LBB5_51:                               ;   in Loop: Header=BB5_3 Depth=1
	s_or_b32 exec_lo, exec_lo, s0
	s_delay_alu instid0(SALU_CYCLE_1)
	s_mov_b32 s0, exec_lo
	v_cmpx_gt_u32_e32 8, v26
	s_xor_b32 s4, exec_lo, s0
	s_cbranch_execz .LBB5_57
; %bb.52:                               ;   in Loop: Header=BB5_3 Depth=1
	v_mov_b32_e32 v22, 0
	v_mov_b32_e32 v23, 0
	s_mov_b32 s5, exec_lo
	v_cmpx_ne_u32_e32 0, v26
	s_cbranch_execz .LBB5_56
; %bb.53:                               ;   in Loop: Header=BB5_3 Depth=1
	v_mov_b32_e32 v22, 0
	v_mov_b32_e32 v23, 0
	s_mov_b64 s[0:1], 0
	s_mov_b32 s6, 0
	.p2align	6
.LBB5_54:                               ;   Parent Loop BB5_3 Depth=1
                                        ; =>  This Inner Loop Header: Depth=2
	flat_load_u8 v8, v[24:25]
	v_dual_mov_b32 v31, s12 :: v_dual_add_nc_u32 v26, -1, v26
	v_add_co_u32 v24, vcc_lo, v24, 1
	v_add_co_ci_u32_e32 v25, vcc_lo, 0, v25, vcc_lo
	s_delay_alu instid0(VALU_DEP_3) | instskip(SKIP_2) | instid1(VALU_DEP_1)
	v_cmp_eq_u32_e32 vcc_lo, 0, v26
	s_waitcnt vmcnt(0) lgkmcnt(0)
	v_and_b32_e32 v30, 0xffff, v8
	v_lshlrev_b64 v[30:31], s0, v[30:31]
	s_add_u32 s0, s0, 8
	s_addc_u32 s1, s1, 0
	s_or_b32 s6, vcc_lo, s6
	s_delay_alu instid0(VALU_DEP_1) | instskip(NEXT) | instid1(VALU_DEP_2)
	v_or_b32_e32 v23, v31, v23
	v_or_b32_e32 v22, v30, v22
	s_and_not1_b32 exec_lo, exec_lo, s6
	s_cbranch_execnz .LBB5_54
; %bb.55:                               ;   in Loop: Header=BB5_3 Depth=1
	s_or_b32 exec_lo, exec_lo, s6
.LBB5_56:                               ;   in Loop: Header=BB5_3 Depth=1
	s_delay_alu instid0(SALU_CYCLE_1)
	s_or_b32 exec_lo, exec_lo, s5
                                        ; implicit-def: $vgpr24_vgpr25
.LBB5_57:                               ;   in Loop: Header=BB5_3 Depth=1
	s_and_not1_saveexec_b32 s0, s4
	s_cbranch_execz .LBB5_59
; %bb.58:                               ;   in Loop: Header=BB5_3 Depth=1
	flat_load_b64 v[22:23], v[24:25]
	s_waitcnt vmcnt(0) lgkmcnt(0)
	v_and_b32_e32 v8, 0xff, v23
	v_and_b32_e32 v24, 0xff00, v23
	;; [unrolled: 1-line block ×4, first 2 shown]
	v_or3_b32 v22, v22, 0, 0
	s_delay_alu instid0(VALU_DEP_4) | instskip(NEXT) | instid1(VALU_DEP_1)
	v_or_b32_e32 v8, v8, v24
	v_or3_b32 v23, v8, v25, v23
.LBB5_59:                               ;   in Loop: Header=BB5_3 Depth=1
	s_or_b32 exec_lo, exec_lo, s0
	v_readfirstlane_b32 s0, v32
	v_mov_b32_e32 v30, 0
	v_mov_b32_e32 v31, 0
	s_delay_alu instid0(VALU_DEP_3) | instskip(NEXT) | instid1(VALU_DEP_1)
	v_cmp_eq_u32_e64 s0, s0, v32
	s_and_saveexec_b32 s1, s0
	s_cbranch_execz .LBB5_65
; %bb.60:                               ;   in Loop: Header=BB5_3 Depth=1
	s_waitcnt lgkmcnt(0)
	global_load_b64 v[26:27], v9, s[2:3] offset:24 glc
	s_waitcnt vmcnt(0)
	buffer_gl1_inv
	buffer_gl0_inv
	s_clause 0x1
	global_load_b64 v[24:25], v9, s[2:3] offset:40
	global_load_b64 v[30:31], v9, s[2:3]
	s_mov_b32 s4, exec_lo
	s_waitcnt vmcnt(1)
	v_and_b32_e32 v8, v25, v27
	v_and_b32_e32 v24, v24, v26
	s_delay_alu instid0(VALU_DEP_2) | instskip(NEXT) | instid1(VALU_DEP_2)
	v_mul_lo_u32 v8, v8, 24
	v_mul_hi_u32 v25, v24, 24
	v_mul_lo_u32 v24, v24, 24
	s_delay_alu instid0(VALU_DEP_2) | instskip(SKIP_1) | instid1(VALU_DEP_2)
	v_add_nc_u32_e32 v8, v25, v8
	s_waitcnt vmcnt(0)
	v_add_co_u32 v24, vcc_lo, v30, v24
	s_delay_alu instid0(VALU_DEP_2)
	v_add_co_ci_u32_e32 v25, vcc_lo, v31, v8, vcc_lo
	global_load_b64 v[24:25], v[24:25], off glc
	s_waitcnt vmcnt(0)
	global_atomic_cmpswap_b64 v[30:31], v9, v[24:27], s[2:3] offset:24 glc
	s_waitcnt vmcnt(0)
	buffer_gl1_inv
	buffer_gl0_inv
	v_cmpx_ne_u64_e64 v[30:31], v[26:27]
	s_cbranch_execz .LBB5_64
; %bb.61:                               ;   in Loop: Header=BB5_3 Depth=1
	s_mov_b32 s5, 0
	.p2align	6
.LBB5_62:                               ;   Parent Loop BB5_3 Depth=1
                                        ; =>  This Inner Loop Header: Depth=2
	s_sleep 1
	s_clause 0x1
	global_load_b64 v[24:25], v9, s[2:3] offset:40
	global_load_b64 v[34:35], v9, s[2:3]
	v_dual_mov_b32 v26, v30 :: v_dual_mov_b32 v27, v31
	s_waitcnt vmcnt(1)
	s_delay_alu instid0(VALU_DEP_1) | instskip(SKIP_1) | instid1(VALU_DEP_1)
	v_and_b32_e32 v8, v24, v26
	s_waitcnt vmcnt(0)
	v_mad_u64_u32 v[30:31], null, v8, 24, v[34:35]
	v_and_b32_e32 v34, v25, v27
	s_delay_alu instid0(VALU_DEP_2) | instskip(NEXT) | instid1(VALU_DEP_1)
	v_mov_b32_e32 v8, v31
	v_mad_u64_u32 v[24:25], null, v34, 24, v[8:9]
	s_delay_alu instid0(VALU_DEP_1)
	v_mov_b32_e32 v31, v24
	global_load_b64 v[24:25], v[30:31], off glc
	s_waitcnt vmcnt(0)
	global_atomic_cmpswap_b64 v[30:31], v9, v[24:27], s[2:3] offset:24 glc
	s_waitcnt vmcnt(0)
	buffer_gl1_inv
	buffer_gl0_inv
	v_cmp_eq_u64_e32 vcc_lo, v[30:31], v[26:27]
	s_or_b32 s5, vcc_lo, s5
	s_delay_alu instid0(SALU_CYCLE_1)
	s_and_not1_b32 exec_lo, exec_lo, s5
	s_cbranch_execnz .LBB5_62
; %bb.63:                               ;   in Loop: Header=BB5_3 Depth=1
	s_or_b32 exec_lo, exec_lo, s5
.LBB5_64:                               ;   in Loop: Header=BB5_3 Depth=1
	s_delay_alu instid0(SALU_CYCLE_1)
	s_or_b32 exec_lo, exec_lo, s4
.LBB5_65:                               ;   in Loop: Header=BB5_3 Depth=1
	s_delay_alu instid0(SALU_CYCLE_1)
	s_or_b32 exec_lo, exec_lo, s1
	s_waitcnt lgkmcnt(0)
	s_clause 0x1
	global_load_b64 v[34:35], v9, s[2:3] offset:40
	global_load_b128 v[24:27], v9, s[2:3]
	v_readfirstlane_b32 s4, v30
	v_readfirstlane_b32 s5, v31
	s_mov_b32 s1, exec_lo
	s_waitcnt vmcnt(1)
	v_readfirstlane_b32 s6, v34
	v_readfirstlane_b32 s7, v35
	s_delay_alu instid0(VALU_DEP_1) | instskip(NEXT) | instid1(SALU_CYCLE_1)
	s_and_b64 s[6:7], s[4:5], s[6:7]
	s_mul_i32 s13, s7, 24
	s_mul_hi_u32 s14, s6, 24
	s_mul_i32 s15, s6, 24
	s_add_i32 s14, s14, s13
	s_waitcnt vmcnt(0)
	v_add_co_u32 v30, vcc_lo, v24, s15
	v_add_co_ci_u32_e32 v31, vcc_lo, s14, v25, vcc_lo
	s_and_saveexec_b32 s13, s0
	s_cbranch_execz .LBB5_67
; %bb.66:                               ;   in Loop: Header=BB5_3 Depth=1
	v_mov_b32_e32 v8, s1
	global_store_b128 v[30:31], v[8:11], off offset:8
.LBB5_67:                               ;   in Loop: Header=BB5_3 Depth=1
	s_or_b32 exec_lo, exec_lo, s13
	v_cmp_lt_u64_e32 vcc_lo, 56, v[4:5]
	v_or_b32_e32 v8, 0, v1
	v_or_b32_e32 v34, v0, v33
	v_lshl_add_u32 v35, v28, 2, 28
	s_lshl_b64 s[6:7], s[6:7], 12
	s_delay_alu instid0(SALU_CYCLE_1) | instskip(NEXT) | instid1(VALU_DEP_1)
	v_add_co_u32 v26, s1, v26, s6
	v_add_co_ci_u32_e64 v27, s1, s7, v27, s1
	v_dual_cndmask_b32 v1, v8, v1 :: v_dual_cndmask_b32 v0, v34, v0
	v_and_b32_e32 v8, 0x1e0, v35
	v_lshlrev_b32_e32 v34, 6, v32
	v_readfirstlane_b32 s6, v26
	v_readfirstlane_b32 s7, v27
	s_delay_alu instid0(VALU_DEP_4)
	v_and_or_b32 v0, 0xffffff1f, v0, v8
	s_clause 0x3
	global_store_b128 v34, v[0:3], s[6:7]
	global_store_b128 v34, v[12:15], s[6:7] offset:16
	global_store_b128 v34, v[16:19], s[6:7] offset:32
	;; [unrolled: 1-line block ×3, first 2 shown]
	s_and_saveexec_b32 s1, s0
	s_cbranch_execz .LBB5_75
; %bb.68:                               ;   in Loop: Header=BB5_3 Depth=1
	s_clause 0x1
	global_load_b64 v[16:17], v9, s[2:3] offset:32 glc
	global_load_b64 v[0:1], v9, s[2:3] offset:40
	v_dual_mov_b32 v14, s4 :: v_dual_mov_b32 v15, s5
	s_waitcnt vmcnt(0)
	v_readfirstlane_b32 s6, v0
	v_readfirstlane_b32 s7, v1
	s_delay_alu instid0(VALU_DEP_1) | instskip(NEXT) | instid1(SALU_CYCLE_1)
	s_and_b64 s[6:7], s[6:7], s[4:5]
	s_mul_i32 s7, s7, 24
	s_mul_hi_u32 s13, s6, 24
	s_mul_i32 s6, s6, 24
	s_add_i32 s13, s13, s7
	v_add_co_u32 v12, vcc_lo, v24, s6
	v_add_co_ci_u32_e32 v13, vcc_lo, s13, v25, vcc_lo
	s_mov_b32 s6, exec_lo
	global_store_b64 v[12:13], v[16:17], off
	s_waitcnt_vscnt null, 0x0
	global_atomic_cmpswap_b64 v[2:3], v9, v[14:17], s[2:3] offset:32 glc
	s_waitcnt vmcnt(0)
	v_cmpx_ne_u64_e64 v[2:3], v[16:17]
	s_cbranch_execz .LBB5_71
; %bb.69:                               ;   in Loop: Header=BB5_3 Depth=1
	s_mov_b32 s7, 0
.LBB5_70:                               ;   Parent Loop BB5_3 Depth=1
                                        ; =>  This Inner Loop Header: Depth=2
	v_dual_mov_b32 v0, s4 :: v_dual_mov_b32 v1, s5
	s_sleep 1
	global_store_b64 v[12:13], v[2:3], off
	s_waitcnt_vscnt null, 0x0
	global_atomic_cmpswap_b64 v[0:1], v9, v[0:3], s[2:3] offset:32 glc
	s_waitcnt vmcnt(0)
	v_cmp_eq_u64_e32 vcc_lo, v[0:1], v[2:3]
	v_dual_mov_b32 v3, v1 :: v_dual_mov_b32 v2, v0
	s_or_b32 s7, vcc_lo, s7
	s_delay_alu instid0(SALU_CYCLE_1)
	s_and_not1_b32 exec_lo, exec_lo, s7
	s_cbranch_execnz .LBB5_70
.LBB5_71:                               ;   in Loop: Header=BB5_3 Depth=1
	s_or_b32 exec_lo, exec_lo, s6
	global_load_b64 v[0:1], v9, s[2:3] offset:16
	s_mov_b32 s7, exec_lo
	s_mov_b32 s6, exec_lo
	v_mbcnt_lo_u32_b32 v2, s7, 0
	s_delay_alu instid0(VALU_DEP_1)
	v_cmpx_eq_u32_e32 0, v2
	s_cbranch_execz .LBB5_73
; %bb.72:                               ;   in Loop: Header=BB5_3 Depth=1
	s_bcnt1_i32_b32 s7, s7
	s_delay_alu instid0(SALU_CYCLE_1)
	v_mov_b32_e32 v8, s7
	s_waitcnt vmcnt(0)
	global_atomic_add_u64 v[0:1], v[8:9], off offset:8
.LBB5_73:                               ;   in Loop: Header=BB5_3 Depth=1
	s_or_b32 exec_lo, exec_lo, s6
	s_waitcnt vmcnt(0)
	global_load_b64 v[2:3], v[0:1], off offset:16
	s_waitcnt vmcnt(0)
	v_cmp_eq_u64_e32 vcc_lo, 0, v[2:3]
	s_cbranch_vccnz .LBB5_75
; %bb.74:                               ;   in Loop: Header=BB5_3 Depth=1
	global_load_b32 v8, v[0:1], off offset:24
	s_waitcnt vmcnt(0)
	v_and_b32_e32 v0, 0xffffff, v8
	s_waitcnt_vscnt null, 0x0
	global_store_b64 v[2:3], v[8:9], off
	v_readfirstlane_b32 m0, v0
	s_sendmsg sendmsg(MSG_INTERRUPT)
.LBB5_75:                               ;   in Loop: Header=BB5_3 Depth=1
	s_or_b32 exec_lo, exec_lo, s1
	v_add_co_u32 v0, vcc_lo, v26, v34
	v_add_co_ci_u32_e32 v1, vcc_lo, 0, v27, vcc_lo
	s_branch .LBB5_79
	.p2align	6
.LBB5_76:                               ;   in Loop: Header=BB5_79 Depth=2
	s_or_b32 exec_lo, exec_lo, s1
	s_delay_alu instid0(VALU_DEP_1) | instskip(NEXT) | instid1(VALU_DEP_1)
	v_readfirstlane_b32 s1, v2
	s_cmp_eq_u32 s1, 0
	s_cbranch_scc1 .LBB5_78
; %bb.77:                               ;   in Loop: Header=BB5_79 Depth=2
	s_sleep 1
	s_cbranch_execnz .LBB5_79
	s_branch .LBB5_81
	.p2align	6
.LBB5_78:                               ;   in Loop: Header=BB5_3 Depth=1
	s_branch .LBB5_81
.LBB5_79:                               ;   Parent Loop BB5_3 Depth=1
                                        ; =>  This Inner Loop Header: Depth=2
	v_mov_b32_e32 v2, 1
	s_and_saveexec_b32 s1, s0
	s_cbranch_execz .LBB5_76
; %bb.80:                               ;   in Loop: Header=BB5_79 Depth=2
	global_load_b32 v2, v[30:31], off offset:20 glc
	s_waitcnt vmcnt(0)
	buffer_gl1_inv
	buffer_gl0_inv
	v_and_b32_e32 v2, 1, v2
	s_branch .LBB5_76
.LBB5_81:                               ;   in Loop: Header=BB5_3 Depth=1
	global_load_b128 v[0:3], v[0:1], off
	s_and_saveexec_b32 s1, s0
	s_cbranch_execz .LBB5_2
; %bb.82:                               ;   in Loop: Header=BB5_3 Depth=1
	s_clause 0x2
	global_load_b64 v[2:3], v9, s[2:3] offset:40
	global_load_b64 v[16:17], v9, s[2:3] offset:24 glc
	global_load_b64 v[14:15], v9, s[2:3]
	s_waitcnt vmcnt(2)
	v_add_co_u32 v8, vcc_lo, v2, 1
	v_add_co_ci_u32_e32 v18, vcc_lo, 0, v3, vcc_lo
	s_delay_alu instid0(VALU_DEP_2) | instskip(NEXT) | instid1(VALU_DEP_2)
	v_add_co_u32 v12, vcc_lo, v8, s4
	v_add_co_ci_u32_e32 v13, vcc_lo, s5, v18, vcc_lo
	s_delay_alu instid0(VALU_DEP_1) | instskip(SKIP_1) | instid1(VALU_DEP_1)
	v_cmp_eq_u64_e32 vcc_lo, 0, v[12:13]
	v_dual_cndmask_b32 v13, v13, v18 :: v_dual_cndmask_b32 v12, v12, v8
	v_and_b32_e32 v3, v13, v3
	s_delay_alu instid0(VALU_DEP_2) | instskip(NEXT) | instid1(VALU_DEP_1)
	v_and_b32_e32 v2, v12, v2
	v_mul_hi_u32 v8, v2, 24
	v_mul_lo_u32 v2, v2, 24
	s_waitcnt vmcnt(0)
	s_delay_alu instid0(VALU_DEP_1) | instskip(SKIP_2) | instid1(VALU_DEP_1)
	v_add_co_u32 v2, vcc_lo, v14, v2
	v_mov_b32_e32 v14, v16
	v_mul_lo_u32 v3, v3, 24
	v_add_nc_u32_e32 v3, v8, v3
	s_delay_alu instid0(VALU_DEP_1)
	v_add_co_ci_u32_e32 v3, vcc_lo, v15, v3, vcc_lo
	v_mov_b32_e32 v15, v17
	global_store_b64 v[2:3], v[16:17], off
	s_waitcnt_vscnt null, 0x0
	global_atomic_cmpswap_b64 v[14:15], v9, v[12:15], s[2:3] offset:24 glc
	s_waitcnt vmcnt(0)
	v_cmp_ne_u64_e32 vcc_lo, v[14:15], v[16:17]
	s_and_b32 exec_lo, exec_lo, vcc_lo
	s_cbranch_execz .LBB5_2
; %bb.83:                               ;   in Loop: Header=BB5_3 Depth=1
	s_mov_b32 s0, 0
.LBB5_84:                               ;   Parent Loop BB5_3 Depth=1
                                        ; =>  This Inner Loop Header: Depth=2
	s_sleep 1
	global_store_b64 v[2:3], v[14:15], off
	s_waitcnt_vscnt null, 0x0
	global_atomic_cmpswap_b64 v[16:17], v9, v[12:15], s[2:3] offset:24 glc
	s_waitcnt vmcnt(0)
	v_cmp_eq_u64_e32 vcc_lo, v[16:17], v[14:15]
	v_dual_mov_b32 v14, v16 :: v_dual_mov_b32 v15, v17
	s_or_b32 s0, vcc_lo, s0
	s_delay_alu instid0(SALU_CYCLE_1)
	s_and_not1_b32 exec_lo, exec_lo, s0
	s_cbranch_execnz .LBB5_84
	s_branch .LBB5_2
.LBB5_85:
	s_or_b32 exec_lo, exec_lo, s11
                                        ; implicit-def: $vgpr3
                                        ; implicit-def: $vgpr32
.LBB5_86:
	s_and_not1_saveexec_b32 s1, s10
	s_cbranch_execz .LBB5_108
; %bb.87:
	s_load_b64 s[2:3], s[8:9], 0x50
	v_readfirstlane_b32 s0, v32
	v_mov_b32_e32 v8, 0
	v_mov_b32_e32 v9, 0
	s_delay_alu instid0(VALU_DEP_3) | instskip(NEXT) | instid1(VALU_DEP_1)
	v_cmp_eq_u32_e64 s0, s0, v32
	s_and_saveexec_b32 s4, s0
	s_cbranch_execz .LBB5_93
; %bb.88:
	s_waitcnt vmcnt(0)
	v_mov_b32_e32 v0, 0
	s_mov_b32 s5, exec_lo
	s_waitcnt lgkmcnt(0)
	global_load_b64 v[6:7], v0, s[2:3] offset:24 glc
	s_waitcnt vmcnt(0)
	buffer_gl1_inv
	buffer_gl0_inv
	s_clause 0x1
	global_load_b64 v[4:5], v0, s[2:3] offset:40
	global_load_b64 v[8:9], v0, s[2:3]
	s_waitcnt vmcnt(1)
	v_and_b32_e32 v2, v5, v7
	v_and_b32_e32 v4, v4, v6
	s_delay_alu instid0(VALU_DEP_2) | instskip(NEXT) | instid1(VALU_DEP_2)
	v_mul_lo_u32 v2, v2, 24
	v_mul_hi_u32 v5, v4, 24
	v_mul_lo_u32 v4, v4, 24
	s_delay_alu instid0(VALU_DEP_2) | instskip(SKIP_1) | instid1(VALU_DEP_2)
	v_add_nc_u32_e32 v2, v5, v2
	s_waitcnt vmcnt(0)
	v_add_co_u32 v4, vcc_lo, v8, v4
	s_delay_alu instid0(VALU_DEP_2)
	v_add_co_ci_u32_e32 v5, vcc_lo, v9, v2, vcc_lo
	global_load_b64 v[4:5], v[4:5], off glc
	s_waitcnt vmcnt(0)
	global_atomic_cmpswap_b64 v[8:9], v0, v[4:7], s[2:3] offset:24 glc
	s_waitcnt vmcnt(0)
	buffer_gl1_inv
	buffer_gl0_inv
	v_cmpx_ne_u64_e64 v[8:9], v[6:7]
	s_cbranch_execz .LBB5_92
; %bb.89:
	s_mov_b32 s6, 0
	.p2align	6
.LBB5_90:                               ; =>This Inner Loop Header: Depth=1
	s_sleep 1
	s_clause 0x1
	global_load_b64 v[4:5], v0, s[2:3] offset:40
	global_load_b64 v[10:11], v0, s[2:3]
	v_dual_mov_b32 v6, v8 :: v_dual_mov_b32 v7, v9
	s_waitcnt vmcnt(1)
	s_delay_alu instid0(VALU_DEP_1) | instskip(SKIP_1) | instid1(VALU_DEP_1)
	v_and_b32_e32 v2, v4, v6
	s_waitcnt vmcnt(0)
	v_mad_u64_u32 v[8:9], null, v2, 24, v[10:11]
	v_and_b32_e32 v10, v5, v7
	s_delay_alu instid0(VALU_DEP_2) | instskip(NEXT) | instid1(VALU_DEP_1)
	v_mov_b32_e32 v2, v9
	v_mad_u64_u32 v[4:5], null, v10, 24, v[2:3]
	s_delay_alu instid0(VALU_DEP_1)
	v_mov_b32_e32 v9, v4
	global_load_b64 v[4:5], v[8:9], off glc
	s_waitcnt vmcnt(0)
	global_atomic_cmpswap_b64 v[8:9], v0, v[4:7], s[2:3] offset:24 glc
	s_waitcnt vmcnt(0)
	buffer_gl1_inv
	buffer_gl0_inv
	v_cmp_eq_u64_e32 vcc_lo, v[8:9], v[6:7]
	s_or_b32 s6, vcc_lo, s6
	s_delay_alu instid0(SALU_CYCLE_1)
	s_and_not1_b32 exec_lo, exec_lo, s6
	s_cbranch_execnz .LBB5_90
; %bb.91:
	s_or_b32 exec_lo, exec_lo, s6
.LBB5_92:
	s_delay_alu instid0(SALU_CYCLE_1)
	s_or_b32 exec_lo, exec_lo, s5
.LBB5_93:
	s_delay_alu instid0(SALU_CYCLE_1)
	s_or_b32 exec_lo, exec_lo, s4
	s_waitcnt vmcnt(0)
	v_mov_b32_e32 v2, 0
	v_readfirstlane_b32 s4, v8
	v_readfirstlane_b32 s5, v9
	s_mov_b32 s8, exec_lo
	s_waitcnt lgkmcnt(0)
	s_clause 0x1
	global_load_b64 v[10:11], v2, s[2:3] offset:40
	global_load_b128 v[4:7], v2, s[2:3]
	s_waitcnt vmcnt(1)
	v_readfirstlane_b32 s6, v10
	v_readfirstlane_b32 s7, v11
	s_delay_alu instid0(VALU_DEP_1) | instskip(NEXT) | instid1(SALU_CYCLE_1)
	s_and_b64 s[6:7], s[4:5], s[6:7]
	s_mul_i32 s9, s7, 24
	s_mul_hi_u32 s10, s6, 24
	s_mul_i32 s11, s6, 24
	s_add_i32 s10, s10, s9
	s_waitcnt vmcnt(0)
	v_add_co_u32 v8, vcc_lo, v4, s11
	v_add_co_ci_u32_e32 v9, vcc_lo, s10, v5, vcc_lo
	s_and_saveexec_b32 s9, s0
	s_cbranch_execz .LBB5_95
; %bb.94:
	v_dual_mov_b32 v10, s8 :: v_dual_mov_b32 v11, v2
	v_dual_mov_b32 v12, 2 :: v_dual_mov_b32 v13, 1
	global_store_b128 v[8:9], v[10:13], off offset:8
.LBB5_95:
	s_or_b32 exec_lo, exec_lo, s9
	s_lshl_b64 s[6:7], s[6:7], 12
	v_lshlrev_b32_e32 v14, 6, v32
	v_add_co_u32 v6, vcc_lo, v6, s6
	v_add_co_ci_u32_e32 v7, vcc_lo, s7, v7, vcc_lo
	s_mov_b32 s8, 0
	v_and_or_b32 v0, 0xffffff1f, v3, 32
	v_mov_b32_e32 v3, v2
	v_readfirstlane_b32 s6, v6
	s_mov_b32 s11, s8
	v_add_co_u32 v6, vcc_lo, v6, v14
	s_mov_b32 s9, s8
	s_mov_b32 s10, s8
	v_readfirstlane_b32 s7, v7
	v_dual_mov_b32 v13, s11 :: v_dual_mov_b32 v12, s10
	v_add_co_ci_u32_e32 v7, vcc_lo, 0, v7, vcc_lo
	v_dual_mov_b32 v11, s9 :: v_dual_mov_b32 v10, s8
	s_clause 0x3
	global_store_b128 v14, v[0:3], s[6:7]
	global_store_b128 v14, v[10:13], s[6:7] offset:16
	global_store_b128 v14, v[10:13], s[6:7] offset:32
	;; [unrolled: 1-line block ×3, first 2 shown]
	s_and_saveexec_b32 s6, s0
	s_cbranch_execz .LBB5_102
; %bb.96:
	v_mov_b32_e32 v10, 0
	s_mov_b32 s7, exec_lo
	s_clause 0x1
	global_load_b64 v[13:14], v10, s[2:3] offset:32 glc
	global_load_b64 v[0:1], v10, s[2:3] offset:40
	v_dual_mov_b32 v11, s4 :: v_dual_mov_b32 v12, s5
	s_waitcnt vmcnt(0)
	v_and_b32_e32 v1, s5, v1
	v_and_b32_e32 v0, s4, v0
	s_delay_alu instid0(VALU_DEP_2) | instskip(NEXT) | instid1(VALU_DEP_2)
	v_mul_lo_u32 v1, v1, 24
	v_mul_hi_u32 v2, v0, 24
	v_mul_lo_u32 v0, v0, 24
	s_delay_alu instid0(VALU_DEP_2) | instskip(NEXT) | instid1(VALU_DEP_2)
	v_add_nc_u32_e32 v1, v2, v1
	v_add_co_u32 v4, vcc_lo, v4, v0
	s_delay_alu instid0(VALU_DEP_2)
	v_add_co_ci_u32_e32 v5, vcc_lo, v5, v1, vcc_lo
	global_store_b64 v[4:5], v[13:14], off
	s_waitcnt_vscnt null, 0x0
	global_atomic_cmpswap_b64 v[2:3], v10, v[11:14], s[2:3] offset:32 glc
	s_waitcnt vmcnt(0)
	v_cmpx_ne_u64_e64 v[2:3], v[13:14]
	s_cbranch_execz .LBB5_98
.LBB5_97:                               ; =>This Inner Loop Header: Depth=1
	v_dual_mov_b32 v0, s4 :: v_dual_mov_b32 v1, s5
	s_sleep 1
	global_store_b64 v[4:5], v[2:3], off
	s_waitcnt_vscnt null, 0x0
	global_atomic_cmpswap_b64 v[0:1], v10, v[0:3], s[2:3] offset:32 glc
	s_waitcnt vmcnt(0)
	v_cmp_eq_u64_e32 vcc_lo, v[0:1], v[2:3]
	v_dual_mov_b32 v3, v1 :: v_dual_mov_b32 v2, v0
	s_or_b32 s8, vcc_lo, s8
	s_delay_alu instid0(SALU_CYCLE_1)
	s_and_not1_b32 exec_lo, exec_lo, s8
	s_cbranch_execnz .LBB5_97
.LBB5_98:
	s_or_b32 exec_lo, exec_lo, s7
	v_mov_b32_e32 v3, 0
	s_mov_b32 s8, exec_lo
	s_mov_b32 s7, exec_lo
	v_mbcnt_lo_u32_b32 v2, s8, 0
	global_load_b64 v[0:1], v3, s[2:3] offset:16
	v_cmpx_eq_u32_e32 0, v2
	s_cbranch_execz .LBB5_100
; %bb.99:
	s_bcnt1_i32_b32 s8, s8
	s_delay_alu instid0(SALU_CYCLE_1)
	v_mov_b32_e32 v2, s8
	s_waitcnt vmcnt(0)
	global_atomic_add_u64 v[0:1], v[2:3], off offset:8
.LBB5_100:
	s_or_b32 exec_lo, exec_lo, s7
	s_waitcnt vmcnt(0)
	global_load_b64 v[2:3], v[0:1], off offset:16
	s_waitcnt vmcnt(0)
	v_cmp_eq_u64_e32 vcc_lo, 0, v[2:3]
	s_cbranch_vccnz .LBB5_102
; %bb.101:
	global_load_b32 v0, v[0:1], off offset:24
	s_waitcnt vmcnt(0)
	v_dual_mov_b32 v1, 0 :: v_dual_and_b32 v4, 0xffffff, v0
	s_waitcnt_vscnt null, 0x0
	global_store_b64 v[2:3], v[0:1], off
	v_readfirstlane_b32 m0, v4
	s_sendmsg sendmsg(MSG_INTERRUPT)
.LBB5_102:
	s_or_b32 exec_lo, exec_lo, s6
	s_branch .LBB5_106
	.p2align	6
.LBB5_103:                              ;   in Loop: Header=BB5_106 Depth=1
	s_or_b32 exec_lo, exec_lo, s6
	s_delay_alu instid0(VALU_DEP_1) | instskip(NEXT) | instid1(VALU_DEP_1)
	v_readfirstlane_b32 s6, v0
	s_cmp_eq_u32 s6, 0
	s_cbranch_scc1 .LBB5_105
; %bb.104:                              ;   in Loop: Header=BB5_106 Depth=1
	s_sleep 1
	s_cbranch_execnz .LBB5_106
	s_branch .LBB5_109
	.p2align	6
.LBB5_105:
	s_branch .LBB5_109
.LBB5_106:                              ; =>This Inner Loop Header: Depth=1
	v_mov_b32_e32 v0, 1
	s_and_saveexec_b32 s6, s0
	s_cbranch_execz .LBB5_103
; %bb.107:                              ;   in Loop: Header=BB5_106 Depth=1
	global_load_b32 v0, v[8:9], off offset:20 glc
	s_waitcnt vmcnt(0)
	buffer_gl1_inv
	buffer_gl0_inv
	v_and_b32_e32 v0, 1, v0
	s_branch .LBB5_103
.LBB5_108:
	s_or_b32 exec_lo, exec_lo, s1
	s_waitcnt vmcnt(0) lgkmcnt(0)
	s_setpc_b64 s[30:31]
.LBB5_109:
	global_load_b64 v[0:1], v[6:7], off
	s_and_saveexec_b32 s6, s0
	s_cbranch_execz .LBB5_113
; %bb.110:
	v_mov_b32_e32 v8, 0
	s_clause 0x2
	global_load_b64 v[4:5], v8, s[2:3] offset:40
	global_load_b64 v[9:10], v8, s[2:3] offset:24 glc
	global_load_b64 v[6:7], v8, s[2:3]
	s_waitcnt vmcnt(2)
	v_add_co_u32 v11, vcc_lo, v4, 1
	v_add_co_ci_u32_e32 v12, vcc_lo, 0, v5, vcc_lo
	s_delay_alu instid0(VALU_DEP_2) | instskip(NEXT) | instid1(VALU_DEP_2)
	v_add_co_u32 v2, vcc_lo, v11, s4
	v_add_co_ci_u32_e32 v3, vcc_lo, s5, v12, vcc_lo
	s_delay_alu instid0(VALU_DEP_1) | instskip(SKIP_1) | instid1(VALU_DEP_1)
	v_cmp_eq_u64_e32 vcc_lo, 0, v[2:3]
	v_dual_cndmask_b32 v3, v3, v12 :: v_dual_cndmask_b32 v2, v2, v11
	v_and_b32_e32 v5, v3, v5
	s_delay_alu instid0(VALU_DEP_2) | instskip(NEXT) | instid1(VALU_DEP_2)
	v_and_b32_e32 v4, v2, v4
	v_mul_lo_u32 v5, v5, 24
	s_delay_alu instid0(VALU_DEP_2) | instskip(SKIP_1) | instid1(VALU_DEP_2)
	v_mul_hi_u32 v11, v4, 24
	v_mul_lo_u32 v4, v4, 24
	v_add_nc_u32_e32 v5, v11, v5
	s_waitcnt vmcnt(0)
	s_delay_alu instid0(VALU_DEP_2) | instskip(SKIP_1) | instid1(VALU_DEP_3)
	v_add_co_u32 v6, vcc_lo, v6, v4
	v_mov_b32_e32 v4, v9
	v_add_co_ci_u32_e32 v7, vcc_lo, v7, v5, vcc_lo
	v_mov_b32_e32 v5, v10
	global_store_b64 v[6:7], v[9:10], off
	s_waitcnt_vscnt null, 0x0
	global_atomic_cmpswap_b64 v[4:5], v8, v[2:5], s[2:3] offset:24 glc
	s_waitcnt vmcnt(0)
	v_cmp_ne_u64_e32 vcc_lo, v[4:5], v[9:10]
	s_and_b32 exec_lo, exec_lo, vcc_lo
	s_cbranch_execz .LBB5_113
; %bb.111:
	s_mov_b32 s0, 0
.LBB5_112:                              ; =>This Inner Loop Header: Depth=1
	s_sleep 1
	global_store_b64 v[6:7], v[4:5], off
	s_waitcnt_vscnt null, 0x0
	global_atomic_cmpswap_b64 v[9:10], v8, v[2:5], s[2:3] offset:24 glc
	s_waitcnt vmcnt(0)
	v_cmp_eq_u64_e32 vcc_lo, v[9:10], v[4:5]
	v_dual_mov_b32 v4, v9 :: v_dual_mov_b32 v5, v10
	s_or_b32 s0, vcc_lo, s0
	s_delay_alu instid0(SALU_CYCLE_1)
	s_and_not1_b32 exec_lo, exec_lo, s0
	s_cbranch_execnz .LBB5_112
.LBB5_113:
	s_or_b32 exec_lo, exec_lo, s6
	s_delay_alu instid0(SALU_CYCLE_1)
	s_or_b32 exec_lo, exec_lo, s1
	s_waitcnt vmcnt(0) lgkmcnt(0)
	s_setpc_b64 s[30:31]
.Lfunc_end5:
	.size	__ockl_printf_append_string_n, .Lfunc_end5-__ockl_printf_append_string_n
                                        ; -- End function
	.section	.AMDGPU.csdata,"",@progbits
; Function info:
; codeLenInByte = 4760
; NumSgprs: 34
; NumVgprs: 36
; ScratchSize: 0
; MemoryBound: 0
	.text
	.p2align	2                               ; -- Begin function __ockl_printf_append_args
	.type	__ockl_printf_append_args,@function
__ockl_printf_append_args:              ; @__ockl_printf_append_args
; %bb.0:
	s_waitcnt vmcnt(0) expcnt(0) lgkmcnt(0)
	s_load_b64 s[2:3], s[8:9], 0x50
	v_mbcnt_lo_u32_b32 v15, -1, 0
	v_mov_b32_e32 v11, 0
	v_mov_b32_e32 v12, 0
	s_delay_alu instid0(VALU_DEP_3) | instskip(NEXT) | instid1(VALU_DEP_1)
	v_readfirstlane_b32 s0, v15
	v_cmp_eq_u32_e64 s0, s0, v15
	s_delay_alu instid0(VALU_DEP_1)
	s_and_saveexec_b32 s1, s0
	s_cbranch_execz .LBB6_6
; %bb.1:
	v_mov_b32_e32 v5, 0
	s_mov_b32 s4, exec_lo
	s_waitcnt lgkmcnt(0)
	global_load_b64 v[8:9], v5, s[2:3] offset:24 glc
	s_waitcnt vmcnt(0)
	buffer_gl1_inv
	buffer_gl0_inv
	s_clause 0x1
	global_load_b64 v[6:7], v5, s[2:3] offset:40
	global_load_b64 v[10:11], v5, s[2:3]
	s_waitcnt vmcnt(1)
	v_and_b32_e32 v6, v6, v8
	v_and_b32_e32 v7, v7, v9
	s_delay_alu instid0(VALU_DEP_2) | instskip(NEXT) | instid1(VALU_DEP_2)
	v_mul_hi_u32 v12, v6, 24
	v_mul_lo_u32 v7, v7, 24
	v_mul_lo_u32 v6, v6, 24
	s_delay_alu instid0(VALU_DEP_2) | instskip(SKIP_1) | instid1(VALU_DEP_2)
	v_add_nc_u32_e32 v7, v12, v7
	s_waitcnt vmcnt(0)
	v_add_co_u32 v6, vcc_lo, v10, v6
	s_delay_alu instid0(VALU_DEP_2)
	v_add_co_ci_u32_e32 v7, vcc_lo, v11, v7, vcc_lo
	global_load_b64 v[6:7], v[6:7], off glc
	s_waitcnt vmcnt(0)
	global_atomic_cmpswap_b64 v[11:12], v5, v[6:9], s[2:3] offset:24 glc
	s_waitcnt vmcnt(0)
	buffer_gl1_inv
	buffer_gl0_inv
	v_cmpx_ne_u64_e64 v[11:12], v[8:9]
	s_cbranch_execz .LBB6_5
; %bb.2:
	s_mov_b32 s5, 0
	.p2align	6
.LBB6_3:                                ; =>This Inner Loop Header: Depth=1
	s_sleep 1
	s_clause 0x1
	global_load_b64 v[6:7], v5, s[2:3] offset:40
	global_load_b64 v[13:14], v5, s[2:3]
	v_dual_mov_b32 v8, v11 :: v_dual_mov_b32 v9, v12
	s_waitcnt vmcnt(1)
	s_delay_alu instid0(VALU_DEP_1) | instskip(NEXT) | instid1(VALU_DEP_2)
	v_and_b32_e32 v6, v6, v8
	v_and_b32_e32 v7, v7, v9
	s_waitcnt vmcnt(0)
	s_delay_alu instid0(VALU_DEP_2) | instskip(NEXT) | instid1(VALU_DEP_1)
	v_mad_u64_u32 v[10:11], null, v6, 24, v[13:14]
	v_mov_b32_e32 v6, v11
	s_delay_alu instid0(VALU_DEP_1)
	v_mad_u64_u32 v[11:12], null, v7, 24, v[6:7]
	global_load_b64 v[6:7], v[10:11], off glc
	s_waitcnt vmcnt(0)
	global_atomic_cmpswap_b64 v[11:12], v5, v[6:9], s[2:3] offset:24 glc
	s_waitcnt vmcnt(0)
	buffer_gl1_inv
	buffer_gl0_inv
	v_cmp_eq_u64_e32 vcc_lo, v[11:12], v[8:9]
	s_or_b32 s5, vcc_lo, s5
	s_delay_alu instid0(SALU_CYCLE_1)
	s_and_not1_b32 exec_lo, exec_lo, s5
	s_cbranch_execnz .LBB6_3
; %bb.4:
	s_or_b32 exec_lo, exec_lo, s5
.LBB6_5:
	s_delay_alu instid0(SALU_CYCLE_1)
	s_or_b32 exec_lo, exec_lo, s4
.LBB6_6:
	s_delay_alu instid0(SALU_CYCLE_1)
	s_or_b32 exec_lo, exec_lo, s1
	v_mov_b32_e32 v10, 0
	v_readfirstlane_b32 s4, v11
	v_readfirstlane_b32 s5, v12
	s_mov_b32 s1, exec_lo
	s_waitcnt lgkmcnt(0)
	s_clause 0x1
	global_load_b64 v[13:14], v10, s[2:3] offset:40
	global_load_b128 v[5:8], v10, s[2:3]
	s_waitcnt vmcnt(1)
	v_readfirstlane_b32 s6, v13
	v_readfirstlane_b32 s7, v14
	s_delay_alu instid0(VALU_DEP_1) | instskip(NEXT) | instid1(SALU_CYCLE_1)
	s_and_b64 s[6:7], s[4:5], s[6:7]
	s_mul_i32 s8, s7, 24
	s_mul_hi_u32 s9, s6, 24
	s_mul_i32 s10, s6, 24
	s_add_i32 s9, s9, s8
	s_waitcnt vmcnt(0)
	v_add_co_u32 v13, vcc_lo, v5, s10
	v_add_co_ci_u32_e32 v14, vcc_lo, s9, v6, vcc_lo
	s_and_saveexec_b32 s8, s0
	s_cbranch_execz .LBB6_8
; %bb.7:
	v_dual_mov_b32 v9, s1 :: v_dual_mov_b32 v12, 1
	v_mov_b32_e32 v11, 2
	global_store_b128 v[13:14], v[9:12], off offset:8
.LBB6_8:
	s_or_b32 exec_lo, exec_lo, s8
	v_or_b32_e32 v9, 2, v0
	v_cmp_eq_u32_e32 vcc_lo, 0, v4
	s_lshl_b64 s[6:7], s[6:7], 12
	s_mov_b32 s8, 0
	v_lshlrev_b32_e32 v11, 6, v15
	s_mov_b32 s9, s8
	v_cndmask_b32_e32 v0, v9, v0, vcc_lo
	v_add_co_u32 v4, vcc_lo, v7, s6
	v_add_co_ci_u32_e32 v7, vcc_lo, s7, v8, vcc_lo
	s_mov_b32 s10, s8
	s_mov_b32 s11, s8
	v_and_or_b32 v0, 0xffffff1f, v0, 32
	v_readfirstlane_b32 s6, v4
	v_readfirstlane_b32 s7, v7
	v_dual_mov_b32 v7, s8 :: v_dual_mov_b32 v8, s9
	v_dual_mov_b32 v9, s10 :: v_dual_mov_b32 v10, s11
	s_clause 0x3
	global_store_b128 v11, v[0:3], s[6:7]
	global_store_b128 v11, v[7:10], s[6:7] offset:16
	global_store_b128 v11, v[7:10], s[6:7] offset:32
	;; [unrolled: 1-line block ×3, first 2 shown]
	s_and_saveexec_b32 s1, s0
	s_cbranch_execz .LBB6_16
; %bb.9:
	v_mov_b32_e32 v7, 0
	v_mov_b32_e32 v9, s5
	s_mov_b32 s6, exec_lo
	s_clause 0x1
	global_load_b64 v[10:11], v7, s[2:3] offset:32 glc
	global_load_b64 v[0:1], v7, s[2:3] offset:40
	v_mov_b32_e32 v8, s4
	s_waitcnt vmcnt(0)
	v_and_b32_e32 v0, s4, v0
	v_and_b32_e32 v1, s5, v1
	s_delay_alu instid0(VALU_DEP_2) | instskip(NEXT) | instid1(VALU_DEP_2)
	v_mul_hi_u32 v2, v0, 24
	v_mul_lo_u32 v1, v1, 24
	v_mul_lo_u32 v0, v0, 24
	s_delay_alu instid0(VALU_DEP_2) | instskip(NEXT) | instid1(VALU_DEP_2)
	v_add_nc_u32_e32 v1, v2, v1
	v_add_co_u32 v4, vcc_lo, v5, v0
	s_delay_alu instid0(VALU_DEP_2)
	v_add_co_ci_u32_e32 v5, vcc_lo, v6, v1, vcc_lo
	global_store_b64 v[4:5], v[10:11], off
	s_waitcnt_vscnt null, 0x0
	global_atomic_cmpswap_b64 v[2:3], v7, v[8:11], s[2:3] offset:32 glc
	s_waitcnt vmcnt(0)
	v_cmpx_ne_u64_e64 v[2:3], v[10:11]
	s_cbranch_execz .LBB6_12
; %bb.10:
	s_mov_b32 s7, 0
.LBB6_11:                               ; =>This Inner Loop Header: Depth=1
	v_dual_mov_b32 v0, s4 :: v_dual_mov_b32 v1, s5
	s_sleep 1
	global_store_b64 v[4:5], v[2:3], off
	s_waitcnt_vscnt null, 0x0
	global_atomic_cmpswap_b64 v[0:1], v7, v[0:3], s[2:3] offset:32 glc
	s_waitcnt vmcnt(0)
	v_cmp_eq_u64_e32 vcc_lo, v[0:1], v[2:3]
	v_dual_mov_b32 v3, v1 :: v_dual_mov_b32 v2, v0
	s_or_b32 s7, vcc_lo, s7
	s_delay_alu instid0(SALU_CYCLE_1)
	s_and_not1_b32 exec_lo, exec_lo, s7
	s_cbranch_execnz .LBB6_11
.LBB6_12:
	s_or_b32 exec_lo, exec_lo, s6
	v_mov_b32_e32 v3, 0
	s_mov_b32 s7, exec_lo
	s_mov_b32 s6, exec_lo
	v_mbcnt_lo_u32_b32 v2, s7, 0
	global_load_b64 v[0:1], v3, s[2:3] offset:16
	v_cmpx_eq_u32_e32 0, v2
	s_cbranch_execz .LBB6_14
; %bb.13:
	s_bcnt1_i32_b32 s7, s7
	s_delay_alu instid0(SALU_CYCLE_1)
	v_mov_b32_e32 v2, s7
	s_waitcnt vmcnt(0)
	global_atomic_add_u64 v[0:1], v[2:3], off offset:8
.LBB6_14:
	s_or_b32 exec_lo, exec_lo, s6
	s_waitcnt vmcnt(0)
	global_load_b64 v[2:3], v[0:1], off offset:16
	s_waitcnt vmcnt(0)
	v_cmp_eq_u64_e32 vcc_lo, 0, v[2:3]
	s_cbranch_vccnz .LBB6_16
; %bb.15:
	global_load_b32 v0, v[0:1], off offset:24
	s_waitcnt vmcnt(0)
	v_dual_mov_b32 v1, 0 :: v_dual_and_b32 v4, 0xffffff, v0
	s_waitcnt_vscnt null, 0x0
	global_store_b64 v[2:3], v[0:1], off
	v_readfirstlane_b32 m0, v4
	s_sendmsg sendmsg(MSG_INTERRUPT)
.LBB6_16:
	s_or_b32 exec_lo, exec_lo, s1
	s_branch .LBB6_20
	.p2align	6
.LBB6_17:                               ;   in Loop: Header=BB6_20 Depth=1
	s_or_b32 exec_lo, exec_lo, s1
	s_delay_alu instid0(VALU_DEP_1) | instskip(NEXT) | instid1(VALU_DEP_1)
	v_readfirstlane_b32 s1, v0
	s_cmp_eq_u32 s1, 0
	s_cbranch_scc1 .LBB6_19
; %bb.18:                               ;   in Loop: Header=BB6_20 Depth=1
	s_sleep 1
	s_cbranch_execnz .LBB6_20
	s_branch .LBB6_22
	.p2align	6
.LBB6_19:
	s_branch .LBB6_22
.LBB6_20:                               ; =>This Inner Loop Header: Depth=1
	v_mov_b32_e32 v0, 1
	s_and_saveexec_b32 s1, s0
	s_cbranch_execz .LBB6_17
; %bb.21:                               ;   in Loop: Header=BB6_20 Depth=1
	global_load_b32 v0, v[13:14], off offset:20 glc
	s_waitcnt vmcnt(0)
	buffer_gl1_inv
	buffer_gl0_inv
	v_and_b32_e32 v0, 1, v0
	s_branch .LBB6_17
.LBB6_22:
	s_and_saveexec_b32 s1, s0
	s_cbranch_execz .LBB6_26
; %bb.23:
	v_mov_b32_e32 v6, 0
	s_clause 0x2
	global_load_b64 v[2:3], v6, s[2:3] offset:40
	global_load_b64 v[7:8], v6, s[2:3] offset:24 glc
	global_load_b64 v[4:5], v6, s[2:3]
	s_waitcnt vmcnt(2)
	v_add_co_u32 v9, vcc_lo, v2, 1
	v_add_co_ci_u32_e32 v10, vcc_lo, 0, v3, vcc_lo
	s_delay_alu instid0(VALU_DEP_2) | instskip(NEXT) | instid1(VALU_DEP_2)
	v_add_co_u32 v0, vcc_lo, v9, s4
	v_add_co_ci_u32_e32 v1, vcc_lo, s5, v10, vcc_lo
	s_delay_alu instid0(VALU_DEP_1) | instskip(SKIP_1) | instid1(VALU_DEP_1)
	v_cmp_eq_u64_e32 vcc_lo, 0, v[0:1]
	v_dual_cndmask_b32 v1, v1, v10 :: v_dual_cndmask_b32 v0, v0, v9
	v_and_b32_e32 v3, v1, v3
	s_delay_alu instid0(VALU_DEP_2) | instskip(NEXT) | instid1(VALU_DEP_2)
	v_and_b32_e32 v2, v0, v2
	v_mul_lo_u32 v3, v3, 24
	s_delay_alu instid0(VALU_DEP_2) | instskip(SKIP_1) | instid1(VALU_DEP_2)
	v_mul_hi_u32 v9, v2, 24
	v_mul_lo_u32 v2, v2, 24
	v_add_nc_u32_e32 v3, v9, v3
	s_waitcnt vmcnt(0)
	s_delay_alu instid0(VALU_DEP_2) | instskip(SKIP_1) | instid1(VALU_DEP_3)
	v_add_co_u32 v4, vcc_lo, v4, v2
	v_mov_b32_e32 v2, v7
	v_add_co_ci_u32_e32 v5, vcc_lo, v5, v3, vcc_lo
	v_mov_b32_e32 v3, v8
	global_store_b64 v[4:5], v[7:8], off
	s_waitcnt_vscnt null, 0x0
	global_atomic_cmpswap_b64 v[2:3], v6, v[0:3], s[2:3] offset:24 glc
	s_waitcnt vmcnt(0)
	v_cmp_ne_u64_e32 vcc_lo, v[2:3], v[7:8]
	s_and_b32 exec_lo, exec_lo, vcc_lo
	s_cbranch_execz .LBB6_26
; %bb.24:
	s_mov_b32 s0, 0
.LBB6_25:                               ; =>This Inner Loop Header: Depth=1
	s_sleep 1
	global_store_b64 v[4:5], v[2:3], off
	s_waitcnt_vscnt null, 0x0
	global_atomic_cmpswap_b64 v[7:8], v6, v[0:3], s[2:3] offset:24 glc
	s_waitcnt vmcnt(0)
	v_cmp_eq_u64_e32 vcc_lo, v[7:8], v[2:3]
	v_dual_mov_b32 v2, v7 :: v_dual_mov_b32 v3, v8
	s_or_b32 s0, vcc_lo, s0
	s_delay_alu instid0(SALU_CYCLE_1)
	s_and_not1_b32 exec_lo, exec_lo, s0
	s_cbranch_execnz .LBB6_25
.LBB6_26:
	s_or_b32 exec_lo, exec_lo, s1
	s_waitcnt lgkmcnt(0)
	s_setpc_b64 s[30:31]
.Lfunc_end6:
	.size	__ockl_printf_append_args, .Lfunc_end6-__ockl_printf_append_args
                                        ; -- End function
	.section	.AMDGPU.csdata,"",@progbits
; Function info:
; codeLenInByte = 1352
; NumSgprs: 34
; NumVgprs: 16
; ScratchSize: 0
; MemoryBound: 0
	.text
	.p2align	2                               ; -- Begin function _ZL14no_device_codePKciS0_iS0_
	.type	_ZL14no_device_codePKciS0_iS0_,@function
_ZL14no_device_codePKciS0_iS0_:         ; @_ZL14no_device_codePKciS0_iS0_
; %bb.0:
	s_waitcnt vmcnt(0) expcnt(0) lgkmcnt(0)
	s_mov_b32 s20, s33
	s_mov_b32 s33, s32
	s_xor_saveexec_b32 s0, -1
	scratch_store_b32 off, v36, s33         ; 4-byte Folded Spill
	s_mov_b32 exec_lo, s0
	v_writelane_b32 v36, s30, 0
	s_add_i32 s32, s32, 16
	v_writelane_b32 v36, s31, 1
	s_load_b64 s[2:3], s[8:9], 0x50
	v_mbcnt_lo_u32_b32 v32, -1, 0
	v_mov_b32_e32 v6, 0
	v_mov_b32_e32 v7, 0
	s_delay_alu instid0(VALU_DEP_3) | instskip(NEXT) | instid1(VALU_DEP_1)
	v_readfirstlane_b32 s0, v32
	v_cmp_eq_u32_e64 s0, s0, v32
	s_delay_alu instid0(VALU_DEP_1)
	s_and_saveexec_b32 s1, s0
	s_cbranch_execz .LBB7_6
; %bb.1:
	v_mov_b32_e32 v0, 0
	s_mov_b32 s4, exec_lo
	s_waitcnt lgkmcnt(0)
	global_load_b64 v[3:4], v0, s[2:3] offset:24 glc
	s_waitcnt vmcnt(0)
	buffer_gl1_inv
	buffer_gl0_inv
	s_clause 0x1
	global_load_b64 v[1:2], v0, s[2:3] offset:40
	global_load_b64 v[5:6], v0, s[2:3]
	s_waitcnt vmcnt(1)
	v_and_b32_e32 v1, v1, v3
	v_and_b32_e32 v2, v2, v4
	s_delay_alu instid0(VALU_DEP_2) | instskip(NEXT) | instid1(VALU_DEP_2)
	v_mul_hi_u32 v7, v1, 24
	v_mul_lo_u32 v2, v2, 24
	v_mul_lo_u32 v1, v1, 24
	s_delay_alu instid0(VALU_DEP_2) | instskip(SKIP_1) | instid1(VALU_DEP_2)
	v_add_nc_u32_e32 v2, v7, v2
	s_waitcnt vmcnt(0)
	v_add_co_u32 v1, vcc_lo, v5, v1
	s_delay_alu instid0(VALU_DEP_2)
	v_add_co_ci_u32_e32 v2, vcc_lo, v6, v2, vcc_lo
	global_load_b64 v[1:2], v[1:2], off glc
	s_waitcnt vmcnt(0)
	global_atomic_cmpswap_b64 v[6:7], v0, v[1:4], s[2:3] offset:24 glc
	s_waitcnt vmcnt(0)
	buffer_gl1_inv
	buffer_gl0_inv
	v_cmpx_ne_u64_e64 v[6:7], v[3:4]
	s_cbranch_execz .LBB7_5
; %bb.2:
	s_mov_b32 s5, 0
	.p2align	6
.LBB7_3:                                ; =>This Inner Loop Header: Depth=1
	s_sleep 1
	s_clause 0x1
	global_load_b64 v[1:2], v0, s[2:3] offset:40
	global_load_b64 v[8:9], v0, s[2:3]
	v_dual_mov_b32 v3, v6 :: v_dual_mov_b32 v4, v7
	s_waitcnt vmcnt(1)
	s_delay_alu instid0(VALU_DEP_1) | instskip(NEXT) | instid1(VALU_DEP_2)
	v_and_b32_e32 v1, v1, v3
	v_and_b32_e32 v2, v2, v4
	s_waitcnt vmcnt(0)
	s_delay_alu instid0(VALU_DEP_2) | instskip(NEXT) | instid1(VALU_DEP_1)
	v_mad_u64_u32 v[5:6], null, v1, 24, v[8:9]
	v_mov_b32_e32 v1, v6
	s_delay_alu instid0(VALU_DEP_1)
	v_mad_u64_u32 v[6:7], null, v2, 24, v[1:2]
	global_load_b64 v[1:2], v[5:6], off glc
	s_waitcnt vmcnt(0)
	global_atomic_cmpswap_b64 v[6:7], v0, v[1:4], s[2:3] offset:24 glc
	s_waitcnt vmcnt(0)
	buffer_gl1_inv
	buffer_gl0_inv
	v_cmp_eq_u64_e32 vcc_lo, v[6:7], v[3:4]
	s_or_b32 s5, vcc_lo, s5
	s_delay_alu instid0(SALU_CYCLE_1)
	s_and_not1_b32 exec_lo, exec_lo, s5
	s_cbranch_execnz .LBB7_3
; %bb.4:
	s_or_b32 exec_lo, exec_lo, s5
.LBB7_5:
	s_delay_alu instid0(SALU_CYCLE_1)
	s_or_b32 exec_lo, exec_lo, s4
.LBB7_6:
	s_delay_alu instid0(SALU_CYCLE_1)
	s_or_b32 exec_lo, exec_lo, s1
	v_mov_b32_e32 v5, 0
	v_readfirstlane_b32 s4, v6
	v_readfirstlane_b32 s5, v7
	s_mov_b32 s1, exec_lo
	s_waitcnt lgkmcnt(0)
	s_clause 0x1
	global_load_b64 v[8:9], v5, s[2:3] offset:40
	global_load_b128 v[0:3], v5, s[2:3]
	s_waitcnt vmcnt(1)
	v_readfirstlane_b32 s6, v8
	v_readfirstlane_b32 s7, v9
	s_delay_alu instid0(VALU_DEP_1) | instskip(NEXT) | instid1(SALU_CYCLE_1)
	s_and_b64 s[6:7], s[4:5], s[6:7]
	s_mul_i32 s10, s7, 24
	s_mul_hi_u32 s11, s6, 24
	s_mul_i32 s12, s6, 24
	s_add_i32 s11, s11, s10
	s_waitcnt vmcnt(0)
	v_add_co_u32 v8, vcc_lo, v0, s12
	v_add_co_ci_u32_e32 v9, vcc_lo, s11, v1, vcc_lo
	s_and_saveexec_b32 s10, s0
	s_cbranch_execz .LBB7_8
; %bb.7:
	v_dual_mov_b32 v4, s1 :: v_dual_mov_b32 v7, 1
	v_mov_b32_e32 v6, 2
	global_store_b128 v[8:9], v[4:7], off offset:8
.LBB7_8:
	s_or_b32 exec_lo, exec_lo, s10
	s_lshl_b64 s[6:7], s[6:7], 12
	v_dual_mov_b32 v4, 33 :: v_dual_lshlrev_b32 v31, 6, v32
	v_add_co_u32 v2, vcc_lo, v2, s6
	v_add_co_ci_u32_e32 v3, vcc_lo, s7, v3, vcc_lo
	s_mov_b32 s12, 0
	s_delay_alu instid0(VALU_DEP_2)
	v_add_co_u32 v10, vcc_lo, v2, v31
	s_mov_b32 s13, s12
	s_mov_b32 s14, s12
	;; [unrolled: 1-line block ×3, first 2 shown]
	v_mov_b32_e32 v6, v5
	v_dual_mov_b32 v7, v5 :: v_dual_mov_b32 v12, s12
	v_readfirstlane_b32 s6, v2
	v_readfirstlane_b32 s7, v3
	v_add_co_ci_u32_e32 v11, vcc_lo, 0, v3, vcc_lo
	v_dual_mov_b32 v13, s13 :: v_dual_mov_b32 v14, s14
	v_mov_b32_e32 v15, s15
	s_clause 0x3
	global_store_b128 v31, v[4:7], s[6:7]
	global_store_b128 v31, v[12:15], s[6:7] offset:16
	global_store_b128 v31, v[12:15], s[6:7] offset:32
	;; [unrolled: 1-line block ×3, first 2 shown]
	s_and_saveexec_b32 s1, s0
	s_cbranch_execz .LBB7_16
; %bb.9:
	v_mov_b32_e32 v6, 0
	s_mov_b32 s6, exec_lo
	s_clause 0x1
	global_load_b64 v[14:15], v6, s[2:3] offset:32 glc
	global_load_b64 v[2:3], v6, s[2:3] offset:40
	v_dual_mov_b32 v13, s5 :: v_dual_mov_b32 v12, s4
	s_waitcnt vmcnt(0)
	v_and_b32_e32 v3, s5, v3
	v_and_b32_e32 v2, s4, v2
	s_delay_alu instid0(VALU_DEP_2) | instskip(NEXT) | instid1(VALU_DEP_2)
	v_mul_lo_u32 v3, v3, 24
	v_mul_hi_u32 v4, v2, 24
	v_mul_lo_u32 v2, v2, 24
	s_delay_alu instid0(VALU_DEP_2) | instskip(NEXT) | instid1(VALU_DEP_2)
	v_add_nc_u32_e32 v3, v4, v3
	v_add_co_u32 v4, vcc_lo, v0, v2
	s_delay_alu instid0(VALU_DEP_2)
	v_add_co_ci_u32_e32 v5, vcc_lo, v1, v3, vcc_lo
	global_store_b64 v[4:5], v[14:15], off
	s_waitcnt_vscnt null, 0x0
	global_atomic_cmpswap_b64 v[2:3], v6, v[12:15], s[2:3] offset:32 glc
	s_waitcnt vmcnt(0)
	v_cmpx_ne_u64_e64 v[2:3], v[14:15]
	s_cbranch_execz .LBB7_12
; %bb.10:
	s_mov_b32 s7, 0
.LBB7_11:                               ; =>This Inner Loop Header: Depth=1
	v_dual_mov_b32 v0, s4 :: v_dual_mov_b32 v1, s5
	s_sleep 1
	global_store_b64 v[4:5], v[2:3], off
	s_waitcnt_vscnt null, 0x0
	global_atomic_cmpswap_b64 v[0:1], v6, v[0:3], s[2:3] offset:32 glc
	s_waitcnt vmcnt(0)
	v_cmp_eq_u64_e32 vcc_lo, v[0:1], v[2:3]
	v_dual_mov_b32 v3, v1 :: v_dual_mov_b32 v2, v0
	s_or_b32 s7, vcc_lo, s7
	s_delay_alu instid0(SALU_CYCLE_1)
	s_and_not1_b32 exec_lo, exec_lo, s7
	s_cbranch_execnz .LBB7_11
.LBB7_12:
	s_or_b32 exec_lo, exec_lo, s6
	v_mov_b32_e32 v3, 0
	s_mov_b32 s7, exec_lo
	s_mov_b32 s6, exec_lo
	v_mbcnt_lo_u32_b32 v2, s7, 0
	global_load_b64 v[0:1], v3, s[2:3] offset:16
	v_cmpx_eq_u32_e32 0, v2
	s_cbranch_execz .LBB7_14
; %bb.13:
	s_bcnt1_i32_b32 s7, s7
	s_delay_alu instid0(SALU_CYCLE_1)
	v_mov_b32_e32 v2, s7
	s_waitcnt vmcnt(0)
	global_atomic_add_u64 v[0:1], v[2:3], off offset:8
.LBB7_14:
	s_or_b32 exec_lo, exec_lo, s6
	s_waitcnt vmcnt(0)
	global_load_b64 v[2:3], v[0:1], off offset:16
	s_waitcnt vmcnt(0)
	v_cmp_eq_u64_e32 vcc_lo, 0, v[2:3]
	s_cbranch_vccnz .LBB7_16
; %bb.15:
	global_load_b32 v0, v[0:1], off offset:24
	s_waitcnt vmcnt(0)
	v_dual_mov_b32 v1, 0 :: v_dual_and_b32 v4, 0xffffff, v0
	s_waitcnt_vscnt null, 0x0
	global_store_b64 v[2:3], v[0:1], off
	v_readfirstlane_b32 m0, v4
	s_sendmsg sendmsg(MSG_INTERRUPT)
.LBB7_16:
	s_or_b32 exec_lo, exec_lo, s1
	s_branch .LBB7_20
	.p2align	6
.LBB7_17:                               ;   in Loop: Header=BB7_20 Depth=1
	s_or_b32 exec_lo, exec_lo, s1
	s_delay_alu instid0(VALU_DEP_1) | instskip(NEXT) | instid1(VALU_DEP_1)
	v_readfirstlane_b32 s1, v0
	s_cmp_eq_u32 s1, 0
	s_cbranch_scc1 .LBB7_19
; %bb.18:                               ;   in Loop: Header=BB7_20 Depth=1
	s_sleep 1
	s_cbranch_execnz .LBB7_20
	s_branch .LBB7_22
	.p2align	6
.LBB7_19:
	s_branch .LBB7_22
.LBB7_20:                               ; =>This Inner Loop Header: Depth=1
	v_mov_b32_e32 v0, 1
	s_and_saveexec_b32 s1, s0
	s_cbranch_execz .LBB7_17
; %bb.21:                               ;   in Loop: Header=BB7_20 Depth=1
	global_load_b32 v0, v[8:9], off offset:20 glc
	s_waitcnt vmcnt(0)
	buffer_gl1_inv
	buffer_gl0_inv
	v_and_b32_e32 v0, 1, v0
	s_branch .LBB7_17
.LBB7_22:
	global_load_b64 v[4:5], v[10:11], off
	s_and_saveexec_b32 s1, s0
	s_cbranch_execz .LBB7_26
; %bb.23:
	v_mov_b32_e32 v8, 0
	s_clause 0x2
	global_load_b64 v[2:3], v8, s[2:3] offset:40
	global_load_b64 v[9:10], v8, s[2:3] offset:24 glc
	global_load_b64 v[6:7], v8, s[2:3]
	s_waitcnt vmcnt(2)
	v_add_co_u32 v11, vcc_lo, v2, 1
	v_add_co_ci_u32_e32 v12, vcc_lo, 0, v3, vcc_lo
	s_delay_alu instid0(VALU_DEP_2) | instskip(NEXT) | instid1(VALU_DEP_2)
	v_add_co_u32 v0, vcc_lo, v11, s4
	v_add_co_ci_u32_e32 v1, vcc_lo, s5, v12, vcc_lo
	s_delay_alu instid0(VALU_DEP_1) | instskip(SKIP_1) | instid1(VALU_DEP_1)
	v_cmp_eq_u64_e32 vcc_lo, 0, v[0:1]
	v_dual_cndmask_b32 v1, v1, v12 :: v_dual_cndmask_b32 v0, v0, v11
	v_and_b32_e32 v3, v1, v3
	s_delay_alu instid0(VALU_DEP_2) | instskip(NEXT) | instid1(VALU_DEP_2)
	v_and_b32_e32 v2, v0, v2
	v_mul_lo_u32 v3, v3, 24
	s_delay_alu instid0(VALU_DEP_2) | instskip(SKIP_1) | instid1(VALU_DEP_2)
	v_mul_hi_u32 v11, v2, 24
	v_mul_lo_u32 v2, v2, 24
	v_add_nc_u32_e32 v3, v11, v3
	s_waitcnt vmcnt(0)
	s_delay_alu instid0(VALU_DEP_2) | instskip(SKIP_1) | instid1(VALU_DEP_3)
	v_add_co_u32 v6, vcc_lo, v6, v2
	v_mov_b32_e32 v2, v9
	v_add_co_ci_u32_e32 v7, vcc_lo, v7, v3, vcc_lo
	v_mov_b32_e32 v3, v10
	global_store_b64 v[6:7], v[9:10], off
	s_waitcnt_vscnt null, 0x0
	global_atomic_cmpswap_b64 v[2:3], v8, v[0:3], s[2:3] offset:24 glc
	s_waitcnt vmcnt(0)
	v_cmp_ne_u64_e32 vcc_lo, v[2:3], v[9:10]
	s_and_b32 exec_lo, exec_lo, vcc_lo
	s_cbranch_execz .LBB7_26
; %bb.24:
	s_mov_b32 s0, 0
.LBB7_25:                               ; =>This Inner Loop Header: Depth=1
	s_sleep 1
	global_store_b64 v[6:7], v[2:3], off
	s_waitcnt_vscnt null, 0x0
	global_atomic_cmpswap_b64 v[9:10], v8, v[0:3], s[2:3] offset:24 glc
	s_waitcnt vmcnt(0)
	v_cmp_eq_u64_e32 vcc_lo, v[9:10], v[2:3]
	v_dual_mov_b32 v2, v9 :: v_dual_mov_b32 v3, v10
	s_or_b32 s0, vcc_lo, s0
	s_delay_alu instid0(SALU_CYCLE_1)
	s_and_not1_b32 exec_lo, exec_lo, s0
	s_cbranch_execnz .LBB7_25
.LBB7_26:
	s_or_b32 exec_lo, exec_lo, s1
	s_getpc_b64 s[4:5]
	s_add_u32 s4, s4, .str.3@rel32@lo+4
	s_addc_u32 s5, s5, .str.3@rel32@hi+12
	s_delay_alu instid0(SALU_CYCLE_1)
	s_cmp_lg_u64 s[4:5], 0
	s_cbranch_scc0 .LBB7_104
; %bb.27:
	s_waitcnt vmcnt(0)
	v_dual_mov_b32 v7, 0 :: v_dual_and_b32 v28, 2, v4
	v_dual_mov_b32 v1, v5 :: v_dual_and_b32 v0, -3, v4
	v_dual_mov_b32 v8, 2 :: v_dual_mov_b32 v9, 1
	s_mov_b64 s[6:7], 0x4d
	s_branch .LBB7_29
.LBB7_28:                               ;   in Loop: Header=BB7_29 Depth=1
	s_or_b32 exec_lo, exec_lo, s1
	s_sub_u32 s6, s6, s10
	s_subb_u32 s7, s7, s11
	s_add_u32 s4, s4, s10
	s_addc_u32 s5, s5, s11
	s_cmp_lg_u64 s[6:7], 0
	s_cbranch_scc0 .LBB7_105
.LBB7_29:                               ; =>This Loop Header: Depth=1
                                        ;     Child Loop BB7_38 Depth 2
                                        ;     Child Loop BB7_34 Depth 2
	;; [unrolled: 1-line block ×11, first 2 shown]
	v_cmp_lt_u64_e64 s0, s[6:7], 56
	v_cmp_gt_u64_e64 s1, s[6:7], 7
                                        ; implicit-def: $vgpr2_vgpr3
                                        ; implicit-def: $sgpr16
	s_delay_alu instid0(VALU_DEP_2) | instskip(SKIP_2) | instid1(VALU_DEP_1)
	s_and_b32 s0, s0, exec_lo
	s_cselect_b32 s11, s7, 0
	s_cselect_b32 s10, s6, 56
	s_and_b32 vcc_lo, exec_lo, s1
	s_mov_b32 s0, -1
	s_cbranch_vccz .LBB7_36
; %bb.30:                               ;   in Loop: Header=BB7_29 Depth=1
	s_and_not1_b32 vcc_lo, exec_lo, s0
	s_mov_b64 s[0:1], s[4:5]
	s_cbranch_vccz .LBB7_40
.LBB7_31:                               ;   in Loop: Header=BB7_29 Depth=1
	s_cmp_gt_u32 s16, 7
	s_cbranch_scc1 .LBB7_41
.LBB7_32:                               ;   in Loop: Header=BB7_29 Depth=1
	v_mov_b32_e32 v10, 0
	v_mov_b32_e32 v11, 0
	s_cmp_eq_u32 s16, 0
	s_cbranch_scc1 .LBB7_35
; %bb.33:                               ;   in Loop: Header=BB7_29 Depth=1
	s_mov_b64 s[12:13], 0
	s_mov_b64 s[14:15], 0
.LBB7_34:                               ;   Parent Loop BB7_29 Depth=1
                                        ; =>  This Inner Loop Header: Depth=2
	s_delay_alu instid0(SALU_CYCLE_1)
	s_add_u32 s18, s0, s14
	s_addc_u32 s19, s1, s15
	s_add_u32 s14, s14, 1
	global_load_u8 v6, v7, s[18:19]
	s_addc_u32 s15, s15, 0
	s_waitcnt vmcnt(0)
	v_and_b32_e32 v6, 0xffff, v6
	s_delay_alu instid0(VALU_DEP_1) | instskip(SKIP_3) | instid1(VALU_DEP_1)
	v_lshlrev_b64 v[12:13], s12, v[6:7]
	s_add_u32 s12, s12, 8
	s_addc_u32 s13, s13, 0
	s_cmp_lg_u32 s16, s14
	v_or_b32_e32 v10, v12, v10
	s_delay_alu instid0(VALU_DEP_2)
	v_or_b32_e32 v11, v13, v11
	s_cbranch_scc1 .LBB7_34
.LBB7_35:                               ;   in Loop: Header=BB7_29 Depth=1
	s_mov_b32 s17, 0
	s_cbranch_execz .LBB7_42
	s_branch .LBB7_43
.LBB7_36:                               ;   in Loop: Header=BB7_29 Depth=1
	s_waitcnt vmcnt(0)
	v_mov_b32_e32 v2, 0
	v_mov_b32_e32 v3, 0
	s_cmp_eq_u64 s[6:7], 0
	s_mov_b64 s[0:1], 0
	s_cbranch_scc1 .LBB7_39
; %bb.37:                               ;   in Loop: Header=BB7_29 Depth=1
	v_mov_b32_e32 v2, 0
	v_mov_b32_e32 v3, 0
	s_lshl_b64 s[12:13], s[10:11], 3
	s_mov_b64 s[14:15], s[4:5]
.LBB7_38:                               ;   Parent Loop BB7_29 Depth=1
                                        ; =>  This Inner Loop Header: Depth=2
	global_load_u8 v6, v7, s[14:15]
	s_waitcnt vmcnt(0)
	v_and_b32_e32 v6, 0xffff, v6
	s_delay_alu instid0(VALU_DEP_1)
	v_lshlrev_b64 v[10:11], s0, v[6:7]
	s_add_u32 s0, s0, 8
	s_addc_u32 s1, s1, 0
	s_add_u32 s14, s14, 1
	s_addc_u32 s15, s15, 0
	s_cmp_lg_u32 s12, s0
	v_or_b32_e32 v2, v10, v2
	v_or_b32_e32 v3, v11, v3
	s_cbranch_scc1 .LBB7_38
.LBB7_39:                               ;   in Loop: Header=BB7_29 Depth=1
	s_mov_b32 s16, 0
	s_mov_b64 s[0:1], s[4:5]
	s_cbranch_execnz .LBB7_31
.LBB7_40:                               ;   in Loop: Header=BB7_29 Depth=1
	global_load_b64 v[2:3], v7, s[4:5]
	s_add_i32 s16, s10, -8
	s_add_u32 s0, s4, 8
	s_addc_u32 s1, s5, 0
	s_cmp_gt_u32 s16, 7
	s_cbranch_scc0 .LBB7_32
.LBB7_41:                               ;   in Loop: Header=BB7_29 Depth=1
                                        ; implicit-def: $vgpr10_vgpr11
                                        ; implicit-def: $sgpr17
.LBB7_42:                               ;   in Loop: Header=BB7_29 Depth=1
	global_load_b64 v[10:11], v7, s[0:1]
	s_add_i32 s17, s16, -8
	s_add_u32 s0, s0, 8
	s_addc_u32 s1, s1, 0
.LBB7_43:                               ;   in Loop: Header=BB7_29 Depth=1
	s_cmp_gt_u32 s17, 7
	s_cbranch_scc1 .LBB7_48
; %bb.44:                               ;   in Loop: Header=BB7_29 Depth=1
	v_mov_b32_e32 v12, 0
	v_mov_b32_e32 v13, 0
	s_cmp_eq_u32 s17, 0
	s_cbranch_scc1 .LBB7_47
; %bb.45:                               ;   in Loop: Header=BB7_29 Depth=1
	s_mov_b64 s[12:13], 0
	s_mov_b64 s[14:15], 0
.LBB7_46:                               ;   Parent Loop BB7_29 Depth=1
                                        ; =>  This Inner Loop Header: Depth=2
	s_delay_alu instid0(SALU_CYCLE_1)
	s_add_u32 s18, s0, s14
	s_addc_u32 s19, s1, s15
	s_add_u32 s14, s14, 1
	global_load_u8 v6, v7, s[18:19]
	s_addc_u32 s15, s15, 0
	s_waitcnt vmcnt(0)
	v_and_b32_e32 v6, 0xffff, v6
	s_delay_alu instid0(VALU_DEP_1) | instskip(SKIP_3) | instid1(VALU_DEP_1)
	v_lshlrev_b64 v[14:15], s12, v[6:7]
	s_add_u32 s12, s12, 8
	s_addc_u32 s13, s13, 0
	s_cmp_lg_u32 s17, s14
	v_or_b32_e32 v12, v14, v12
	s_delay_alu instid0(VALU_DEP_2)
	v_or_b32_e32 v13, v15, v13
	s_cbranch_scc1 .LBB7_46
.LBB7_47:                               ;   in Loop: Header=BB7_29 Depth=1
	s_mov_b32 s16, 0
	s_cbranch_execz .LBB7_49
	s_branch .LBB7_50
.LBB7_48:                               ;   in Loop: Header=BB7_29 Depth=1
                                        ; implicit-def: $sgpr16
.LBB7_49:                               ;   in Loop: Header=BB7_29 Depth=1
	global_load_b64 v[12:13], v7, s[0:1]
	s_add_i32 s16, s17, -8
	s_add_u32 s0, s0, 8
	s_addc_u32 s1, s1, 0
.LBB7_50:                               ;   in Loop: Header=BB7_29 Depth=1
	s_cmp_gt_u32 s16, 7
	s_cbranch_scc1 .LBB7_55
; %bb.51:                               ;   in Loop: Header=BB7_29 Depth=1
	v_mov_b32_e32 v14, 0
	v_mov_b32_e32 v15, 0
	s_cmp_eq_u32 s16, 0
	s_cbranch_scc1 .LBB7_54
; %bb.52:                               ;   in Loop: Header=BB7_29 Depth=1
	s_mov_b64 s[12:13], 0
	s_mov_b64 s[14:15], 0
.LBB7_53:                               ;   Parent Loop BB7_29 Depth=1
                                        ; =>  This Inner Loop Header: Depth=2
	s_delay_alu instid0(SALU_CYCLE_1)
	s_add_u32 s18, s0, s14
	s_addc_u32 s19, s1, s15
	s_add_u32 s14, s14, 1
	global_load_u8 v6, v7, s[18:19]
	s_addc_u32 s15, s15, 0
	s_waitcnt vmcnt(0)
	v_and_b32_e32 v6, 0xffff, v6
	s_delay_alu instid0(VALU_DEP_1) | instskip(SKIP_3) | instid1(VALU_DEP_1)
	v_lshlrev_b64 v[16:17], s12, v[6:7]
	s_add_u32 s12, s12, 8
	s_addc_u32 s13, s13, 0
	s_cmp_lg_u32 s16, s14
	v_or_b32_e32 v14, v16, v14
	s_delay_alu instid0(VALU_DEP_2)
	v_or_b32_e32 v15, v17, v15
	s_cbranch_scc1 .LBB7_53
.LBB7_54:                               ;   in Loop: Header=BB7_29 Depth=1
	s_mov_b32 s17, 0
	s_cbranch_execz .LBB7_56
	s_branch .LBB7_57
.LBB7_55:                               ;   in Loop: Header=BB7_29 Depth=1
                                        ; implicit-def: $vgpr14_vgpr15
                                        ; implicit-def: $sgpr17
.LBB7_56:                               ;   in Loop: Header=BB7_29 Depth=1
	global_load_b64 v[14:15], v7, s[0:1]
	s_add_i32 s17, s16, -8
	s_add_u32 s0, s0, 8
	s_addc_u32 s1, s1, 0
.LBB7_57:                               ;   in Loop: Header=BB7_29 Depth=1
	s_cmp_gt_u32 s17, 7
	s_cbranch_scc1 .LBB7_62
; %bb.58:                               ;   in Loop: Header=BB7_29 Depth=1
	v_mov_b32_e32 v16, 0
	v_mov_b32_e32 v17, 0
	s_cmp_eq_u32 s17, 0
	s_cbranch_scc1 .LBB7_61
; %bb.59:                               ;   in Loop: Header=BB7_29 Depth=1
	s_mov_b64 s[12:13], 0
	s_mov_b64 s[14:15], 0
.LBB7_60:                               ;   Parent Loop BB7_29 Depth=1
                                        ; =>  This Inner Loop Header: Depth=2
	s_delay_alu instid0(SALU_CYCLE_1)
	s_add_u32 s18, s0, s14
	s_addc_u32 s19, s1, s15
	s_add_u32 s14, s14, 1
	global_load_u8 v6, v7, s[18:19]
	s_addc_u32 s15, s15, 0
	s_waitcnt vmcnt(0)
	v_and_b32_e32 v6, 0xffff, v6
	s_delay_alu instid0(VALU_DEP_1) | instskip(SKIP_3) | instid1(VALU_DEP_1)
	v_lshlrev_b64 v[18:19], s12, v[6:7]
	s_add_u32 s12, s12, 8
	s_addc_u32 s13, s13, 0
	s_cmp_lg_u32 s17, s14
	v_or_b32_e32 v16, v18, v16
	s_delay_alu instid0(VALU_DEP_2)
	v_or_b32_e32 v17, v19, v17
	s_cbranch_scc1 .LBB7_60
.LBB7_61:                               ;   in Loop: Header=BB7_29 Depth=1
	s_mov_b32 s16, 0
	s_cbranch_execz .LBB7_63
	s_branch .LBB7_64
.LBB7_62:                               ;   in Loop: Header=BB7_29 Depth=1
                                        ; implicit-def: $sgpr16
.LBB7_63:                               ;   in Loop: Header=BB7_29 Depth=1
	global_load_b64 v[16:17], v7, s[0:1]
	s_add_i32 s16, s17, -8
	s_add_u32 s0, s0, 8
	s_addc_u32 s1, s1, 0
.LBB7_64:                               ;   in Loop: Header=BB7_29 Depth=1
	s_cmp_gt_u32 s16, 7
	s_cbranch_scc1 .LBB7_69
; %bb.65:                               ;   in Loop: Header=BB7_29 Depth=1
	v_mov_b32_e32 v18, 0
	v_mov_b32_e32 v19, 0
	s_cmp_eq_u32 s16, 0
	s_cbranch_scc1 .LBB7_68
; %bb.66:                               ;   in Loop: Header=BB7_29 Depth=1
	s_mov_b64 s[12:13], 0
	s_mov_b64 s[14:15], 0
.LBB7_67:                               ;   Parent Loop BB7_29 Depth=1
                                        ; =>  This Inner Loop Header: Depth=2
	s_delay_alu instid0(SALU_CYCLE_1)
	s_add_u32 s18, s0, s14
	s_addc_u32 s19, s1, s15
	s_add_u32 s14, s14, 1
	global_load_u8 v6, v7, s[18:19]
	s_addc_u32 s15, s15, 0
	s_waitcnt vmcnt(0)
	v_and_b32_e32 v6, 0xffff, v6
	s_delay_alu instid0(VALU_DEP_1) | instskip(SKIP_3) | instid1(VALU_DEP_1)
	v_lshlrev_b64 v[20:21], s12, v[6:7]
	s_add_u32 s12, s12, 8
	s_addc_u32 s13, s13, 0
	s_cmp_lg_u32 s16, s14
	v_or_b32_e32 v18, v20, v18
	s_delay_alu instid0(VALU_DEP_2)
	v_or_b32_e32 v19, v21, v19
	s_cbranch_scc1 .LBB7_67
.LBB7_68:                               ;   in Loop: Header=BB7_29 Depth=1
	s_mov_b32 s17, 0
	s_cbranch_execz .LBB7_70
	s_branch .LBB7_71
.LBB7_69:                               ;   in Loop: Header=BB7_29 Depth=1
                                        ; implicit-def: $vgpr18_vgpr19
                                        ; implicit-def: $sgpr17
.LBB7_70:                               ;   in Loop: Header=BB7_29 Depth=1
	global_load_b64 v[18:19], v7, s[0:1]
	s_add_i32 s17, s16, -8
	s_add_u32 s0, s0, 8
	s_addc_u32 s1, s1, 0
.LBB7_71:                               ;   in Loop: Header=BB7_29 Depth=1
	s_cmp_gt_u32 s17, 7
	s_cbranch_scc1 .LBB7_76
; %bb.72:                               ;   in Loop: Header=BB7_29 Depth=1
	v_mov_b32_e32 v20, 0
	v_mov_b32_e32 v21, 0
	s_cmp_eq_u32 s17, 0
	s_cbranch_scc1 .LBB7_75
; %bb.73:                               ;   in Loop: Header=BB7_29 Depth=1
	s_mov_b64 s[12:13], 0
	s_mov_b64 s[14:15], s[0:1]
.LBB7_74:                               ;   Parent Loop BB7_29 Depth=1
                                        ; =>  This Inner Loop Header: Depth=2
	global_load_u8 v6, v7, s[14:15]
	s_add_i32 s17, s17, -1
	s_waitcnt vmcnt(0)
	v_and_b32_e32 v6, 0xffff, v6
	s_delay_alu instid0(VALU_DEP_1)
	v_lshlrev_b64 v[22:23], s12, v[6:7]
	s_add_u32 s12, s12, 8
	s_addc_u32 s13, s13, 0
	s_add_u32 s14, s14, 1
	s_addc_u32 s15, s15, 0
	s_cmp_lg_u32 s17, 0
	v_or_b32_e32 v20, v22, v20
	v_or_b32_e32 v21, v23, v21
	s_cbranch_scc1 .LBB7_74
.LBB7_75:                               ;   in Loop: Header=BB7_29 Depth=1
	s_cbranch_execz .LBB7_77
	s_branch .LBB7_78
.LBB7_76:                               ;   in Loop: Header=BB7_29 Depth=1
.LBB7_77:                               ;   in Loop: Header=BB7_29 Depth=1
	global_load_b64 v[20:21], v7, s[0:1]
.LBB7_78:                               ;   in Loop: Header=BB7_29 Depth=1
	v_readfirstlane_b32 s0, v32
	v_mov_b32_e32 v26, 0
	v_mov_b32_e32 v27, 0
	s_delay_alu instid0(VALU_DEP_3) | instskip(NEXT) | instid1(VALU_DEP_1)
	v_cmp_eq_u32_e64 s0, s0, v32
	s_and_saveexec_b32 s1, s0
	s_cbranch_execz .LBB7_84
; %bb.79:                               ;   in Loop: Header=BB7_29 Depth=1
	global_load_b64 v[24:25], v7, s[2:3] offset:24 glc
	s_waitcnt vmcnt(0)
	buffer_gl1_inv
	buffer_gl0_inv
	s_clause 0x1
	global_load_b64 v[22:23], v7, s[2:3] offset:40
	global_load_b64 v[26:27], v7, s[2:3]
	s_mov_b32 s12, exec_lo
	s_waitcnt vmcnt(1)
	v_and_b32_e32 v6, v23, v25
	v_and_b32_e32 v22, v22, v24
	s_delay_alu instid0(VALU_DEP_2) | instskip(NEXT) | instid1(VALU_DEP_2)
	v_mul_lo_u32 v6, v6, 24
	v_mul_hi_u32 v23, v22, 24
	v_mul_lo_u32 v22, v22, 24
	s_delay_alu instid0(VALU_DEP_2) | instskip(SKIP_1) | instid1(VALU_DEP_2)
	v_add_nc_u32_e32 v6, v23, v6
	s_waitcnt vmcnt(0)
	v_add_co_u32 v22, vcc_lo, v26, v22
	s_delay_alu instid0(VALU_DEP_2)
	v_add_co_ci_u32_e32 v23, vcc_lo, v27, v6, vcc_lo
	global_load_b64 v[22:23], v[22:23], off glc
	s_waitcnt vmcnt(0)
	global_atomic_cmpswap_b64 v[26:27], v7, v[22:25], s[2:3] offset:24 glc
	s_waitcnt vmcnt(0)
	buffer_gl1_inv
	buffer_gl0_inv
	v_cmpx_ne_u64_e64 v[26:27], v[24:25]
	s_cbranch_execz .LBB7_83
; %bb.80:                               ;   in Loop: Header=BB7_29 Depth=1
	s_mov_b32 s13, 0
	.p2align	6
.LBB7_81:                               ;   Parent Loop BB7_29 Depth=1
                                        ; =>  This Inner Loop Header: Depth=2
	s_sleep 1
	s_clause 0x1
	global_load_b64 v[22:23], v7, s[2:3] offset:40
	global_load_b64 v[29:30], v7, s[2:3]
	v_dual_mov_b32 v24, v26 :: v_dual_mov_b32 v25, v27
	s_waitcnt vmcnt(1)
	s_delay_alu instid0(VALU_DEP_1) | instskip(SKIP_1) | instid1(VALU_DEP_1)
	v_and_b32_e32 v6, v22, v24
	s_waitcnt vmcnt(0)
	v_mad_u64_u32 v[26:27], null, v6, 24, v[29:30]
	v_and_b32_e32 v29, v23, v25
	s_delay_alu instid0(VALU_DEP_2) | instskip(NEXT) | instid1(VALU_DEP_1)
	v_mov_b32_e32 v6, v27
	v_mad_u64_u32 v[22:23], null, v29, 24, v[6:7]
	s_delay_alu instid0(VALU_DEP_1)
	v_mov_b32_e32 v27, v22
	global_load_b64 v[22:23], v[26:27], off glc
	s_waitcnt vmcnt(0)
	global_atomic_cmpswap_b64 v[26:27], v7, v[22:25], s[2:3] offset:24 glc
	s_waitcnt vmcnt(0)
	buffer_gl1_inv
	buffer_gl0_inv
	v_cmp_eq_u64_e32 vcc_lo, v[26:27], v[24:25]
	s_or_b32 s13, vcc_lo, s13
	s_delay_alu instid0(SALU_CYCLE_1)
	s_and_not1_b32 exec_lo, exec_lo, s13
	s_cbranch_execnz .LBB7_81
; %bb.82:                               ;   in Loop: Header=BB7_29 Depth=1
	s_or_b32 exec_lo, exec_lo, s13
.LBB7_83:                               ;   in Loop: Header=BB7_29 Depth=1
	s_delay_alu instid0(SALU_CYCLE_1)
	s_or_b32 exec_lo, exec_lo, s12
.LBB7_84:                               ;   in Loop: Header=BB7_29 Depth=1
	s_delay_alu instid0(SALU_CYCLE_1)
	s_or_b32 exec_lo, exec_lo, s1
	s_clause 0x1
	global_load_b64 v[29:30], v7, s[2:3] offset:40
	global_load_b128 v[22:25], v7, s[2:3]
	v_readfirstlane_b32 s12, v26
	v_readfirstlane_b32 s13, v27
	s_mov_b32 s1, exec_lo
	s_waitcnt vmcnt(1)
	v_readfirstlane_b32 s14, v29
	v_readfirstlane_b32 s15, v30
	s_delay_alu instid0(VALU_DEP_1) | instskip(NEXT) | instid1(SALU_CYCLE_1)
	s_and_b64 s[14:15], s[12:13], s[14:15]
	s_mul_i32 s16, s15, 24
	s_mul_hi_u32 s17, s14, 24
	s_mul_i32 s18, s14, 24
	s_add_i32 s17, s17, s16
	s_waitcnt vmcnt(0)
	v_add_co_u32 v26, vcc_lo, v22, s18
	v_add_co_ci_u32_e32 v27, vcc_lo, s17, v23, vcc_lo
	s_and_saveexec_b32 s16, s0
	s_cbranch_execz .LBB7_86
; %bb.85:                               ;   in Loop: Header=BB7_29 Depth=1
	v_mov_b32_e32 v6, s1
	global_store_b128 v[26:27], v[6:9], off offset:8
.LBB7_86:                               ;   in Loop: Header=BB7_29 Depth=1
	s_or_b32 exec_lo, exec_lo, s16
	s_lshl_b64 s[14:15], s[14:15], 12
	v_cmp_gt_u64_e64 vcc_lo, s[6:7], 56
	v_or_b32_e32 v6, 0, v1
	v_or_b32_e32 v29, v0, v28
	v_add_co_u32 v24, s1, v24, s14
	s_delay_alu instid0(VALU_DEP_1) | instskip(SKIP_1) | instid1(VALU_DEP_3)
	v_add_co_ci_u32_e64 v25, s1, s15, v25, s1
	s_lshl_b32 s1, s10, 2
	v_dual_cndmask_b32 v1, v6, v1 :: v_dual_cndmask_b32 v0, v29, v0
	s_add_i32 s1, s1, 28
	v_readfirstlane_b32 s14, v24
	s_and_b32 s1, s1, 0x1e0
	v_readfirstlane_b32 s15, v25
	v_and_or_b32 v0, 0xffffff1f, v0, s1
	s_clause 0x3
	global_store_b128 v31, v[0:3], s[14:15]
	global_store_b128 v31, v[10:13], s[14:15] offset:16
	global_store_b128 v31, v[14:17], s[14:15] offset:32
	;; [unrolled: 1-line block ×3, first 2 shown]
	s_and_saveexec_b32 s1, s0
	s_cbranch_execz .LBB7_94
; %bb.87:                               ;   in Loop: Header=BB7_29 Depth=1
	s_clause 0x1
	global_load_b64 v[14:15], v7, s[2:3] offset:32 glc
	global_load_b64 v[0:1], v7, s[2:3] offset:40
	v_dual_mov_b32 v12, s12 :: v_dual_mov_b32 v13, s13
	s_waitcnt vmcnt(0)
	v_readfirstlane_b32 s14, v0
	v_readfirstlane_b32 s15, v1
	s_delay_alu instid0(VALU_DEP_1) | instskip(NEXT) | instid1(SALU_CYCLE_1)
	s_and_b64 s[14:15], s[14:15], s[12:13]
	s_mul_i32 s15, s15, 24
	s_mul_hi_u32 s16, s14, 24
	s_mul_i32 s14, s14, 24
	s_add_i32 s16, s16, s15
	v_add_co_u32 v10, vcc_lo, v22, s14
	v_add_co_ci_u32_e32 v11, vcc_lo, s16, v23, vcc_lo
	s_mov_b32 s14, exec_lo
	global_store_b64 v[10:11], v[14:15], off
	s_waitcnt_vscnt null, 0x0
	global_atomic_cmpswap_b64 v[2:3], v7, v[12:15], s[2:3] offset:32 glc
	s_waitcnt vmcnt(0)
	v_cmpx_ne_u64_e64 v[2:3], v[14:15]
	s_cbranch_execz .LBB7_90
; %bb.88:                               ;   in Loop: Header=BB7_29 Depth=1
	s_mov_b32 s15, 0
.LBB7_89:                               ;   Parent Loop BB7_29 Depth=1
                                        ; =>  This Inner Loop Header: Depth=2
	v_dual_mov_b32 v0, s12 :: v_dual_mov_b32 v1, s13
	s_sleep 1
	global_store_b64 v[10:11], v[2:3], off
	s_waitcnt_vscnt null, 0x0
	global_atomic_cmpswap_b64 v[0:1], v7, v[0:3], s[2:3] offset:32 glc
	s_waitcnt vmcnt(0)
	v_cmp_eq_u64_e32 vcc_lo, v[0:1], v[2:3]
	v_dual_mov_b32 v3, v1 :: v_dual_mov_b32 v2, v0
	s_or_b32 s15, vcc_lo, s15
	s_delay_alu instid0(SALU_CYCLE_1)
	s_and_not1_b32 exec_lo, exec_lo, s15
	s_cbranch_execnz .LBB7_89
.LBB7_90:                               ;   in Loop: Header=BB7_29 Depth=1
	s_or_b32 exec_lo, exec_lo, s14
	global_load_b64 v[0:1], v7, s[2:3] offset:16
	s_mov_b32 s15, exec_lo
	s_mov_b32 s14, exec_lo
	v_mbcnt_lo_u32_b32 v2, s15, 0
	s_delay_alu instid0(VALU_DEP_1)
	v_cmpx_eq_u32_e32 0, v2
	s_cbranch_execz .LBB7_92
; %bb.91:                               ;   in Loop: Header=BB7_29 Depth=1
	s_bcnt1_i32_b32 s15, s15
	s_delay_alu instid0(SALU_CYCLE_1)
	v_mov_b32_e32 v6, s15
	s_waitcnt vmcnt(0)
	global_atomic_add_u64 v[0:1], v[6:7], off offset:8
.LBB7_92:                               ;   in Loop: Header=BB7_29 Depth=1
	s_or_b32 exec_lo, exec_lo, s14
	s_waitcnt vmcnt(0)
	global_load_b64 v[2:3], v[0:1], off offset:16
	s_waitcnt vmcnt(0)
	v_cmp_eq_u64_e32 vcc_lo, 0, v[2:3]
	s_cbranch_vccnz .LBB7_94
; %bb.93:                               ;   in Loop: Header=BB7_29 Depth=1
	global_load_b32 v6, v[0:1], off offset:24
	s_waitcnt vmcnt(0)
	v_and_b32_e32 v0, 0xffffff, v6
	s_waitcnt_vscnt null, 0x0
	global_store_b64 v[2:3], v[6:7], off
	v_readfirstlane_b32 m0, v0
	s_sendmsg sendmsg(MSG_INTERRUPT)
.LBB7_94:                               ;   in Loop: Header=BB7_29 Depth=1
	s_or_b32 exec_lo, exec_lo, s1
	v_add_co_u32 v0, vcc_lo, v24, v31
	v_add_co_ci_u32_e32 v1, vcc_lo, 0, v25, vcc_lo
	s_branch .LBB7_98
	.p2align	6
.LBB7_95:                               ;   in Loop: Header=BB7_98 Depth=2
	s_or_b32 exec_lo, exec_lo, s1
	s_delay_alu instid0(VALU_DEP_1) | instskip(NEXT) | instid1(VALU_DEP_1)
	v_readfirstlane_b32 s1, v2
	s_cmp_eq_u32 s1, 0
	s_cbranch_scc1 .LBB7_97
; %bb.96:                               ;   in Loop: Header=BB7_98 Depth=2
	s_sleep 1
	s_cbranch_execnz .LBB7_98
	s_branch .LBB7_100
	.p2align	6
.LBB7_97:                               ;   in Loop: Header=BB7_29 Depth=1
	s_branch .LBB7_100
.LBB7_98:                               ;   Parent Loop BB7_29 Depth=1
                                        ; =>  This Inner Loop Header: Depth=2
	v_mov_b32_e32 v2, 1
	s_and_saveexec_b32 s1, s0
	s_cbranch_execz .LBB7_95
; %bb.99:                               ;   in Loop: Header=BB7_98 Depth=2
	global_load_b32 v2, v[26:27], off offset:20 glc
	s_waitcnt vmcnt(0)
	buffer_gl1_inv
	buffer_gl0_inv
	v_and_b32_e32 v2, 1, v2
	s_branch .LBB7_95
.LBB7_100:                              ;   in Loop: Header=BB7_29 Depth=1
	global_load_b128 v[0:3], v[0:1], off
	s_and_saveexec_b32 s1, s0
	s_cbranch_execz .LBB7_28
; %bb.101:                              ;   in Loop: Header=BB7_29 Depth=1
	s_clause 0x2
	global_load_b64 v[2:3], v7, s[2:3] offset:40
	global_load_b64 v[14:15], v7, s[2:3] offset:24 glc
	global_load_b64 v[12:13], v7, s[2:3]
	s_waitcnt vmcnt(2)
	v_add_co_u32 v6, vcc_lo, v2, 1
	v_add_co_ci_u32_e32 v16, vcc_lo, 0, v3, vcc_lo
	s_delay_alu instid0(VALU_DEP_2) | instskip(NEXT) | instid1(VALU_DEP_2)
	v_add_co_u32 v10, vcc_lo, v6, s12
	v_add_co_ci_u32_e32 v11, vcc_lo, s13, v16, vcc_lo
	s_delay_alu instid0(VALU_DEP_1) | instskip(SKIP_1) | instid1(VALU_DEP_1)
	v_cmp_eq_u64_e32 vcc_lo, 0, v[10:11]
	v_dual_cndmask_b32 v11, v11, v16 :: v_dual_cndmask_b32 v10, v10, v6
	v_and_b32_e32 v3, v11, v3
	s_delay_alu instid0(VALU_DEP_2) | instskip(NEXT) | instid1(VALU_DEP_1)
	v_and_b32_e32 v2, v10, v2
	v_mul_hi_u32 v6, v2, 24
	v_mul_lo_u32 v2, v2, 24
	s_waitcnt vmcnt(0)
	s_delay_alu instid0(VALU_DEP_1) | instskip(SKIP_2) | instid1(VALU_DEP_1)
	v_add_co_u32 v2, vcc_lo, v12, v2
	v_mov_b32_e32 v12, v14
	v_mul_lo_u32 v3, v3, 24
	v_add_nc_u32_e32 v3, v6, v3
	s_delay_alu instid0(VALU_DEP_1)
	v_add_co_ci_u32_e32 v3, vcc_lo, v13, v3, vcc_lo
	v_mov_b32_e32 v13, v15
	global_store_b64 v[2:3], v[14:15], off
	s_waitcnt_vscnt null, 0x0
	global_atomic_cmpswap_b64 v[12:13], v7, v[10:13], s[2:3] offset:24 glc
	s_waitcnt vmcnt(0)
	v_cmp_ne_u64_e32 vcc_lo, v[12:13], v[14:15]
	s_and_b32 exec_lo, exec_lo, vcc_lo
	s_cbranch_execz .LBB7_28
; %bb.102:                              ;   in Loop: Header=BB7_29 Depth=1
	s_mov_b32 s0, 0
.LBB7_103:                              ;   Parent Loop BB7_29 Depth=1
                                        ; =>  This Inner Loop Header: Depth=2
	s_sleep 1
	global_store_b64 v[2:3], v[12:13], off
	s_waitcnt_vscnt null, 0x0
	global_atomic_cmpswap_b64 v[14:15], v7, v[10:13], s[2:3] offset:24 glc
	s_waitcnt vmcnt(0)
	v_cmp_eq_u64_e32 vcc_lo, v[14:15], v[12:13]
	v_dual_mov_b32 v12, v14 :: v_dual_mov_b32 v13, v15
	s_or_b32 s0, vcc_lo, s0
	s_delay_alu instid0(SALU_CYCLE_1)
	s_and_not1_b32 exec_lo, exec_lo, s0
	s_cbranch_execnz .LBB7_103
	s_branch .LBB7_28
.LBB7_104:
                                        ; implicit-def: $vgpr0_vgpr1
	s_cbranch_execnz .LBB7_106
	s_branch .LBB7_133
.LBB7_105:
	s_branch .LBB7_133
.LBB7_106:
	v_readfirstlane_b32 s0, v32
	v_mov_b32_e32 v7, 0
	v_mov_b32_e32 v8, 0
	s_delay_alu instid0(VALU_DEP_3) | instskip(NEXT) | instid1(VALU_DEP_1)
	v_cmp_eq_u32_e64 s0, s0, v32
	s_and_saveexec_b32 s1, s0
	s_cbranch_execz .LBB7_112
; %bb.107:
	s_waitcnt vmcnt(0)
	v_mov_b32_e32 v0, 0
	s_mov_b32 s4, exec_lo
	global_load_b64 v[9:10], v0, s[2:3] offset:24 glc
	s_waitcnt vmcnt(0)
	buffer_gl1_inv
	buffer_gl0_inv
	s_clause 0x1
	global_load_b64 v[1:2], v0, s[2:3] offset:40
	global_load_b64 v[6:7], v0, s[2:3]
	s_waitcnt vmcnt(1)
	v_and_b32_e32 v1, v1, v9
	v_and_b32_e32 v2, v2, v10
	s_delay_alu instid0(VALU_DEP_2) | instskip(NEXT) | instid1(VALU_DEP_2)
	v_mul_hi_u32 v3, v1, 24
	v_mul_lo_u32 v2, v2, 24
	v_mul_lo_u32 v1, v1, 24
	s_delay_alu instid0(VALU_DEP_2) | instskip(SKIP_1) | instid1(VALU_DEP_2)
	v_add_nc_u32_e32 v2, v3, v2
	s_waitcnt vmcnt(0)
	v_add_co_u32 v1, vcc_lo, v6, v1
	s_delay_alu instid0(VALU_DEP_2)
	v_add_co_ci_u32_e32 v2, vcc_lo, v7, v2, vcc_lo
	global_load_b64 v[7:8], v[1:2], off glc
	s_waitcnt vmcnt(0)
	global_atomic_cmpswap_b64 v[7:8], v0, v[7:10], s[2:3] offset:24 glc
	s_waitcnt vmcnt(0)
	buffer_gl1_inv
	buffer_gl0_inv
	v_cmpx_ne_u64_e64 v[7:8], v[9:10]
	s_cbranch_execz .LBB7_111
; %bb.108:
	s_mov_b32 s5, 0
	.p2align	6
.LBB7_109:                              ; =>This Inner Loop Header: Depth=1
	s_sleep 1
	s_clause 0x1
	global_load_b64 v[1:2], v0, s[2:3] offset:40
	global_load_b64 v[11:12], v0, s[2:3]
	v_dual_mov_b32 v10, v8 :: v_dual_mov_b32 v9, v7
	s_waitcnt vmcnt(1)
	s_delay_alu instid0(VALU_DEP_1) | instskip(SKIP_1) | instid1(VALU_DEP_1)
	v_and_b32_e32 v1, v1, v9
	s_waitcnt vmcnt(0)
	v_mad_u64_u32 v[6:7], null, v1, 24, v[11:12]
	s_delay_alu instid0(VALU_DEP_1) | instskip(NEXT) | instid1(VALU_DEP_1)
	v_dual_mov_b32 v1, v7 :: v_dual_and_b32 v8, v2, v10
	v_mad_u64_u32 v[2:3], null, v8, 24, v[1:2]
	s_delay_alu instid0(VALU_DEP_1)
	v_mov_b32_e32 v7, v2
	global_load_b64 v[7:8], v[6:7], off glc
	s_waitcnt vmcnt(0)
	global_atomic_cmpswap_b64 v[7:8], v0, v[7:10], s[2:3] offset:24 glc
	s_waitcnt vmcnt(0)
	buffer_gl1_inv
	buffer_gl0_inv
	v_cmp_eq_u64_e32 vcc_lo, v[7:8], v[9:10]
	s_or_b32 s5, vcc_lo, s5
	s_delay_alu instid0(SALU_CYCLE_1)
	s_and_not1_b32 exec_lo, exec_lo, s5
	s_cbranch_execnz .LBB7_109
; %bb.110:
	s_or_b32 exec_lo, exec_lo, s5
.LBB7_111:
	s_delay_alu instid0(SALU_CYCLE_1)
	s_or_b32 exec_lo, exec_lo, s4
.LBB7_112:
	s_delay_alu instid0(SALU_CYCLE_1)
	s_or_b32 exec_lo, exec_lo, s1
	v_mov_b32_e32 v6, 0
	v_readfirstlane_b32 s4, v7
	v_readfirstlane_b32 s5, v8
	s_mov_b32 s1, exec_lo
	s_clause 0x1
	global_load_b64 v[9:10], v6, s[2:3] offset:40
	global_load_b128 v[0:3], v6, s[2:3]
	s_waitcnt vmcnt(1)
	v_readfirstlane_b32 s6, v9
	v_readfirstlane_b32 s7, v10
	s_delay_alu instid0(VALU_DEP_1) | instskip(NEXT) | instid1(SALU_CYCLE_1)
	s_and_b64 s[6:7], s[4:5], s[6:7]
	s_mul_i32 s10, s7, 24
	s_mul_hi_u32 s11, s6, 24
	s_mul_i32 s12, s6, 24
	s_add_i32 s11, s11, s10
	s_waitcnt vmcnt(0)
	v_add_co_u32 v8, vcc_lo, v0, s12
	v_add_co_ci_u32_e32 v9, vcc_lo, s11, v1, vcc_lo
	s_and_saveexec_b32 s10, s0
	s_cbranch_execz .LBB7_114
; %bb.113:
	v_dual_mov_b32 v10, s1 :: v_dual_mov_b32 v11, v6
	v_dual_mov_b32 v12, 2 :: v_dual_mov_b32 v13, 1
	global_store_b128 v[8:9], v[10:13], off offset:8
.LBB7_114:
	s_or_b32 exec_lo, exec_lo, s10
	s_lshl_b64 s[6:7], s[6:7], 12
	s_mov_b32 s12, 0
	v_add_co_u32 v2, vcc_lo, v2, s6
	v_add_co_ci_u32_e32 v3, vcc_lo, s7, v3, vcc_lo
	s_mov_b32 s13, s12
	s_delay_alu instid0(VALU_DEP_2)
	v_add_co_u32 v10, vcc_lo, v2, v31
	s_mov_b32 s14, s12
	s_mov_b32 s15, s12
	v_and_or_b32 v4, 0xffffff1f, v4, 32
	v_dual_mov_b32 v7, v6 :: v_dual_mov_b32 v12, s12
	v_readfirstlane_b32 s6, v2
	v_readfirstlane_b32 s7, v3
	v_add_co_ci_u32_e32 v11, vcc_lo, 0, v3, vcc_lo
	v_dual_mov_b32 v13, s13 :: v_dual_mov_b32 v14, s14
	v_mov_b32_e32 v15, s15
	s_clause 0x3
	global_store_b128 v31, v[4:7], s[6:7]
	global_store_b128 v31, v[12:15], s[6:7] offset:16
	global_store_b128 v31, v[12:15], s[6:7] offset:32
	global_store_b128 v31, v[12:15], s[6:7] offset:48
	s_and_saveexec_b32 s1, s0
	s_cbranch_execz .LBB7_122
; %bb.115:
	v_dual_mov_b32 v6, 0 :: v_dual_mov_b32 v13, s5
	v_mov_b32_e32 v12, s4
	s_clause 0x1
	global_load_b64 v[14:15], v6, s[2:3] offset:32 glc
	global_load_b64 v[2:3], v6, s[2:3] offset:40
	s_waitcnt vmcnt(0)
	v_readfirstlane_b32 s6, v2
	v_readfirstlane_b32 s7, v3
	s_delay_alu instid0(VALU_DEP_1) | instskip(NEXT) | instid1(SALU_CYCLE_1)
	s_and_b64 s[6:7], s[6:7], s[4:5]
	s_mul_i32 s7, s7, 24
	s_mul_hi_u32 s10, s6, 24
	s_mul_i32 s6, s6, 24
	s_add_i32 s10, s10, s7
	v_add_co_u32 v4, vcc_lo, v0, s6
	v_add_co_ci_u32_e32 v5, vcc_lo, s10, v1, vcc_lo
	s_mov_b32 s6, exec_lo
	global_store_b64 v[4:5], v[14:15], off
	s_waitcnt_vscnt null, 0x0
	global_atomic_cmpswap_b64 v[2:3], v6, v[12:15], s[2:3] offset:32 glc
	s_waitcnt vmcnt(0)
	v_cmpx_ne_u64_e64 v[2:3], v[14:15]
	s_cbranch_execz .LBB7_118
; %bb.116:
	s_mov_b32 s7, 0
.LBB7_117:                              ; =>This Inner Loop Header: Depth=1
	v_dual_mov_b32 v0, s4 :: v_dual_mov_b32 v1, s5
	s_sleep 1
	global_store_b64 v[4:5], v[2:3], off
	s_waitcnt_vscnt null, 0x0
	global_atomic_cmpswap_b64 v[0:1], v6, v[0:3], s[2:3] offset:32 glc
	s_waitcnt vmcnt(0)
	v_cmp_eq_u64_e32 vcc_lo, v[0:1], v[2:3]
	v_dual_mov_b32 v3, v1 :: v_dual_mov_b32 v2, v0
	s_or_b32 s7, vcc_lo, s7
	s_delay_alu instid0(SALU_CYCLE_1)
	s_and_not1_b32 exec_lo, exec_lo, s7
	s_cbranch_execnz .LBB7_117
.LBB7_118:
	s_or_b32 exec_lo, exec_lo, s6
	v_mov_b32_e32 v3, 0
	s_mov_b32 s7, exec_lo
	s_mov_b32 s6, exec_lo
	v_mbcnt_lo_u32_b32 v2, s7, 0
	global_load_b64 v[0:1], v3, s[2:3] offset:16
	v_cmpx_eq_u32_e32 0, v2
	s_cbranch_execz .LBB7_120
; %bb.119:
	s_bcnt1_i32_b32 s7, s7
	s_delay_alu instid0(SALU_CYCLE_1)
	v_mov_b32_e32 v2, s7
	s_waitcnt vmcnt(0)
	global_atomic_add_u64 v[0:1], v[2:3], off offset:8
.LBB7_120:
	s_or_b32 exec_lo, exec_lo, s6
	s_waitcnt vmcnt(0)
	global_load_b64 v[2:3], v[0:1], off offset:16
	s_waitcnt vmcnt(0)
	v_cmp_eq_u64_e32 vcc_lo, 0, v[2:3]
	s_cbranch_vccnz .LBB7_122
; %bb.121:
	global_load_b32 v0, v[0:1], off offset:24
	s_waitcnt vmcnt(0)
	v_dual_mov_b32 v1, 0 :: v_dual_and_b32 v4, 0xffffff, v0
	s_waitcnt_vscnt null, 0x0
	global_store_b64 v[2:3], v[0:1], off
	v_readfirstlane_b32 m0, v4
	s_sendmsg sendmsg(MSG_INTERRUPT)
.LBB7_122:
	s_or_b32 exec_lo, exec_lo, s1
	s_branch .LBB7_126
	.p2align	6
.LBB7_123:                              ;   in Loop: Header=BB7_126 Depth=1
	s_or_b32 exec_lo, exec_lo, s1
	s_delay_alu instid0(VALU_DEP_1) | instskip(NEXT) | instid1(VALU_DEP_1)
	v_readfirstlane_b32 s1, v0
	s_cmp_eq_u32 s1, 0
	s_cbranch_scc1 .LBB7_125
; %bb.124:                              ;   in Loop: Header=BB7_126 Depth=1
	s_sleep 1
	s_cbranch_execnz .LBB7_126
	s_branch .LBB7_128
	.p2align	6
.LBB7_125:
	s_branch .LBB7_128
.LBB7_126:                              ; =>This Inner Loop Header: Depth=1
	v_mov_b32_e32 v0, 1
	s_and_saveexec_b32 s1, s0
	s_cbranch_execz .LBB7_123
; %bb.127:                              ;   in Loop: Header=BB7_126 Depth=1
	global_load_b32 v0, v[8:9], off offset:20 glc
	s_waitcnt vmcnt(0)
	buffer_gl1_inv
	buffer_gl0_inv
	v_and_b32_e32 v0, 1, v0
	s_branch .LBB7_123
.LBB7_128:
	global_load_b64 v[0:1], v[10:11], off
	s_and_saveexec_b32 s1, s0
	s_cbranch_execz .LBB7_132
; %bb.129:
	v_mov_b32_e32 v8, 0
	s_clause 0x2
	global_load_b64 v[4:5], v8, s[2:3] offset:40
	global_load_b64 v[9:10], v8, s[2:3] offset:24 glc
	global_load_b64 v[6:7], v8, s[2:3]
	s_waitcnt vmcnt(2)
	v_add_co_u32 v11, vcc_lo, v4, 1
	v_add_co_ci_u32_e32 v12, vcc_lo, 0, v5, vcc_lo
	s_delay_alu instid0(VALU_DEP_2) | instskip(NEXT) | instid1(VALU_DEP_2)
	v_add_co_u32 v2, vcc_lo, v11, s4
	v_add_co_ci_u32_e32 v3, vcc_lo, s5, v12, vcc_lo
	s_delay_alu instid0(VALU_DEP_1) | instskip(SKIP_1) | instid1(VALU_DEP_1)
	v_cmp_eq_u64_e32 vcc_lo, 0, v[2:3]
	v_dual_cndmask_b32 v3, v3, v12 :: v_dual_cndmask_b32 v2, v2, v11
	v_and_b32_e32 v5, v3, v5
	s_delay_alu instid0(VALU_DEP_2) | instskip(NEXT) | instid1(VALU_DEP_2)
	v_and_b32_e32 v4, v2, v4
	v_mul_lo_u32 v5, v5, 24
	s_delay_alu instid0(VALU_DEP_2) | instskip(SKIP_1) | instid1(VALU_DEP_2)
	v_mul_hi_u32 v11, v4, 24
	v_mul_lo_u32 v4, v4, 24
	v_add_nc_u32_e32 v5, v11, v5
	s_waitcnt vmcnt(0)
	s_delay_alu instid0(VALU_DEP_2) | instskip(SKIP_1) | instid1(VALU_DEP_3)
	v_add_co_u32 v6, vcc_lo, v6, v4
	v_mov_b32_e32 v4, v9
	v_add_co_ci_u32_e32 v7, vcc_lo, v7, v5, vcc_lo
	v_mov_b32_e32 v5, v10
	global_store_b64 v[6:7], v[9:10], off
	s_waitcnt_vscnt null, 0x0
	global_atomic_cmpswap_b64 v[4:5], v8, v[2:5], s[2:3] offset:24 glc
	s_waitcnt vmcnt(0)
	v_cmp_ne_u64_e32 vcc_lo, v[4:5], v[9:10]
	s_and_b32 exec_lo, exec_lo, vcc_lo
	s_cbranch_execz .LBB7_132
; %bb.130:
	s_mov_b32 s0, 0
.LBB7_131:                              ; =>This Inner Loop Header: Depth=1
	s_sleep 1
	global_store_b64 v[6:7], v[4:5], off
	s_waitcnt_vscnt null, 0x0
	global_atomic_cmpswap_b64 v[9:10], v8, v[2:5], s[2:3] offset:24 glc
	s_waitcnt vmcnt(0)
	v_cmp_eq_u64_e32 vcc_lo, v[9:10], v[4:5]
	v_dual_mov_b32 v4, v9 :: v_dual_mov_b32 v5, v10
	s_or_b32 s0, vcc_lo, s0
	s_delay_alu instid0(SALU_CYCLE_1)
	s_and_not1_b32 exec_lo, exec_lo, s0
	s_cbranch_execnz .LBB7_131
.LBB7_132:
	s_or_b32 exec_lo, exec_lo, s1
.LBB7_133:
	s_getpc_b64 s[0:1]
	s_add_u32 s0, s0, .str.1@rel32@lo+4
	s_addc_u32 s1, s1, .str.1@rel32@hi+12
	s_mov_b64 s[4:5], 0
	s_cmp_lg_u64 s[0:1], 0
	s_cselect_b32 s6, -1, 0
	s_cmp_eq_u64 s[0:1], 0
	s_cbranch_scc1 .LBB7_137
; %bb.134:
	s_waitcnt vmcnt(0)
	v_mov_b32_e32 v2, 0
	s_getpc_b64 s[0:1]
	s_add_u32 s0, s0, .str.1@rel32@lo+3
	s_addc_u32 s1, s1, .str.1@rel32@hi+11
.LBB7_135:                              ; =>This Inner Loop Header: Depth=1
	global_load_u8 v3, v2, s[0:1] offset:1
	s_add_u32 s4, s0, 1
	s_addc_u32 s5, s1, 0
	s_delay_alu instid0(SALU_CYCLE_1)
	s_mov_b64 s[0:1], s[4:5]
	s_waitcnt vmcnt(0)
	v_cmp_ne_u16_e32 vcc_lo, 0, v3
	s_cbranch_vccnz .LBB7_135
; %bb.136:
	s_getpc_b64 s[0:1]
	s_add_u32 s0, s0, .str.1@rel32@lo+4
	s_addc_u32 s1, s1, .str.1@rel32@hi+12
	s_sub_u32 s0, s4, s0
	s_subb_u32 s1, s5, s1
	s_add_u32 s4, s0, 1
	s_addc_u32 s5, s1, 0
.LBB7_137:
	s_and_b32 vcc_lo, exec_lo, s6
	s_cbranch_vccz .LBB7_215
; %bb.138:
	s_waitcnt vmcnt(0)
	v_dual_mov_b32 v6, 0 :: v_dual_and_b32 v33, 2, v0
	v_dual_mov_b32 v3, v1 :: v_dual_and_b32 v2, -3, v0
	v_dual_mov_b32 v7, 2 :: v_dual_mov_b32 v8, 1
	s_getpc_b64 s[6:7]
	s_add_u32 s6, s6, .str.1@rel32@lo+4
	s_addc_u32 s7, s7, .str.1@rel32@hi+12
	s_branch .LBB7_140
.LBB7_139:                              ;   in Loop: Header=BB7_140 Depth=1
	s_or_b32 exec_lo, exec_lo, s1
	s_sub_u32 s4, s4, s10
	s_subb_u32 s5, s5, s11
	s_add_u32 s6, s6, s10
	s_addc_u32 s7, s7, s11
	s_cmp_lg_u64 s[4:5], 0
	s_cbranch_scc0 .LBB7_216
.LBB7_140:                              ; =>This Loop Header: Depth=1
                                        ;     Child Loop BB7_149 Depth 2
                                        ;     Child Loop BB7_145 Depth 2
	;; [unrolled: 1-line block ×11, first 2 shown]
	v_cmp_lt_u64_e64 s0, s[4:5], 56
	v_cmp_gt_u64_e64 s1, s[4:5], 7
                                        ; implicit-def: $vgpr11_vgpr12
                                        ; implicit-def: $sgpr16
	s_delay_alu instid0(VALU_DEP_2) | instskip(SKIP_2) | instid1(VALU_DEP_1)
	s_and_b32 s0, s0, exec_lo
	s_cselect_b32 s11, s5, 0
	s_cselect_b32 s10, s4, 56
	s_and_b32 vcc_lo, exec_lo, s1
	s_mov_b32 s0, -1
	s_cbranch_vccz .LBB7_147
; %bb.141:                              ;   in Loop: Header=BB7_140 Depth=1
	s_and_not1_b32 vcc_lo, exec_lo, s0
	s_mov_b64 s[0:1], s[6:7]
	s_cbranch_vccz .LBB7_151
.LBB7_142:                              ;   in Loop: Header=BB7_140 Depth=1
	s_cmp_gt_u32 s16, 7
	s_cbranch_scc1 .LBB7_152
.LBB7_143:                              ;   in Loop: Header=BB7_140 Depth=1
	v_mov_b32_e32 v13, 0
	v_mov_b32_e32 v14, 0
	s_cmp_eq_u32 s16, 0
	s_cbranch_scc1 .LBB7_146
; %bb.144:                              ;   in Loop: Header=BB7_140 Depth=1
	s_mov_b64 s[12:13], 0
	s_mov_b64 s[14:15], 0
.LBB7_145:                              ;   Parent Loop BB7_140 Depth=1
                                        ; =>  This Inner Loop Header: Depth=2
	s_delay_alu instid0(SALU_CYCLE_1)
	s_add_u32 s18, s0, s14
	s_addc_u32 s19, s1, s15
	s_add_u32 s14, s14, 1
	global_load_u8 v4, v6, s[18:19]
	s_addc_u32 s15, s15, 0
	s_waitcnt vmcnt(0)
	v_and_b32_e32 v5, 0xffff, v4
	s_delay_alu instid0(VALU_DEP_1) | instskip(SKIP_3) | instid1(VALU_DEP_1)
	v_lshlrev_b64 v[4:5], s12, v[5:6]
	s_add_u32 s12, s12, 8
	s_addc_u32 s13, s13, 0
	s_cmp_lg_u32 s16, s14
	v_or_b32_e32 v13, v4, v13
	s_delay_alu instid0(VALU_DEP_2)
	v_or_b32_e32 v14, v5, v14
	s_cbranch_scc1 .LBB7_145
.LBB7_146:                              ;   in Loop: Header=BB7_140 Depth=1
	s_mov_b32 s17, 0
	s_cbranch_execz .LBB7_153
	s_branch .LBB7_154
.LBB7_147:                              ;   in Loop: Header=BB7_140 Depth=1
	v_mov_b32_e32 v11, 0
	v_mov_b32_e32 v12, 0
	s_cmp_eq_u64 s[4:5], 0
	s_mov_b64 s[0:1], 0
	s_cbranch_scc1 .LBB7_150
; %bb.148:                              ;   in Loop: Header=BB7_140 Depth=1
	v_mov_b32_e32 v11, 0
	v_mov_b32_e32 v12, 0
	s_lshl_b64 s[12:13], s[10:11], 3
	s_mov_b64 s[14:15], s[6:7]
.LBB7_149:                              ;   Parent Loop BB7_140 Depth=1
                                        ; =>  This Inner Loop Header: Depth=2
	global_load_u8 v4, v6, s[14:15]
	s_waitcnt vmcnt(0)
	v_and_b32_e32 v5, 0xffff, v4
	s_delay_alu instid0(VALU_DEP_1)
	v_lshlrev_b64 v[4:5], s0, v[5:6]
	s_add_u32 s0, s0, 8
	s_addc_u32 s1, s1, 0
	s_add_u32 s14, s14, 1
	s_addc_u32 s15, s15, 0
	s_cmp_lg_u32 s12, s0
	v_or_b32_e32 v11, v4, v11
	v_or_b32_e32 v12, v5, v12
	s_cbranch_scc1 .LBB7_149
.LBB7_150:                              ;   in Loop: Header=BB7_140 Depth=1
	s_mov_b32 s16, 0
	s_mov_b64 s[0:1], s[6:7]
	s_cbranch_execnz .LBB7_142
.LBB7_151:                              ;   in Loop: Header=BB7_140 Depth=1
	global_load_b64 v[11:12], v6, s[6:7]
	s_add_i32 s16, s10, -8
	s_add_u32 s0, s6, 8
	s_addc_u32 s1, s7, 0
	s_cmp_gt_u32 s16, 7
	s_cbranch_scc0 .LBB7_143
.LBB7_152:                              ;   in Loop: Header=BB7_140 Depth=1
                                        ; implicit-def: $vgpr13_vgpr14
                                        ; implicit-def: $sgpr17
.LBB7_153:                              ;   in Loop: Header=BB7_140 Depth=1
	global_load_b64 v[13:14], v6, s[0:1]
	s_add_i32 s17, s16, -8
	s_add_u32 s0, s0, 8
	s_addc_u32 s1, s1, 0
.LBB7_154:                              ;   in Loop: Header=BB7_140 Depth=1
	s_cmp_gt_u32 s17, 7
	s_cbranch_scc1 .LBB7_159
; %bb.155:                              ;   in Loop: Header=BB7_140 Depth=1
	v_mov_b32_e32 v15, 0
	v_mov_b32_e32 v16, 0
	s_cmp_eq_u32 s17, 0
	s_cbranch_scc1 .LBB7_158
; %bb.156:                              ;   in Loop: Header=BB7_140 Depth=1
	s_mov_b64 s[12:13], 0
	s_mov_b64 s[14:15], 0
.LBB7_157:                              ;   Parent Loop BB7_140 Depth=1
                                        ; =>  This Inner Loop Header: Depth=2
	s_delay_alu instid0(SALU_CYCLE_1)
	s_add_u32 s18, s0, s14
	s_addc_u32 s19, s1, s15
	s_add_u32 s14, s14, 1
	global_load_u8 v4, v6, s[18:19]
	s_addc_u32 s15, s15, 0
	s_waitcnt vmcnt(0)
	v_and_b32_e32 v5, 0xffff, v4
	s_delay_alu instid0(VALU_DEP_1) | instskip(SKIP_3) | instid1(VALU_DEP_1)
	v_lshlrev_b64 v[4:5], s12, v[5:6]
	s_add_u32 s12, s12, 8
	s_addc_u32 s13, s13, 0
	s_cmp_lg_u32 s17, s14
	v_or_b32_e32 v15, v4, v15
	s_delay_alu instid0(VALU_DEP_2)
	v_or_b32_e32 v16, v5, v16
	s_cbranch_scc1 .LBB7_157
.LBB7_158:                              ;   in Loop: Header=BB7_140 Depth=1
	s_mov_b32 s16, 0
	s_cbranch_execz .LBB7_160
	s_branch .LBB7_161
.LBB7_159:                              ;   in Loop: Header=BB7_140 Depth=1
                                        ; implicit-def: $sgpr16
.LBB7_160:                              ;   in Loop: Header=BB7_140 Depth=1
	global_load_b64 v[15:16], v6, s[0:1]
	s_add_i32 s16, s17, -8
	s_add_u32 s0, s0, 8
	s_addc_u32 s1, s1, 0
.LBB7_161:                              ;   in Loop: Header=BB7_140 Depth=1
	s_cmp_gt_u32 s16, 7
	s_cbranch_scc1 .LBB7_166
; %bb.162:                              ;   in Loop: Header=BB7_140 Depth=1
	v_mov_b32_e32 v17, 0
	v_mov_b32_e32 v18, 0
	s_cmp_eq_u32 s16, 0
	s_cbranch_scc1 .LBB7_165
; %bb.163:                              ;   in Loop: Header=BB7_140 Depth=1
	s_mov_b64 s[12:13], 0
	s_mov_b64 s[14:15], 0
.LBB7_164:                              ;   Parent Loop BB7_140 Depth=1
                                        ; =>  This Inner Loop Header: Depth=2
	s_delay_alu instid0(SALU_CYCLE_1)
	s_add_u32 s18, s0, s14
	s_addc_u32 s19, s1, s15
	s_add_u32 s14, s14, 1
	global_load_u8 v4, v6, s[18:19]
	s_addc_u32 s15, s15, 0
	s_waitcnt vmcnt(0)
	v_and_b32_e32 v5, 0xffff, v4
	s_delay_alu instid0(VALU_DEP_1) | instskip(SKIP_3) | instid1(VALU_DEP_1)
	v_lshlrev_b64 v[4:5], s12, v[5:6]
	s_add_u32 s12, s12, 8
	s_addc_u32 s13, s13, 0
	s_cmp_lg_u32 s16, s14
	v_or_b32_e32 v17, v4, v17
	s_delay_alu instid0(VALU_DEP_2)
	v_or_b32_e32 v18, v5, v18
	s_cbranch_scc1 .LBB7_164
.LBB7_165:                              ;   in Loop: Header=BB7_140 Depth=1
	s_mov_b32 s17, 0
	s_cbranch_execz .LBB7_167
	s_branch .LBB7_168
.LBB7_166:                              ;   in Loop: Header=BB7_140 Depth=1
                                        ; implicit-def: $vgpr17_vgpr18
                                        ; implicit-def: $sgpr17
.LBB7_167:                              ;   in Loop: Header=BB7_140 Depth=1
	global_load_b64 v[17:18], v6, s[0:1]
	s_add_i32 s17, s16, -8
	s_add_u32 s0, s0, 8
	s_addc_u32 s1, s1, 0
.LBB7_168:                              ;   in Loop: Header=BB7_140 Depth=1
	s_cmp_gt_u32 s17, 7
	s_cbranch_scc1 .LBB7_173
; %bb.169:                              ;   in Loop: Header=BB7_140 Depth=1
	v_mov_b32_e32 v19, 0
	v_mov_b32_e32 v20, 0
	s_cmp_eq_u32 s17, 0
	s_cbranch_scc1 .LBB7_172
; %bb.170:                              ;   in Loop: Header=BB7_140 Depth=1
	s_mov_b64 s[12:13], 0
	s_mov_b64 s[14:15], 0
.LBB7_171:                              ;   Parent Loop BB7_140 Depth=1
                                        ; =>  This Inner Loop Header: Depth=2
	s_delay_alu instid0(SALU_CYCLE_1)
	s_add_u32 s18, s0, s14
	s_addc_u32 s19, s1, s15
	s_add_u32 s14, s14, 1
	global_load_u8 v4, v6, s[18:19]
	s_addc_u32 s15, s15, 0
	s_waitcnt vmcnt(0)
	v_and_b32_e32 v5, 0xffff, v4
	s_delay_alu instid0(VALU_DEP_1) | instskip(SKIP_3) | instid1(VALU_DEP_1)
	v_lshlrev_b64 v[4:5], s12, v[5:6]
	s_add_u32 s12, s12, 8
	s_addc_u32 s13, s13, 0
	s_cmp_lg_u32 s17, s14
	v_or_b32_e32 v19, v4, v19
	s_delay_alu instid0(VALU_DEP_2)
	v_or_b32_e32 v20, v5, v20
	s_cbranch_scc1 .LBB7_171
.LBB7_172:                              ;   in Loop: Header=BB7_140 Depth=1
	s_mov_b32 s16, 0
	s_cbranch_execz .LBB7_174
	s_branch .LBB7_175
.LBB7_173:                              ;   in Loop: Header=BB7_140 Depth=1
                                        ; implicit-def: $sgpr16
.LBB7_174:                              ;   in Loop: Header=BB7_140 Depth=1
	global_load_b64 v[19:20], v6, s[0:1]
	s_add_i32 s16, s17, -8
	s_add_u32 s0, s0, 8
	s_addc_u32 s1, s1, 0
.LBB7_175:                              ;   in Loop: Header=BB7_140 Depth=1
	s_cmp_gt_u32 s16, 7
	s_cbranch_scc1 .LBB7_180
; %bb.176:                              ;   in Loop: Header=BB7_140 Depth=1
	v_mov_b32_e32 v21, 0
	v_mov_b32_e32 v22, 0
	s_cmp_eq_u32 s16, 0
	s_cbranch_scc1 .LBB7_179
; %bb.177:                              ;   in Loop: Header=BB7_140 Depth=1
	s_mov_b64 s[12:13], 0
	s_mov_b64 s[14:15], 0
.LBB7_178:                              ;   Parent Loop BB7_140 Depth=1
                                        ; =>  This Inner Loop Header: Depth=2
	s_delay_alu instid0(SALU_CYCLE_1)
	s_add_u32 s18, s0, s14
	s_addc_u32 s19, s1, s15
	s_add_u32 s14, s14, 1
	global_load_u8 v4, v6, s[18:19]
	s_addc_u32 s15, s15, 0
	s_waitcnt vmcnt(0)
	v_and_b32_e32 v5, 0xffff, v4
	s_delay_alu instid0(VALU_DEP_1) | instskip(SKIP_3) | instid1(VALU_DEP_1)
	v_lshlrev_b64 v[4:5], s12, v[5:6]
	s_add_u32 s12, s12, 8
	s_addc_u32 s13, s13, 0
	s_cmp_lg_u32 s16, s14
	v_or_b32_e32 v21, v4, v21
	s_delay_alu instid0(VALU_DEP_2)
	v_or_b32_e32 v22, v5, v22
	s_cbranch_scc1 .LBB7_178
.LBB7_179:                              ;   in Loop: Header=BB7_140 Depth=1
	s_mov_b32 s17, 0
	s_cbranch_execz .LBB7_181
	s_branch .LBB7_182
.LBB7_180:                              ;   in Loop: Header=BB7_140 Depth=1
                                        ; implicit-def: $vgpr21_vgpr22
                                        ; implicit-def: $sgpr17
.LBB7_181:                              ;   in Loop: Header=BB7_140 Depth=1
	global_load_b64 v[21:22], v6, s[0:1]
	s_add_i32 s17, s16, -8
	s_add_u32 s0, s0, 8
	s_addc_u32 s1, s1, 0
.LBB7_182:                              ;   in Loop: Header=BB7_140 Depth=1
	s_cmp_gt_u32 s17, 7
	s_cbranch_scc1 .LBB7_187
; %bb.183:                              ;   in Loop: Header=BB7_140 Depth=1
	v_mov_b32_e32 v23, 0
	v_mov_b32_e32 v24, 0
	s_cmp_eq_u32 s17, 0
	s_cbranch_scc1 .LBB7_186
; %bb.184:                              ;   in Loop: Header=BB7_140 Depth=1
	s_mov_b64 s[12:13], 0
	s_mov_b64 s[14:15], s[0:1]
.LBB7_185:                              ;   Parent Loop BB7_140 Depth=1
                                        ; =>  This Inner Loop Header: Depth=2
	global_load_u8 v4, v6, s[14:15]
	s_add_i32 s17, s17, -1
	s_waitcnt vmcnt(0)
	v_and_b32_e32 v5, 0xffff, v4
	s_delay_alu instid0(VALU_DEP_1)
	v_lshlrev_b64 v[4:5], s12, v[5:6]
	s_add_u32 s12, s12, 8
	s_addc_u32 s13, s13, 0
	s_add_u32 s14, s14, 1
	s_addc_u32 s15, s15, 0
	s_cmp_lg_u32 s17, 0
	v_or_b32_e32 v23, v4, v23
	v_or_b32_e32 v24, v5, v24
	s_cbranch_scc1 .LBB7_185
.LBB7_186:                              ;   in Loop: Header=BB7_140 Depth=1
	s_cbranch_execz .LBB7_188
	s_branch .LBB7_189
.LBB7_187:                              ;   in Loop: Header=BB7_140 Depth=1
.LBB7_188:                              ;   in Loop: Header=BB7_140 Depth=1
	global_load_b64 v[23:24], v6, s[0:1]
.LBB7_189:                              ;   in Loop: Header=BB7_140 Depth=1
	v_readfirstlane_b32 s0, v32
	s_waitcnt vmcnt(0)
	v_mov_b32_e32 v4, 0
	v_mov_b32_e32 v5, 0
	s_delay_alu instid0(VALU_DEP_3) | instskip(NEXT) | instid1(VALU_DEP_1)
	v_cmp_eq_u32_e64 s0, s0, v32
	s_and_saveexec_b32 s1, s0
	s_cbranch_execz .LBB7_195
; %bb.190:                              ;   in Loop: Header=BB7_140 Depth=1
	global_load_b64 v[27:28], v6, s[2:3] offset:24 glc
	s_waitcnt vmcnt(0)
	buffer_gl1_inv
	buffer_gl0_inv
	s_clause 0x1
	global_load_b64 v[4:5], v6, s[2:3] offset:40
	global_load_b64 v[9:10], v6, s[2:3]
	s_mov_b32 s12, exec_lo
	s_waitcnt vmcnt(1)
	v_and_b32_e32 v5, v5, v28
	v_and_b32_e32 v4, v4, v27
	s_delay_alu instid0(VALU_DEP_2) | instskip(NEXT) | instid1(VALU_DEP_2)
	v_mul_lo_u32 v5, v5, 24
	v_mul_hi_u32 v25, v4, 24
	v_mul_lo_u32 v4, v4, 24
	s_delay_alu instid0(VALU_DEP_2) | instskip(SKIP_1) | instid1(VALU_DEP_2)
	v_add_nc_u32_e32 v5, v25, v5
	s_waitcnt vmcnt(0)
	v_add_co_u32 v4, vcc_lo, v9, v4
	s_delay_alu instid0(VALU_DEP_2)
	v_add_co_ci_u32_e32 v5, vcc_lo, v10, v5, vcc_lo
	global_load_b64 v[25:26], v[4:5], off glc
	s_waitcnt vmcnt(0)
	global_atomic_cmpswap_b64 v[4:5], v6, v[25:28], s[2:3] offset:24 glc
	s_waitcnt vmcnt(0)
	buffer_gl1_inv
	buffer_gl0_inv
	v_cmpx_ne_u64_e64 v[4:5], v[27:28]
	s_cbranch_execz .LBB7_194
; %bb.191:                              ;   in Loop: Header=BB7_140 Depth=1
	s_mov_b32 s13, 0
	.p2align	6
.LBB7_192:                              ;   Parent Loop BB7_140 Depth=1
                                        ; =>  This Inner Loop Header: Depth=2
	s_sleep 1
	s_clause 0x1
	global_load_b64 v[9:10], v6, s[2:3] offset:40
	global_load_b64 v[25:26], v6, s[2:3]
	v_dual_mov_b32 v28, v5 :: v_dual_mov_b32 v27, v4
	s_waitcnt vmcnt(1)
	s_delay_alu instid0(VALU_DEP_1) | instskip(SKIP_1) | instid1(VALU_DEP_1)
	v_and_b32_e32 v9, v9, v27
	s_waitcnt vmcnt(0)
	v_mad_u64_u32 v[4:5], null, v9, 24, v[25:26]
	v_and_b32_e32 v25, v10, v28
	s_delay_alu instid0(VALU_DEP_1) | instskip(NEXT) | instid1(VALU_DEP_1)
	v_mad_u64_u32 v[9:10], null, v25, 24, v[5:6]
	v_mov_b32_e32 v5, v9
	global_load_b64 v[25:26], v[4:5], off glc
	s_waitcnt vmcnt(0)
	global_atomic_cmpswap_b64 v[4:5], v6, v[25:28], s[2:3] offset:24 glc
	s_waitcnt vmcnt(0)
	buffer_gl1_inv
	buffer_gl0_inv
	v_cmp_eq_u64_e32 vcc_lo, v[4:5], v[27:28]
	s_or_b32 s13, vcc_lo, s13
	s_delay_alu instid0(SALU_CYCLE_1)
	s_and_not1_b32 exec_lo, exec_lo, s13
	s_cbranch_execnz .LBB7_192
; %bb.193:                              ;   in Loop: Header=BB7_140 Depth=1
	s_or_b32 exec_lo, exec_lo, s13
.LBB7_194:                              ;   in Loop: Header=BB7_140 Depth=1
	s_delay_alu instid0(SALU_CYCLE_1)
	s_or_b32 exec_lo, exec_lo, s12
.LBB7_195:                              ;   in Loop: Header=BB7_140 Depth=1
	s_delay_alu instid0(SALU_CYCLE_1)
	s_or_b32 exec_lo, exec_lo, s1
	s_clause 0x1
	global_load_b64 v[9:10], v6, s[2:3] offset:40
	global_load_b128 v[25:28], v6, s[2:3]
	v_readfirstlane_b32 s12, v4
	v_readfirstlane_b32 s13, v5
	s_mov_b32 s1, exec_lo
	s_waitcnt vmcnt(1)
	v_readfirstlane_b32 s14, v9
	v_readfirstlane_b32 s15, v10
	s_delay_alu instid0(VALU_DEP_1) | instskip(NEXT) | instid1(SALU_CYCLE_1)
	s_and_b64 s[14:15], s[12:13], s[14:15]
	s_mul_i32 s16, s15, 24
	s_mul_hi_u32 s17, s14, 24
	s_mul_i32 s18, s14, 24
	s_add_i32 s17, s17, s16
	s_waitcnt vmcnt(0)
	v_add_co_u32 v29, vcc_lo, v25, s18
	v_add_co_ci_u32_e32 v30, vcc_lo, s17, v26, vcc_lo
	s_and_saveexec_b32 s16, s0
	s_cbranch_execz .LBB7_197
; %bb.196:                              ;   in Loop: Header=BB7_140 Depth=1
	v_mov_b32_e32 v5, s1
	global_store_b128 v[29:30], v[5:8], off offset:8
.LBB7_197:                              ;   in Loop: Header=BB7_140 Depth=1
	s_or_b32 exec_lo, exec_lo, s16
	s_lshl_b64 s[14:15], s[14:15], 12
	v_cmp_gt_u64_e64 vcc_lo, s[4:5], 56
	v_or_b32_e32 v5, v2, v33
	v_add_co_u32 v27, s1, v27, s14
	s_delay_alu instid0(VALU_DEP_1)
	v_add_co_ci_u32_e64 v28, s1, s15, v28, s1
	s_lshl_b32 s1, s10, 2
	v_or_b32_e32 v4, 0, v3
	v_cndmask_b32_e32 v2, v5, v2, vcc_lo
	s_add_i32 s1, s1, 28
	v_readfirstlane_b32 s14, v27
	s_and_b32 s1, s1, 0x1e0
	v_cndmask_b32_e32 v10, v4, v3, vcc_lo
	v_readfirstlane_b32 s15, v28
	v_and_or_b32 v9, 0xffffff1f, v2, s1
	s_clause 0x3
	global_store_b128 v31, v[9:12], s[14:15]
	global_store_b128 v31, v[13:16], s[14:15] offset:16
	global_store_b128 v31, v[17:20], s[14:15] offset:32
	;; [unrolled: 1-line block ×3, first 2 shown]
	s_and_saveexec_b32 s1, s0
	s_cbranch_execz .LBB7_205
; %bb.198:                              ;   in Loop: Header=BB7_140 Depth=1
	s_clause 0x1
	global_load_b64 v[13:14], v6, s[2:3] offset:32 glc
	global_load_b64 v[2:3], v6, s[2:3] offset:40
	v_dual_mov_b32 v11, s12 :: v_dual_mov_b32 v12, s13
	s_waitcnt vmcnt(0)
	v_readfirstlane_b32 s14, v2
	v_readfirstlane_b32 s15, v3
	s_delay_alu instid0(VALU_DEP_1) | instskip(NEXT) | instid1(SALU_CYCLE_1)
	s_and_b64 s[14:15], s[14:15], s[12:13]
	s_mul_i32 s15, s15, 24
	s_mul_hi_u32 s16, s14, 24
	s_mul_i32 s14, s14, 24
	s_add_i32 s16, s16, s15
	v_add_co_u32 v9, vcc_lo, v25, s14
	v_add_co_ci_u32_e32 v10, vcc_lo, s16, v26, vcc_lo
	s_mov_b32 s14, exec_lo
	global_store_b64 v[9:10], v[13:14], off
	s_waitcnt_vscnt null, 0x0
	global_atomic_cmpswap_b64 v[4:5], v6, v[11:14], s[2:3] offset:32 glc
	s_waitcnt vmcnt(0)
	v_cmpx_ne_u64_e64 v[4:5], v[13:14]
	s_cbranch_execz .LBB7_201
; %bb.199:                              ;   in Loop: Header=BB7_140 Depth=1
	s_mov_b32 s15, 0
.LBB7_200:                              ;   Parent Loop BB7_140 Depth=1
                                        ; =>  This Inner Loop Header: Depth=2
	v_dual_mov_b32 v2, s12 :: v_dual_mov_b32 v3, s13
	s_sleep 1
	global_store_b64 v[9:10], v[4:5], off
	s_waitcnt_vscnt null, 0x0
	global_atomic_cmpswap_b64 v[2:3], v6, v[2:5], s[2:3] offset:32 glc
	s_waitcnt vmcnt(0)
	v_cmp_eq_u64_e32 vcc_lo, v[2:3], v[4:5]
	v_dual_mov_b32 v5, v3 :: v_dual_mov_b32 v4, v2
	s_or_b32 s15, vcc_lo, s15
	s_delay_alu instid0(SALU_CYCLE_1)
	s_and_not1_b32 exec_lo, exec_lo, s15
	s_cbranch_execnz .LBB7_200
.LBB7_201:                              ;   in Loop: Header=BB7_140 Depth=1
	s_or_b32 exec_lo, exec_lo, s14
	global_load_b64 v[2:3], v6, s[2:3] offset:16
	s_mov_b32 s15, exec_lo
	s_mov_b32 s14, exec_lo
	v_mbcnt_lo_u32_b32 v4, s15, 0
	s_delay_alu instid0(VALU_DEP_1)
	v_cmpx_eq_u32_e32 0, v4
	s_cbranch_execz .LBB7_203
; %bb.202:                              ;   in Loop: Header=BB7_140 Depth=1
	s_bcnt1_i32_b32 s15, s15
	s_delay_alu instid0(SALU_CYCLE_1)
	v_mov_b32_e32 v5, s15
	s_waitcnt vmcnt(0)
	global_atomic_add_u64 v[2:3], v[5:6], off offset:8
.LBB7_203:                              ;   in Loop: Header=BB7_140 Depth=1
	s_or_b32 exec_lo, exec_lo, s14
	s_waitcnt vmcnt(0)
	global_load_b64 v[9:10], v[2:3], off offset:16
	s_waitcnt vmcnt(0)
	v_cmp_eq_u64_e32 vcc_lo, 0, v[9:10]
	s_cbranch_vccnz .LBB7_205
; %bb.204:                              ;   in Loop: Header=BB7_140 Depth=1
	global_load_b32 v5, v[2:3], off offset:24
	s_waitcnt vmcnt(0)
	v_and_b32_e32 v2, 0xffffff, v5
	s_waitcnt_vscnt null, 0x0
	global_store_b64 v[9:10], v[5:6], off
	v_readfirstlane_b32 m0, v2
	s_sendmsg sendmsg(MSG_INTERRUPT)
.LBB7_205:                              ;   in Loop: Header=BB7_140 Depth=1
	s_or_b32 exec_lo, exec_lo, s1
	v_add_co_u32 v2, vcc_lo, v27, v31
	v_add_co_ci_u32_e32 v3, vcc_lo, 0, v28, vcc_lo
	s_branch .LBB7_209
	.p2align	6
.LBB7_206:                              ;   in Loop: Header=BB7_209 Depth=2
	s_or_b32 exec_lo, exec_lo, s1
	s_delay_alu instid0(VALU_DEP_1) | instskip(NEXT) | instid1(VALU_DEP_1)
	v_readfirstlane_b32 s1, v4
	s_cmp_eq_u32 s1, 0
	s_cbranch_scc1 .LBB7_208
; %bb.207:                              ;   in Loop: Header=BB7_209 Depth=2
	s_sleep 1
	s_cbranch_execnz .LBB7_209
	s_branch .LBB7_211
	.p2align	6
.LBB7_208:                              ;   in Loop: Header=BB7_140 Depth=1
	s_branch .LBB7_211
.LBB7_209:                              ;   Parent Loop BB7_140 Depth=1
                                        ; =>  This Inner Loop Header: Depth=2
	v_mov_b32_e32 v4, 1
	s_and_saveexec_b32 s1, s0
	s_cbranch_execz .LBB7_206
; %bb.210:                              ;   in Loop: Header=BB7_209 Depth=2
	global_load_b32 v4, v[29:30], off offset:20 glc
	s_waitcnt vmcnt(0)
	buffer_gl1_inv
	buffer_gl0_inv
	v_and_b32_e32 v4, 1, v4
	s_branch .LBB7_206
.LBB7_211:                              ;   in Loop: Header=BB7_140 Depth=1
	global_load_b128 v[2:5], v[2:3], off
	s_and_saveexec_b32 s1, s0
	s_cbranch_execz .LBB7_139
; %bb.212:                              ;   in Loop: Header=BB7_140 Depth=1
	s_clause 0x2
	global_load_b64 v[4:5], v6, s[2:3] offset:40
	global_load_b64 v[13:14], v6, s[2:3] offset:24 glc
	global_load_b64 v[11:12], v6, s[2:3]
	s_waitcnt vmcnt(2)
	v_add_co_u32 v15, vcc_lo, v4, 1
	v_add_co_ci_u32_e32 v16, vcc_lo, 0, v5, vcc_lo
	s_delay_alu instid0(VALU_DEP_2) | instskip(NEXT) | instid1(VALU_DEP_2)
	v_add_co_u32 v9, vcc_lo, v15, s12
	v_add_co_ci_u32_e32 v10, vcc_lo, s13, v16, vcc_lo
	s_delay_alu instid0(VALU_DEP_1) | instskip(SKIP_1) | instid1(VALU_DEP_1)
	v_cmp_eq_u64_e32 vcc_lo, 0, v[9:10]
	v_dual_cndmask_b32 v10, v10, v16 :: v_dual_cndmask_b32 v9, v9, v15
	v_and_b32_e32 v5, v10, v5
	s_delay_alu instid0(VALU_DEP_2) | instskip(NEXT) | instid1(VALU_DEP_2)
	v_and_b32_e32 v4, v9, v4
	v_mul_lo_u32 v5, v5, 24
	s_delay_alu instid0(VALU_DEP_2) | instskip(SKIP_1) | instid1(VALU_DEP_2)
	v_mul_hi_u32 v15, v4, 24
	v_mul_lo_u32 v4, v4, 24
	v_add_nc_u32_e32 v5, v15, v5
	s_waitcnt vmcnt(0)
	s_delay_alu instid0(VALU_DEP_2) | instskip(SKIP_1) | instid1(VALU_DEP_3)
	v_add_co_u32 v4, vcc_lo, v11, v4
	v_mov_b32_e32 v11, v13
	v_add_co_ci_u32_e32 v5, vcc_lo, v12, v5, vcc_lo
	v_mov_b32_e32 v12, v14
	global_store_b64 v[4:5], v[13:14], off
	s_waitcnt_vscnt null, 0x0
	global_atomic_cmpswap_b64 v[11:12], v6, v[9:12], s[2:3] offset:24 glc
	s_waitcnt vmcnt(0)
	v_cmp_ne_u64_e32 vcc_lo, v[11:12], v[13:14]
	s_and_b32 exec_lo, exec_lo, vcc_lo
	s_cbranch_execz .LBB7_139
; %bb.213:                              ;   in Loop: Header=BB7_140 Depth=1
	s_mov_b32 s0, 0
.LBB7_214:                              ;   Parent Loop BB7_140 Depth=1
                                        ; =>  This Inner Loop Header: Depth=2
	s_sleep 1
	global_store_b64 v[4:5], v[11:12], off
	s_waitcnt_vscnt null, 0x0
	global_atomic_cmpswap_b64 v[13:14], v6, v[9:12], s[2:3] offset:24 glc
	s_waitcnt vmcnt(0)
	v_cmp_eq_u64_e32 vcc_lo, v[13:14], v[11:12]
	v_dual_mov_b32 v11, v13 :: v_dual_mov_b32 v12, v14
	s_or_b32 s0, vcc_lo, s0
	s_delay_alu instid0(SALU_CYCLE_1)
	s_and_not1_b32 exec_lo, exec_lo, s0
	s_cbranch_execnz .LBB7_214
	s_branch .LBB7_139
.LBB7_215:
                                        ; implicit-def: $vgpr2_vgpr3
	s_cbranch_execnz .LBB7_217
	s_branch .LBB7_244
.LBB7_216:
	s_branch .LBB7_244
.LBB7_217:
	v_readfirstlane_b32 s0, v32
	v_mov_b32_e32 v8, 0
	v_mov_b32_e32 v9, 0
	s_delay_alu instid0(VALU_DEP_3) | instskip(NEXT) | instid1(VALU_DEP_1)
	v_cmp_eq_u32_e64 s0, s0, v32
	s_and_saveexec_b32 s1, s0
	s_cbranch_execz .LBB7_223
; %bb.218:
	s_waitcnt vmcnt(0)
	v_mov_b32_e32 v2, 0
	s_mov_b32 s4, exec_lo
	global_load_b64 v[5:6], v2, s[2:3] offset:24 glc
	s_waitcnt vmcnt(0)
	buffer_gl1_inv
	buffer_gl0_inv
	s_clause 0x1
	global_load_b64 v[3:4], v2, s[2:3] offset:40
	global_load_b64 v[7:8], v2, s[2:3]
	s_waitcnt vmcnt(1)
	v_and_b32_e32 v3, v3, v5
	v_and_b32_e32 v4, v4, v6
	s_delay_alu instid0(VALU_DEP_2) | instskip(NEXT) | instid1(VALU_DEP_2)
	v_mul_hi_u32 v9, v3, 24
	v_mul_lo_u32 v4, v4, 24
	v_mul_lo_u32 v3, v3, 24
	s_delay_alu instid0(VALU_DEP_2) | instskip(SKIP_1) | instid1(VALU_DEP_2)
	v_add_nc_u32_e32 v4, v9, v4
	s_waitcnt vmcnt(0)
	v_add_co_u32 v3, vcc_lo, v7, v3
	s_delay_alu instid0(VALU_DEP_2)
	v_add_co_ci_u32_e32 v4, vcc_lo, v8, v4, vcc_lo
	global_load_b64 v[3:4], v[3:4], off glc
	s_waitcnt vmcnt(0)
	global_atomic_cmpswap_b64 v[8:9], v2, v[3:6], s[2:3] offset:24 glc
	s_waitcnt vmcnt(0)
	buffer_gl1_inv
	buffer_gl0_inv
	v_cmpx_ne_u64_e64 v[8:9], v[5:6]
	s_cbranch_execz .LBB7_222
; %bb.219:
	s_mov_b32 s5, 0
	.p2align	6
.LBB7_220:                              ; =>This Inner Loop Header: Depth=1
	s_sleep 1
	s_clause 0x1
	global_load_b64 v[3:4], v2, s[2:3] offset:40
	global_load_b64 v[10:11], v2, s[2:3]
	v_dual_mov_b32 v5, v8 :: v_dual_mov_b32 v6, v9
	s_waitcnt vmcnt(1)
	s_delay_alu instid0(VALU_DEP_1) | instskip(NEXT) | instid1(VALU_DEP_2)
	v_and_b32_e32 v3, v3, v5
	v_and_b32_e32 v4, v4, v6
	s_waitcnt vmcnt(0)
	s_delay_alu instid0(VALU_DEP_2) | instskip(NEXT) | instid1(VALU_DEP_1)
	v_mad_u64_u32 v[7:8], null, v3, 24, v[10:11]
	v_mov_b32_e32 v3, v8
	s_delay_alu instid0(VALU_DEP_1)
	v_mad_u64_u32 v[8:9], null, v4, 24, v[3:4]
	global_load_b64 v[3:4], v[7:8], off glc
	s_waitcnt vmcnt(0)
	global_atomic_cmpswap_b64 v[8:9], v2, v[3:6], s[2:3] offset:24 glc
	s_waitcnt vmcnt(0)
	buffer_gl1_inv
	buffer_gl0_inv
	v_cmp_eq_u64_e32 vcc_lo, v[8:9], v[5:6]
	s_or_b32 s5, vcc_lo, s5
	s_delay_alu instid0(SALU_CYCLE_1)
	s_and_not1_b32 exec_lo, exec_lo, s5
	s_cbranch_execnz .LBB7_220
; %bb.221:
	s_or_b32 exec_lo, exec_lo, s5
.LBB7_222:
	s_delay_alu instid0(SALU_CYCLE_1)
	s_or_b32 exec_lo, exec_lo, s4
.LBB7_223:
	s_delay_alu instid0(SALU_CYCLE_1)
	s_or_b32 exec_lo, exec_lo, s1
	s_waitcnt vmcnt(0)
	v_mov_b32_e32 v2, 0
	v_readfirstlane_b32 s4, v8
	v_readfirstlane_b32 s5, v9
	s_mov_b32 s1, exec_lo
	s_clause 0x1
	global_load_b64 v[10:11], v2, s[2:3] offset:40
	global_load_b128 v[4:7], v2, s[2:3]
	s_waitcnt vmcnt(1)
	v_readfirstlane_b32 s6, v10
	v_readfirstlane_b32 s7, v11
	s_delay_alu instid0(VALU_DEP_1) | instskip(NEXT) | instid1(SALU_CYCLE_1)
	s_and_b64 s[6:7], s[4:5], s[6:7]
	s_mul_i32 s10, s7, 24
	s_mul_hi_u32 s11, s6, 24
	s_mul_i32 s12, s6, 24
	s_add_i32 s11, s11, s10
	s_waitcnt vmcnt(0)
	v_add_co_u32 v8, vcc_lo, v4, s12
	v_add_co_ci_u32_e32 v9, vcc_lo, s11, v5, vcc_lo
	s_and_saveexec_b32 s10, s0
	s_cbranch_execz .LBB7_225
; %bb.224:
	v_dual_mov_b32 v10, s1 :: v_dual_mov_b32 v11, v2
	v_dual_mov_b32 v12, 2 :: v_dual_mov_b32 v13, 1
	global_store_b128 v[8:9], v[10:13], off offset:8
.LBB7_225:
	s_or_b32 exec_lo, exec_lo, s10
	s_lshl_b64 s[6:7], s[6:7], 12
	s_mov_b32 s12, 0
	v_add_co_u32 v6, vcc_lo, v6, s6
	v_add_co_ci_u32_e32 v7, vcc_lo, s7, v7, vcc_lo
	s_mov_b32 s13, s12
	s_delay_alu instid0(VALU_DEP_2)
	v_readfirstlane_b32 s6, v6
	v_add_co_u32 v6, vcc_lo, v6, v31
	s_mov_b32 s14, s12
	s_mov_b32 s15, s12
	v_and_or_b32 v0, 0xffffff1f, v0, 32
	v_dual_mov_b32 v3, v2 :: v_dual_mov_b32 v10, s12
	v_readfirstlane_b32 s7, v7
	v_add_co_ci_u32_e32 v7, vcc_lo, 0, v7, vcc_lo
	v_dual_mov_b32 v11, s13 :: v_dual_mov_b32 v12, s14
	v_mov_b32_e32 v13, s15
	s_clause 0x3
	global_store_b128 v31, v[0:3], s[6:7]
	global_store_b128 v31, v[10:13], s[6:7] offset:16
	global_store_b128 v31, v[10:13], s[6:7] offset:32
	;; [unrolled: 1-line block ×3, first 2 shown]
	s_and_saveexec_b32 s1, s0
	s_cbranch_execz .LBB7_233
; %bb.226:
	v_dual_mov_b32 v10, 0 :: v_dual_mov_b32 v11, s4
	v_mov_b32_e32 v12, s5
	s_clause 0x1
	global_load_b64 v[13:14], v10, s[2:3] offset:32 glc
	global_load_b64 v[0:1], v10, s[2:3] offset:40
	s_waitcnt vmcnt(0)
	v_readfirstlane_b32 s6, v0
	v_readfirstlane_b32 s7, v1
	s_delay_alu instid0(VALU_DEP_1) | instskip(NEXT) | instid1(SALU_CYCLE_1)
	s_and_b64 s[6:7], s[6:7], s[4:5]
	s_mul_i32 s7, s7, 24
	s_mul_hi_u32 s10, s6, 24
	s_mul_i32 s6, s6, 24
	s_add_i32 s10, s10, s7
	v_add_co_u32 v4, vcc_lo, v4, s6
	v_add_co_ci_u32_e32 v5, vcc_lo, s10, v5, vcc_lo
	s_mov_b32 s6, exec_lo
	global_store_b64 v[4:5], v[13:14], off
	s_waitcnt_vscnt null, 0x0
	global_atomic_cmpswap_b64 v[2:3], v10, v[11:14], s[2:3] offset:32 glc
	s_waitcnt vmcnt(0)
	v_cmpx_ne_u64_e64 v[2:3], v[13:14]
	s_cbranch_execz .LBB7_229
; %bb.227:
	s_mov_b32 s7, 0
.LBB7_228:                              ; =>This Inner Loop Header: Depth=1
	v_dual_mov_b32 v0, s4 :: v_dual_mov_b32 v1, s5
	s_sleep 1
	global_store_b64 v[4:5], v[2:3], off
	s_waitcnt_vscnt null, 0x0
	global_atomic_cmpswap_b64 v[0:1], v10, v[0:3], s[2:3] offset:32 glc
	s_waitcnt vmcnt(0)
	v_cmp_eq_u64_e32 vcc_lo, v[0:1], v[2:3]
	v_dual_mov_b32 v3, v1 :: v_dual_mov_b32 v2, v0
	s_or_b32 s7, vcc_lo, s7
	s_delay_alu instid0(SALU_CYCLE_1)
	s_and_not1_b32 exec_lo, exec_lo, s7
	s_cbranch_execnz .LBB7_228
.LBB7_229:
	s_or_b32 exec_lo, exec_lo, s6
	v_mov_b32_e32 v3, 0
	s_mov_b32 s7, exec_lo
	s_mov_b32 s6, exec_lo
	v_mbcnt_lo_u32_b32 v2, s7, 0
	global_load_b64 v[0:1], v3, s[2:3] offset:16
	v_cmpx_eq_u32_e32 0, v2
	s_cbranch_execz .LBB7_231
; %bb.230:
	s_bcnt1_i32_b32 s7, s7
	s_delay_alu instid0(SALU_CYCLE_1)
	v_mov_b32_e32 v2, s7
	s_waitcnt vmcnt(0)
	global_atomic_add_u64 v[0:1], v[2:3], off offset:8
.LBB7_231:
	s_or_b32 exec_lo, exec_lo, s6
	s_waitcnt vmcnt(0)
	global_load_b64 v[2:3], v[0:1], off offset:16
	s_waitcnt vmcnt(0)
	v_cmp_eq_u64_e32 vcc_lo, 0, v[2:3]
	s_cbranch_vccnz .LBB7_233
; %bb.232:
	global_load_b32 v0, v[0:1], off offset:24
	s_waitcnt vmcnt(0)
	v_dual_mov_b32 v1, 0 :: v_dual_and_b32 v4, 0xffffff, v0
	s_waitcnt_vscnt null, 0x0
	global_store_b64 v[2:3], v[0:1], off
	v_readfirstlane_b32 m0, v4
	s_sendmsg sendmsg(MSG_INTERRUPT)
.LBB7_233:
	s_or_b32 exec_lo, exec_lo, s1
	s_branch .LBB7_237
	.p2align	6
.LBB7_234:                              ;   in Loop: Header=BB7_237 Depth=1
	s_or_b32 exec_lo, exec_lo, s1
	s_delay_alu instid0(VALU_DEP_1) | instskip(NEXT) | instid1(VALU_DEP_1)
	v_readfirstlane_b32 s1, v0
	s_cmp_eq_u32 s1, 0
	s_cbranch_scc1 .LBB7_236
; %bb.235:                              ;   in Loop: Header=BB7_237 Depth=1
	s_sleep 1
	s_cbranch_execnz .LBB7_237
	s_branch .LBB7_239
	.p2align	6
.LBB7_236:
	s_branch .LBB7_239
.LBB7_237:                              ; =>This Inner Loop Header: Depth=1
	v_mov_b32_e32 v0, 1
	s_and_saveexec_b32 s1, s0
	s_cbranch_execz .LBB7_234
; %bb.238:                              ;   in Loop: Header=BB7_237 Depth=1
	global_load_b32 v0, v[8:9], off offset:20 glc
	s_waitcnt vmcnt(0)
	buffer_gl1_inv
	buffer_gl0_inv
	v_and_b32_e32 v0, 1, v0
	s_branch .LBB7_234
.LBB7_239:
	global_load_b64 v[2:3], v[6:7], off
	s_and_saveexec_b32 s1, s0
	s_cbranch_execz .LBB7_243
; %bb.240:
	v_mov_b32_e32 v8, 0
	s_clause 0x2
	global_load_b64 v[0:1], v8, s[2:3] offset:40
	global_load_b64 v[9:10], v8, s[2:3] offset:24 glc
	global_load_b64 v[6:7], v8, s[2:3]
	s_waitcnt vmcnt(2)
	v_add_co_u32 v11, vcc_lo, v0, 1
	v_add_co_ci_u32_e32 v12, vcc_lo, 0, v1, vcc_lo
	s_delay_alu instid0(VALU_DEP_2) | instskip(NEXT) | instid1(VALU_DEP_2)
	v_add_co_u32 v4, vcc_lo, v11, s4
	v_add_co_ci_u32_e32 v5, vcc_lo, s5, v12, vcc_lo
	s_delay_alu instid0(VALU_DEP_1) | instskip(SKIP_1) | instid1(VALU_DEP_1)
	v_cmp_eq_u64_e32 vcc_lo, 0, v[4:5]
	v_dual_cndmask_b32 v5, v5, v12 :: v_dual_cndmask_b32 v4, v4, v11
	v_and_b32_e32 v1, v5, v1
	s_delay_alu instid0(VALU_DEP_2) | instskip(NEXT) | instid1(VALU_DEP_2)
	v_and_b32_e32 v0, v4, v0
	v_mul_lo_u32 v1, v1, 24
	s_delay_alu instid0(VALU_DEP_2) | instskip(SKIP_1) | instid1(VALU_DEP_2)
	v_mul_hi_u32 v11, v0, 24
	v_mul_lo_u32 v0, v0, 24
	v_add_nc_u32_e32 v1, v11, v1
	s_waitcnt vmcnt(0)
	s_delay_alu instid0(VALU_DEP_2) | instskip(SKIP_1) | instid1(VALU_DEP_3)
	v_add_co_u32 v0, vcc_lo, v6, v0
	v_mov_b32_e32 v6, v9
	v_add_co_ci_u32_e32 v1, vcc_lo, v7, v1, vcc_lo
	v_mov_b32_e32 v7, v10
	global_store_b64 v[0:1], v[9:10], off
	s_waitcnt_vscnt null, 0x0
	global_atomic_cmpswap_b64 v[6:7], v8, v[4:7], s[2:3] offset:24 glc
	s_waitcnt vmcnt(0)
	v_cmp_ne_u64_e32 vcc_lo, v[6:7], v[9:10]
	s_and_b32 exec_lo, exec_lo, vcc_lo
	s_cbranch_execz .LBB7_243
; %bb.241:
	s_mov_b32 s0, 0
.LBB7_242:                              ; =>This Inner Loop Header: Depth=1
	s_sleep 1
	global_store_b64 v[0:1], v[6:7], off
	s_waitcnt_vscnt null, 0x0
	global_atomic_cmpswap_b64 v[9:10], v8, v[4:7], s[2:3] offset:24 glc
	s_waitcnt vmcnt(0)
	v_cmp_eq_u64_e32 vcc_lo, v[9:10], v[6:7]
	v_dual_mov_b32 v6, v9 :: v_dual_mov_b32 v7, v10
	s_or_b32 s0, vcc_lo, s0
	s_delay_alu instid0(SALU_CYCLE_1)
	s_and_not1_b32 exec_lo, exec_lo, s0
	s_cbranch_execnz .LBB7_242
.LBB7_243:
	s_or_b32 exec_lo, exec_lo, s1
.LBB7_244:
	v_readfirstlane_b32 s0, v32
	s_waitcnt vmcnt(0)
	v_mov_b32_e32 v0, 0
	v_mov_b32_e32 v1, 0
	s_delay_alu instid0(VALU_DEP_3) | instskip(NEXT) | instid1(VALU_DEP_1)
	v_cmp_eq_u32_e64 s0, s0, v32
	s_and_saveexec_b32 s1, s0
	s_cbranch_execz .LBB7_250
; %bb.245:
	v_mov_b32_e32 v4, 0
	s_mov_b32 s4, exec_lo
	global_load_b64 v[7:8], v4, s[2:3] offset:24 glc
	s_waitcnt vmcnt(0)
	buffer_gl1_inv
	buffer_gl0_inv
	s_clause 0x1
	global_load_b64 v[0:1], v4, s[2:3] offset:40
	global_load_b64 v[5:6], v4, s[2:3]
	s_waitcnt vmcnt(1)
	v_and_b32_e32 v1, v1, v8
	v_and_b32_e32 v0, v0, v7
	s_delay_alu instid0(VALU_DEP_2) | instskip(NEXT) | instid1(VALU_DEP_2)
	v_mul_lo_u32 v1, v1, 24
	v_mul_hi_u32 v9, v0, 24
	v_mul_lo_u32 v0, v0, 24
	s_delay_alu instid0(VALU_DEP_2) | instskip(SKIP_1) | instid1(VALU_DEP_2)
	v_add_nc_u32_e32 v1, v9, v1
	s_waitcnt vmcnt(0)
	v_add_co_u32 v0, vcc_lo, v5, v0
	s_delay_alu instid0(VALU_DEP_2)
	v_add_co_ci_u32_e32 v1, vcc_lo, v6, v1, vcc_lo
	global_load_b64 v[5:6], v[0:1], off glc
	s_waitcnt vmcnt(0)
	global_atomic_cmpswap_b64 v[0:1], v4, v[5:8], s[2:3] offset:24 glc
	s_waitcnt vmcnt(0)
	buffer_gl1_inv
	buffer_gl0_inv
	v_cmpx_ne_u64_e64 v[0:1], v[7:8]
	s_cbranch_execz .LBB7_249
; %bb.246:
	s_mov_b32 s5, 0
	.p2align	6
.LBB7_247:                              ; =>This Inner Loop Header: Depth=1
	s_sleep 1
	s_clause 0x1
	global_load_b64 v[5:6], v4, s[2:3] offset:40
	global_load_b64 v[9:10], v4, s[2:3]
	v_dual_mov_b32 v8, v1 :: v_dual_mov_b32 v7, v0
	s_waitcnt vmcnt(1)
	s_delay_alu instid0(VALU_DEP_1) | instskip(SKIP_1) | instid1(VALU_DEP_1)
	v_and_b32_e32 v5, v5, v7
	s_waitcnt vmcnt(0)
	v_mad_u64_u32 v[0:1], null, v5, 24, v[9:10]
	v_and_b32_e32 v9, v6, v8
	s_delay_alu instid0(VALU_DEP_1) | instskip(NEXT) | instid1(VALU_DEP_1)
	v_mad_u64_u32 v[5:6], null, v9, 24, v[1:2]
	v_mov_b32_e32 v1, v5
	global_load_b64 v[5:6], v[0:1], off glc
	s_waitcnt vmcnt(0)
	global_atomic_cmpswap_b64 v[0:1], v4, v[5:8], s[2:3] offset:24 glc
	s_waitcnt vmcnt(0)
	buffer_gl1_inv
	buffer_gl0_inv
	v_cmp_eq_u64_e32 vcc_lo, v[0:1], v[7:8]
	s_or_b32 s5, vcc_lo, s5
	s_delay_alu instid0(SALU_CYCLE_1)
	s_and_not1_b32 exec_lo, exec_lo, s5
	s_cbranch_execnz .LBB7_247
; %bb.248:
	s_or_b32 exec_lo, exec_lo, s5
.LBB7_249:
	s_delay_alu instid0(SALU_CYCLE_1)
	s_or_b32 exec_lo, exec_lo, s4
.LBB7_250:
	s_delay_alu instid0(SALU_CYCLE_1)
	s_or_b32 exec_lo, exec_lo, s1
	v_mov_b32_e32 v5, 0
	v_readfirstlane_b32 s4, v0
	v_readfirstlane_b32 s5, v1
	s_mov_b32 s1, exec_lo
	s_clause 0x1
	global_load_b64 v[10:11], v5, s[2:3] offset:40
	global_load_b128 v[6:9], v5, s[2:3]
	s_waitcnt vmcnt(1)
	v_readfirstlane_b32 s6, v10
	v_readfirstlane_b32 s7, v11
	s_delay_alu instid0(VALU_DEP_1) | instskip(NEXT) | instid1(SALU_CYCLE_1)
	s_and_b64 s[6:7], s[4:5], s[6:7]
	s_mul_i32 s10, s7, 24
	s_mul_hi_u32 s11, s6, 24
	s_mul_i32 s12, s6, 24
	s_add_i32 s11, s11, s10
	s_waitcnt vmcnt(0)
	v_add_co_u32 v10, vcc_lo, v6, s12
	v_add_co_ci_u32_e32 v11, vcc_lo, s11, v7, vcc_lo
	s_and_saveexec_b32 s10, s0
	s_cbranch_execz .LBB7_252
; %bb.251:
	v_dual_mov_b32 v4, s1 :: v_dual_mov_b32 v15, 1
	v_dual_mov_b32 v14, 2 :: v_dual_mov_b32 v13, v5
	s_delay_alu instid0(VALU_DEP_2)
	v_mov_b32_e32 v12, v4
	global_store_b128 v[10:11], v[12:15], off offset:8
.LBB7_252:
	s_or_b32 exec_lo, exec_lo, s10
	s_lshl_b64 s[6:7], s[6:7], 12
	s_mov_b32 s12, 0
	v_add_co_u32 v0, vcc_lo, v8, s6
	v_add_co_ci_u32_e32 v1, vcc_lo, s7, v9, vcc_lo
	s_mov_b32 s13, s12
	s_delay_alu instid0(VALU_DEP_2)
	v_add_co_u32 v8, vcc_lo, v0, v31
	s_mov_b32 s14, s12
	s_mov_b32 s15, s12
	v_and_or_b32 v2, 0xffffff1f, v2, 32
	v_mov_b32_e32 v4, 0x41
	v_readfirstlane_b32 s6, v0
	v_readfirstlane_b32 s7, v1
	v_dual_mov_b32 v12, s12 :: v_dual_mov_b32 v15, s15
	v_add_co_ci_u32_e32 v9, vcc_lo, 0, v1, vcc_lo
	v_dual_mov_b32 v13, s13 :: v_dual_mov_b32 v14, s14
	s_clause 0x3
	global_store_b128 v31, v[2:5], s[6:7]
	global_store_b128 v31, v[12:15], s[6:7] offset:16
	global_store_b128 v31, v[12:15], s[6:7] offset:32
	;; [unrolled: 1-line block ×3, first 2 shown]
	s_and_saveexec_b32 s1, s0
	s_cbranch_execz .LBB7_260
; %bb.253:
	v_dual_mov_b32 v12, 0 :: v_dual_mov_b32 v13, s4
	v_mov_b32_e32 v14, s5
	s_clause 0x1
	global_load_b64 v[15:16], v12, s[2:3] offset:32 glc
	global_load_b64 v[0:1], v12, s[2:3] offset:40
	s_waitcnt vmcnt(0)
	v_readfirstlane_b32 s6, v0
	v_readfirstlane_b32 s7, v1
	s_delay_alu instid0(VALU_DEP_1) | instskip(NEXT) | instid1(SALU_CYCLE_1)
	s_and_b64 s[6:7], s[6:7], s[4:5]
	s_mul_i32 s7, s7, 24
	s_mul_hi_u32 s10, s6, 24
	s_mul_i32 s6, s6, 24
	s_add_i32 s10, s10, s7
	v_add_co_u32 v4, vcc_lo, v6, s6
	v_add_co_ci_u32_e32 v5, vcc_lo, s10, v7, vcc_lo
	s_mov_b32 s6, exec_lo
	global_store_b64 v[4:5], v[15:16], off
	s_waitcnt_vscnt null, 0x0
	global_atomic_cmpswap_b64 v[2:3], v12, v[13:16], s[2:3] offset:32 glc
	s_waitcnt vmcnt(0)
	v_cmpx_ne_u64_e64 v[2:3], v[15:16]
	s_cbranch_execz .LBB7_256
; %bb.254:
	s_mov_b32 s7, 0
.LBB7_255:                              ; =>This Inner Loop Header: Depth=1
	v_dual_mov_b32 v0, s4 :: v_dual_mov_b32 v1, s5
	s_sleep 1
	global_store_b64 v[4:5], v[2:3], off
	s_waitcnt_vscnt null, 0x0
	global_atomic_cmpswap_b64 v[0:1], v12, v[0:3], s[2:3] offset:32 glc
	s_waitcnt vmcnt(0)
	v_cmp_eq_u64_e32 vcc_lo, v[0:1], v[2:3]
	v_dual_mov_b32 v3, v1 :: v_dual_mov_b32 v2, v0
	s_or_b32 s7, vcc_lo, s7
	s_delay_alu instid0(SALU_CYCLE_1)
	s_and_not1_b32 exec_lo, exec_lo, s7
	s_cbranch_execnz .LBB7_255
.LBB7_256:
	s_or_b32 exec_lo, exec_lo, s6
	v_mov_b32_e32 v3, 0
	s_mov_b32 s7, exec_lo
	s_mov_b32 s6, exec_lo
	v_mbcnt_lo_u32_b32 v2, s7, 0
	global_load_b64 v[0:1], v3, s[2:3] offset:16
	v_cmpx_eq_u32_e32 0, v2
	s_cbranch_execz .LBB7_258
; %bb.257:
	s_bcnt1_i32_b32 s7, s7
	s_delay_alu instid0(SALU_CYCLE_1)
	v_mov_b32_e32 v2, s7
	s_waitcnt vmcnt(0)
	global_atomic_add_u64 v[0:1], v[2:3], off offset:8
.LBB7_258:
	s_or_b32 exec_lo, exec_lo, s6
	s_waitcnt vmcnt(0)
	global_load_b64 v[2:3], v[0:1], off offset:16
	s_waitcnt vmcnt(0)
	v_cmp_eq_u64_e32 vcc_lo, 0, v[2:3]
	s_cbranch_vccnz .LBB7_260
; %bb.259:
	global_load_b32 v0, v[0:1], off offset:24
	s_waitcnt vmcnt(0)
	v_dual_mov_b32 v1, 0 :: v_dual_and_b32 v4, 0xffffff, v0
	s_waitcnt_vscnt null, 0x0
	global_store_b64 v[2:3], v[0:1], off
	v_readfirstlane_b32 m0, v4
	s_sendmsg sendmsg(MSG_INTERRUPT)
.LBB7_260:
	s_or_b32 exec_lo, exec_lo, s1
	s_branch .LBB7_264
	.p2align	6
.LBB7_261:                              ;   in Loop: Header=BB7_264 Depth=1
	s_or_b32 exec_lo, exec_lo, s1
	s_delay_alu instid0(VALU_DEP_1) | instskip(NEXT) | instid1(VALU_DEP_1)
	v_readfirstlane_b32 s1, v0
	s_cmp_eq_u32 s1, 0
	s_cbranch_scc1 .LBB7_263
; %bb.262:                              ;   in Loop: Header=BB7_264 Depth=1
	s_sleep 1
	s_cbranch_execnz .LBB7_264
	s_branch .LBB7_266
	.p2align	6
.LBB7_263:
	s_branch .LBB7_266
.LBB7_264:                              ; =>This Inner Loop Header: Depth=1
	v_mov_b32_e32 v0, 1
	s_and_saveexec_b32 s1, s0
	s_cbranch_execz .LBB7_261
; %bb.265:                              ;   in Loop: Header=BB7_264 Depth=1
	global_load_b32 v0, v[10:11], off offset:20 glc
	s_waitcnt vmcnt(0)
	buffer_gl1_inv
	buffer_gl0_inv
	v_and_b32_e32 v0, 1, v0
	s_branch .LBB7_261
.LBB7_266:
	global_load_b64 v[0:1], v[8:9], off
	s_and_saveexec_b32 s1, s0
	s_cbranch_execz .LBB7_270
; %bb.267:
	v_mov_b32_e32 v8, 0
	s_clause 0x2
	global_load_b64 v[4:5], v8, s[2:3] offset:40
	global_load_b64 v[9:10], v8, s[2:3] offset:24 glc
	global_load_b64 v[6:7], v8, s[2:3]
	s_waitcnt vmcnt(2)
	v_add_co_u32 v11, vcc_lo, v4, 1
	v_add_co_ci_u32_e32 v12, vcc_lo, 0, v5, vcc_lo
	s_delay_alu instid0(VALU_DEP_2) | instskip(NEXT) | instid1(VALU_DEP_2)
	v_add_co_u32 v2, vcc_lo, v11, s4
	v_add_co_ci_u32_e32 v3, vcc_lo, s5, v12, vcc_lo
	s_delay_alu instid0(VALU_DEP_1) | instskip(SKIP_1) | instid1(VALU_DEP_1)
	v_cmp_eq_u64_e32 vcc_lo, 0, v[2:3]
	v_dual_cndmask_b32 v3, v3, v12 :: v_dual_cndmask_b32 v2, v2, v11
	v_and_b32_e32 v5, v3, v5
	s_delay_alu instid0(VALU_DEP_2) | instskip(NEXT) | instid1(VALU_DEP_2)
	v_and_b32_e32 v4, v2, v4
	v_mul_lo_u32 v5, v5, 24
	s_delay_alu instid0(VALU_DEP_2) | instskip(SKIP_1) | instid1(VALU_DEP_2)
	v_mul_hi_u32 v11, v4, 24
	v_mul_lo_u32 v4, v4, 24
	v_add_nc_u32_e32 v5, v11, v5
	s_waitcnt vmcnt(0)
	s_delay_alu instid0(VALU_DEP_2) | instskip(SKIP_1) | instid1(VALU_DEP_3)
	v_add_co_u32 v6, vcc_lo, v6, v4
	v_mov_b32_e32 v4, v9
	v_add_co_ci_u32_e32 v7, vcc_lo, v7, v5, vcc_lo
	v_mov_b32_e32 v5, v10
	global_store_b64 v[6:7], v[9:10], off
	s_waitcnt_vscnt null, 0x0
	global_atomic_cmpswap_b64 v[4:5], v8, v[2:5], s[2:3] offset:24 glc
	s_waitcnt vmcnt(0)
	v_cmp_ne_u64_e32 vcc_lo, v[4:5], v[9:10]
	s_and_b32 exec_lo, exec_lo, vcc_lo
	s_cbranch_execz .LBB7_270
; %bb.268:
	s_mov_b32 s0, 0
.LBB7_269:                              ; =>This Inner Loop Header: Depth=1
	s_sleep 1
	global_store_b64 v[6:7], v[4:5], off
	s_waitcnt_vscnt null, 0x0
	global_atomic_cmpswap_b64 v[9:10], v8, v[2:5], s[2:3] offset:24 glc
	s_waitcnt vmcnt(0)
	v_cmp_eq_u64_e32 vcc_lo, v[9:10], v[4:5]
	v_dual_mov_b32 v4, v9 :: v_dual_mov_b32 v5, v10
	s_or_b32 s0, vcc_lo, s0
	s_delay_alu instid0(SALU_CYCLE_1)
	s_and_not1_b32 exec_lo, exec_lo, s0
	s_cbranch_execnz .LBB7_269
.LBB7_270:
	s_or_b32 exec_lo, exec_lo, s1
	s_getpc_b64 s[0:1]
	s_add_u32 s0, s0, __FUNCTION__._ZL18flash_attn_ext_vecILi64ELi1EL9ggml_type6ELS0_3ELb1EEvPKcS2_S2_S2_S2_PKiPfP15HIP_vector_typeIfLj2EEffffjfiS6_IjLj3EEiiiiiiiiiiiliiliiiiil@rel32@lo+4
	s_addc_u32 s1, s1, __FUNCTION__._ZL18flash_attn_ext_vecILi64ELi1EL9ggml_type6ELS0_3ELb1EEvPKcS2_S2_S2_S2_PKiPfP15HIP_vector_typeIfLj2EEffffjfiS6_IjLj3EEiiiiiiiiiiiliiliiiiil@rel32@hi+12
	s_delay_alu instid0(SALU_CYCLE_1) | instskip(SKIP_3) | instid1(SALU_CYCLE_1)
	v_dual_mov_b32 v2, s0 :: v_dual_mov_b32 v3, s1
	s_cmp_lg_u64 s[0:1], 0
	s_mov_b64 s[16:17], s[8:9]
	s_cselect_b32 s4, 19, 0
	v_dual_mov_b32 v5, 0 :: v_dual_mov_b32 v4, s4
	s_getpc_b64 s[2:3]
	s_add_u32 s2, s2, __ockl_printf_append_string_n@rel32@lo+4
	s_addc_u32 s3, s3, __ockl_printf_append_string_n@rel32@hi+12
	s_delay_alu instid0(SALU_CYCLE_1)
	s_swappc_b64 s[30:31], s[2:3]
	v_dual_mov_b32 v2, 0x514 :: v_dual_mov_b32 v3, 0
	v_mov_b32_e32 v4, 1
	s_mov_b64 s[8:9], s[16:17]
	s_getpc_b64 s[0:1]
	s_add_u32 s0, s0, __ockl_printf_append_args@rel32@lo+4
	s_addc_u32 s1, s1, __ockl_printf_append_args@rel32@hi+12
	s_delay_alu instid0(SALU_CYCLE_1)
	s_swappc_b64 s[30:31], s[0:1]
	s_trap 2
	s_sendmsg_rtn_b32 s0, sendmsg(MSG_RTN_GET_DOORBELL)
	s_mov_b32 ttmp2, m0
	s_waitcnt lgkmcnt(0)
	s_and_b32 s0, s0, 0x3ff
	s_delay_alu instid0(SALU_CYCLE_1) | instskip(NEXT) | instid1(SALU_CYCLE_1)
	s_bitset1_b32 s0, 10
	s_mov_b32 m0, s0
	s_sendmsg sendmsg(MSG_INTERRUPT)
	s_mov_b32 m0, ttmp2
.LBB7_271:                              ; =>This Inner Loop Header: Depth=1
	s_sethalt 5
	s_branch .LBB7_271
.Lfunc_end7:
	.size	_ZL14no_device_codePKciS0_iS0_, .Lfunc_end7-_ZL14no_device_codePKciS0_iS0_
                                        ; -- End function
	.section	.AMDGPU.csdata,"",@progbits
; Function info:
; codeLenInByte = 10544
; NumSgprs: 36
; NumVgprs: 37
; ScratchSize: 16
; MemoryBound: 0
	.section	.text._ZL18flash_attn_ext_vecILi64ELi1EL9ggml_type6ELS0_3ELb1EEvPKcS2_S2_S2_S2_PKiPfP15HIP_vector_typeIfLj2EEffffjfiS6_IjLj3EEiiiiiiiiiiiliiliiiiil,"axG",@progbits,_ZL18flash_attn_ext_vecILi64ELi1EL9ggml_type6ELS0_3ELb1EEvPKcS2_S2_S2_S2_PKiPfP15HIP_vector_typeIfLj2EEffffjfiS6_IjLj3EEiiiiiiiiiiiliiliiiiil,comdat
	.globl	_ZL18flash_attn_ext_vecILi64ELi1EL9ggml_type6ELS0_3ELb1EEvPKcS2_S2_S2_S2_PKiPfP15HIP_vector_typeIfLj2EEffffjfiS6_IjLj3EEiiiiiiiiiiiliiliiiiil ; -- Begin function _ZL18flash_attn_ext_vecILi64ELi1EL9ggml_type6ELS0_3ELb1EEvPKcS2_S2_S2_S2_PKiPfP15HIP_vector_typeIfLj2EEffffjfiS6_IjLj3EEiiiiiiiiiiiliiliiiiil
	.p2align	8
	.type	_ZL18flash_attn_ext_vecILi64ELi1EL9ggml_type6ELS0_3ELb1EEvPKcS2_S2_S2_S2_PKiPfP15HIP_vector_typeIfLj2EEffffjfiS6_IjLj3EEiiiiiiiiiiiliiliiiiil,@function
_ZL18flash_attn_ext_vecILi64ELi1EL9ggml_type6ELS0_3ELb1EEvPKcS2_S2_S2_S2_PKiPfP15HIP_vector_typeIfLj2EEffffjfiS6_IjLj3EEiiiiiiiiiiiliiliiiiil: ; @_ZL18flash_attn_ext_vecILi64ELi1EL9ggml_type6ELS0_3ELb1EEvPKcS2_S2_S2_S2_PKiPfP15HIP_vector_typeIfLj2EEffffjfiS6_IjLj3EEiiiiiiiiiiiliiliiiiil
; %bb.0:
	s_add_u32 s8, s0, 0xd0
	s_addc_u32 s9, s1, 0
	s_mov_b32 s32, 0
	s_getpc_b64 s[0:1]
	s_add_u32 s0, s0, _ZL14no_device_codePKciS0_iS0_@rel32@lo+4
	s_addc_u32 s1, s1, _ZL14no_device_codePKciS0_iS0_@rel32@hi+12
	s_delay_alu instid0(SALU_CYCLE_1)
	s_swappc_b64 s[30:31], s[0:1]
	.section	.rodata,"a",@progbits
	.p2align	6, 0x0
	.amdhsa_kernel _ZL18flash_attn_ext_vecILi64ELi1EL9ggml_type6ELS0_3ELb1EEvPKcS2_S2_S2_S2_PKiPfP15HIP_vector_typeIfLj2EEffffjfiS6_IjLj3EEiiiiiiiiiiiliiliiiiil
		.amdhsa_group_segment_fixed_size 0
		.amdhsa_private_segment_fixed_size 16
		.amdhsa_kernarg_size 464
		.amdhsa_user_sgpr_count 15
		.amdhsa_user_sgpr_dispatch_ptr 0
		.amdhsa_user_sgpr_queue_ptr 0
		.amdhsa_user_sgpr_kernarg_segment_ptr 1
		.amdhsa_user_sgpr_dispatch_id 0
		.amdhsa_user_sgpr_private_segment_size 0
		.amdhsa_wavefront_size32 1
		.amdhsa_uses_dynamic_stack 0
		.amdhsa_enable_private_segment 1
		.amdhsa_system_sgpr_workgroup_id_x 1
		.amdhsa_system_sgpr_workgroup_id_y 0
		.amdhsa_system_sgpr_workgroup_id_z 0
		.amdhsa_system_sgpr_workgroup_info 0
		.amdhsa_system_vgpr_workitem_id 0
		.amdhsa_next_free_vgpr 37
		.amdhsa_next_free_sgpr 34
		.amdhsa_reserve_vcc 1
		.amdhsa_float_round_mode_32 0
		.amdhsa_float_round_mode_16_64 0
		.amdhsa_float_denorm_mode_32 3
		.amdhsa_float_denorm_mode_16_64 3
		.amdhsa_dx10_clamp 1
		.amdhsa_ieee_mode 1
		.amdhsa_fp16_overflow 0
		.amdhsa_workgroup_processor_mode 1
		.amdhsa_memory_ordered 1
		.amdhsa_forward_progress 0
		.amdhsa_shared_vgpr_count 0
		.amdhsa_exception_fp_ieee_invalid_op 0
		.amdhsa_exception_fp_denorm_src 0
		.amdhsa_exception_fp_ieee_div_zero 0
		.amdhsa_exception_fp_ieee_overflow 0
		.amdhsa_exception_fp_ieee_underflow 0
		.amdhsa_exception_fp_ieee_inexact 0
		.amdhsa_exception_int_div_zero 0
	.end_amdhsa_kernel
	.section	.text._ZL18flash_attn_ext_vecILi64ELi1EL9ggml_type6ELS0_3ELb1EEvPKcS2_S2_S2_S2_PKiPfP15HIP_vector_typeIfLj2EEffffjfiS6_IjLj3EEiiiiiiiiiiiliiliiiiil,"axG",@progbits,_ZL18flash_attn_ext_vecILi64ELi1EL9ggml_type6ELS0_3ELb1EEvPKcS2_S2_S2_S2_PKiPfP15HIP_vector_typeIfLj2EEffffjfiS6_IjLj3EEiiiiiiiiiiiliiliiiiil,comdat
.Lfunc_end8:
	.size	_ZL18flash_attn_ext_vecILi64ELi1EL9ggml_type6ELS0_3ELb1EEvPKcS2_S2_S2_S2_PKiPfP15HIP_vector_typeIfLj2EEffffjfiS6_IjLj3EEiiiiiiiiiiiliiliiiiil, .Lfunc_end8-_ZL18flash_attn_ext_vecILi64ELi1EL9ggml_type6ELS0_3ELb1EEvPKcS2_S2_S2_S2_PKiPfP15HIP_vector_typeIfLj2EEffffjfiS6_IjLj3EEiiiiiiiiiiiliiliiiiil
                                        ; -- End function
	.section	.AMDGPU.csdata,"",@progbits
; Kernel info:
; codeLenInByte = 44
; NumSgprs: 36
; NumVgprs: 37
; ScratchSize: 16
; MemoryBound: 0
; FloatMode: 240
; IeeeMode: 1
; LDSByteSize: 0 bytes/workgroup (compile time only)
; SGPRBlocks: 4
; VGPRBlocks: 4
; NumSGPRsForWavesPerEU: 36
; NumVGPRsForWavesPerEU: 37
; Occupancy: 16
; WaveLimiterHint : 1
; COMPUTE_PGM_RSRC2:SCRATCH_EN: 1
; COMPUTE_PGM_RSRC2:USER_SGPR: 15
; COMPUTE_PGM_RSRC2:TRAP_HANDLER: 0
; COMPUTE_PGM_RSRC2:TGID_X_EN: 1
; COMPUTE_PGM_RSRC2:TGID_Y_EN: 0
; COMPUTE_PGM_RSRC2:TGID_Z_EN: 0
; COMPUTE_PGM_RSRC2:TIDIG_COMP_CNT: 0
	.section	.text._ZL18flash_attn_ext_vecILi64ELi2EL9ggml_type6ELS0_3ELb0EEvPKcS2_S2_S2_S2_PKiPfP15HIP_vector_typeIfLj2EEffffjfiS6_IjLj3EEiiiiiiiiiiiliiliiiiil,"axG",@progbits,_ZL18flash_attn_ext_vecILi64ELi2EL9ggml_type6ELS0_3ELb0EEvPKcS2_S2_S2_S2_PKiPfP15HIP_vector_typeIfLj2EEffffjfiS6_IjLj3EEiiiiiiiiiiiliiliiiiil,comdat
	.globl	_ZL18flash_attn_ext_vecILi64ELi2EL9ggml_type6ELS0_3ELb0EEvPKcS2_S2_S2_S2_PKiPfP15HIP_vector_typeIfLj2EEffffjfiS6_IjLj3EEiiiiiiiiiiiliiliiiiil ; -- Begin function _ZL18flash_attn_ext_vecILi64ELi2EL9ggml_type6ELS0_3ELb0EEvPKcS2_S2_S2_S2_PKiPfP15HIP_vector_typeIfLj2EEffffjfiS6_IjLj3EEiiiiiiiiiiiliiliiiiil
	.p2align	8
	.type	_ZL18flash_attn_ext_vecILi64ELi2EL9ggml_type6ELS0_3ELb0EEvPKcS2_S2_S2_S2_PKiPfP15HIP_vector_typeIfLj2EEffffjfiS6_IjLj3EEiiiiiiiiiiiliiliiiiil,@function
_ZL18flash_attn_ext_vecILi64ELi2EL9ggml_type6ELS0_3ELb0EEvPKcS2_S2_S2_S2_PKiPfP15HIP_vector_typeIfLj2EEffffjfiS6_IjLj3EEiiiiiiiiiiiliiliiiiil: ; @_ZL18flash_attn_ext_vecILi64ELi2EL9ggml_type6ELS0_3ELb0EEvPKcS2_S2_S2_S2_PKiPfP15HIP_vector_typeIfLj2EEffffjfiS6_IjLj3EEiiiiiiiiiiiliiliiiiil
; %bb.0:
	s_clause 0x2
	s_load_b64 s[34:35], s[2:3], 0x64
	s_load_b64 s[36:37], s[2:3], 0x80
	;; [unrolled: 1-line block ×3, first 2 shown]
	v_mov_b32_e32 v38, 1.0
	s_waitcnt lgkmcnt(0)
	v_cvt_f32_u32_e32 v1, s35
	s_sub_i32 s5, 0, s35
	s_delay_alu instid0(VALU_DEP_1) | instskip(SKIP_2) | instid1(VALU_DEP_1)
	v_rcp_iflag_f32_e32 v1, v1
	s_waitcnt_depctr 0xfff
	v_mul_f32_e32 v1, 0x4f7ffffe, v1
	v_cvt_u32_f32_e32 v1, v1
	s_delay_alu instid0(VALU_DEP_1) | instskip(NEXT) | instid1(VALU_DEP_1)
	v_readfirstlane_b32 s4, v1
	s_mul_i32 s5, s5, s4
	s_delay_alu instid0(SALU_CYCLE_1) | instskip(NEXT) | instid1(SALU_CYCLE_1)
	s_mul_hi_u32 s5, s4, s5
	s_add_i32 s4, s4, s5
	s_delay_alu instid0(SALU_CYCLE_1) | instskip(NEXT) | instid1(SALU_CYCLE_1)
	s_mul_hi_u32 s4, s15, s4
	s_mul_i32 s5, s4, s35
	s_add_i32 s6, s4, 1
	s_sub_i32 s5, s15, s5
	s_delay_alu instid0(SALU_CYCLE_1)
	s_sub_i32 s7, s5, s35
	s_cmp_ge_u32 s5, s35
	s_cselect_b32 s4, s6, s4
	s_cselect_b32 s5, s7, s5
	s_add_i32 s6, s4, 1
	s_cmp_ge_u32 s5, s35
	s_cselect_b32 s33, s6, s4
	s_abs_i32 s4, s37
	s_abs_i32 s8, s35
	v_cvt_f32_u32_e32 v1, s4
	s_sub_i32 s6, 0, s4
	s_xor_b32 s7, s35, s37
	s_delay_alu instid0(SALU_CYCLE_1) | instskip(NEXT) | instid1(VALU_DEP_1)
	s_ashr_i32 s7, s7, 31
	v_rcp_iflag_f32_e32 v1, v1
	s_waitcnt_depctr 0xfff
	v_mul_f32_e32 v1, 0x4f7ffffe, v1
	s_delay_alu instid0(VALU_DEP_1) | instskip(NEXT) | instid1(VALU_DEP_1)
	v_cvt_u32_f32_e32 v1, v1
	v_readfirstlane_b32 s5, v1
	s_delay_alu instid0(VALU_DEP_1) | instskip(NEXT) | instid1(SALU_CYCLE_1)
	s_mul_i32 s6, s6, s5
	s_mul_hi_u32 s6, s5, s6
	s_delay_alu instid0(SALU_CYCLE_1) | instskip(SKIP_4) | instid1(SALU_CYCLE_1)
	s_add_i32 s5, s5, s6
	s_mul_i32 s6, s33, s35
	s_mul_hi_u32 s5, s8, s5
	s_sub_i32 s12, s15, s6
	s_mul_i32 s9, s5, s4
	s_sub_i32 s6, s8, s9
	s_add_i32 s8, s5, 1
	s_sub_i32 s9, s6, s4
	s_cmp_ge_u32 s6, s4
	s_cselect_b32 s5, s8, s5
	s_cselect_b32 s6, s9, s6
	s_add_i32 s8, s5, 1
	s_cmp_ge_u32 s6, s4
	s_cselect_b32 s4, s8, s5
	s_abs_i32 s38, s38
	s_xor_b32 s4, s4, s7
	v_cvt_f32_u32_e32 v1, s38
	s_sub_i32 s41, s4, s7
	s_clause 0x1
	s_load_b128 s[8:11], s[2:3], 0x40
	s_load_b32 s4, s[2:3], 0x50
	s_abs_i32 s40, s41
	v_rcp_iflag_f32_e32 v1, v1
	v_cvt_f32_u32_e32 v2, s40
	s_delay_alu instid0(VALU_DEP_1) | instskip(SKIP_2) | instid1(VALU_DEP_1)
	v_rcp_iflag_f32_e32 v2, v2
	s_waitcnt_depctr 0xfff
	v_mul_f32_e32 v1, 0x4f7ffffe, v1
	v_cvt_u32_f32_e32 v1, v1
	v_mul_f32_e32 v2, 0x4f7ffffe, v2
	s_waitcnt lgkmcnt(0)
	v_cmp_le_f32_e64 s5, s9, 0
	s_delay_alu instid0(VALU_DEP_3) | instskip(NEXT) | instid1(VALU_DEP_3)
	v_readfirstlane_b32 s9, v1
	v_cvt_u32_f32_e32 v2, v2
	s_delay_alu instid0(VALU_DEP_3) | instskip(NEXT) | instid1(VALU_DEP_1)
	s_and_b32 vcc_lo, exec_lo, s5
	v_readfirstlane_b32 s42, v2
	s_cbranch_vccnz .LBB9_2
; %bb.1:
	s_sub_i32 s5, s12, s4
	s_add_i32 s6, s12, 1
	s_lshl_b32 s5, s5, 1
	v_mov_b32_e32 v1, s10
	s_or_b32 s5, s5, 1
	s_cmp_lt_u32 s12, s4
	s_cselect_b32 vcc_lo, -1, 0
	s_delay_alu instid0(VALU_DEP_1)
	v_cndmask_b32_e32 v3, s11, v1, vcc_lo
	s_and_b32 s4, vcc_lo, exec_lo
	s_cselect_b32 s4, s6, s5
	s_mov_b32 s5, 0x3e76c4e1
	v_cvt_f32_i32_e32 v1, s4
	v_cmp_neq_f32_e32 vcc_lo, 1.0, v3
	s_delay_alu instid0(VALU_DEP_2) | instskip(NEXT) | instid1(VALU_DEP_1)
	v_cndmask_b32_e32 v4, 1.0, v1, vcc_lo
	v_cmp_eq_f32_e32 vcc_lo, 0, v4
	v_cndmask_b32_e64 v5, |v3|, 1.0, vcc_lo
	s_delay_alu instid0(VALU_DEP_1) | instskip(NEXT) | instid1(VALU_DEP_1)
	v_frexp_mant_f32_e32 v1, v5
	v_cmp_gt_f32_e64 s4, 0x3f2aaaab, v1
	s_delay_alu instid0(VALU_DEP_1) | instskip(NEXT) | instid1(VALU_DEP_1)
	v_cndmask_b32_e64 v2, 1.0, 2.0, s4
	v_mul_f32_e32 v1, v1, v2
	s_delay_alu instid0(VALU_DEP_1) | instskip(SKIP_1) | instid1(VALU_DEP_2)
	v_add_f32_e32 v2, 1.0, v1
	v_add_f32_e32 v7, -1.0, v1
	v_rcp_f32_e32 v6, v2
	s_waitcnt_depctr 0xfff
	v_mul_f32_e32 v8, v7, v6
	s_delay_alu instid0(VALU_DEP_1) | instskip(NEXT) | instid1(VALU_DEP_1)
	v_dual_add_f32 v9, -1.0, v2 :: v_dual_mul_f32 v10, v2, v8
	v_sub_f32_e32 v1, v1, v9
	v_cndmask_b32_e64 v3, v3, 1.0, vcc_lo
	s_delay_alu instid0(VALU_DEP_3) | instskip(NEXT) | instid1(VALU_DEP_2)
	v_fma_f32 v2, v8, v2, -v10
	v_cmp_eq_f32_e64 s6, 0, v3
	s_delay_alu instid0(VALU_DEP_2) | instskip(NEXT) | instid1(VALU_DEP_1)
	v_fmac_f32_e32 v2, v8, v1
	v_add_f32_e32 v1, v10, v2
	s_delay_alu instid0(VALU_DEP_1) | instskip(NEXT) | instid1(VALU_DEP_1)
	v_dual_sub_f32 v10, v1, v10 :: v_dual_sub_f32 v9, v7, v1
	v_dual_sub_f32 v2, v10, v2 :: v_dual_sub_f32 v7, v7, v9
	s_delay_alu instid0(VALU_DEP_1) | instskip(NEXT) | instid1(VALU_DEP_1)
	v_sub_f32_e32 v1, v7, v1
	v_add_f32_e32 v1, v2, v1
	s_delay_alu instid0(VALU_DEP_1) | instskip(NEXT) | instid1(VALU_DEP_1)
	v_add_f32_e32 v1, v9, v1
	v_mul_f32_e32 v1, v6, v1
	s_delay_alu instid0(VALU_DEP_1) | instskip(NEXT) | instid1(VALU_DEP_1)
	v_add_f32_e32 v6, v8, v1
	v_sub_f32_e32 v2, v6, v8
	v_mul_f32_e32 v7, v6, v6
	s_delay_alu instid0(VALU_DEP_2) | instskip(NEXT) | instid1(VALU_DEP_2)
	v_sub_f32_e32 v8, v1, v2
	v_fma_f32 v9, v6, v6, -v7
	s_delay_alu instid0(VALU_DEP_2) | instskip(NEXT) | instid1(VALU_DEP_1)
	v_add_f32_e32 v1, v8, v8
	v_fmac_f32_e32 v9, v6, v1
	v_cvt_f64_f32_e32 v[1:2], v5
	s_delay_alu instid0(VALU_DEP_2) | instskip(NEXT) | instid1(VALU_DEP_1)
	v_add_f32_e32 v10, v7, v9
	v_fmaak_f32 v11, s5, v10, 0x3e91f4c4
	v_sub_f32_e32 v7, v10, v7
	v_mul_f32_e32 v14, v6, v10
	s_delay_alu instid0(VALU_DEP_3) | instskip(NEXT) | instid1(VALU_DEP_3)
	v_fmaak_f32 v11, v10, v11, 0x3ecccdef
	v_sub_f32_e32 v7, v9, v7
	s_delay_alu instid0(VALU_DEP_2) | instskip(NEXT) | instid1(VALU_DEP_1)
	v_mul_f32_e32 v12, v10, v11
	v_fma_f32 v9, v10, v11, -v12
	s_delay_alu instid0(VALU_DEP_1) | instskip(NEXT) | instid1(VALU_DEP_1)
	v_fmac_f32_e32 v9, v7, v11
	v_add_f32_e32 v11, v12, v9
	v_frexp_exp_i32_f64_e32 v1, v[1:2]
	s_delay_alu instid0(VALU_DEP_2) | instskip(NEXT) | instid1(VALU_DEP_1)
	v_sub_f32_e32 v12, v11, v12
	v_sub_f32_e32 v2, v9, v12
	v_fma_f32 v12, v10, v6, -v14
	s_delay_alu instid0(VALU_DEP_2) | instskip(NEXT) | instid1(VALU_DEP_2)
	v_add_f32_e32 v2, 0x31739010, v2
	v_dual_add_f32 v13, 0x3f2aaaaa, v11 :: v_dual_fmac_f32 v12, v10, v8
	v_ldexp_f32 v8, v8, 1
	s_delay_alu instid0(VALU_DEP_2) | instskip(NEXT) | instid1(VALU_DEP_1)
	v_dual_add_f32 v9, 0xbf2aaaaa, v13 :: v_dual_fmac_f32 v12, v7, v6
	v_sub_f32_e32 v9, v11, v9
	s_delay_alu instid0(VALU_DEP_1) | instskip(NEXT) | instid1(VALU_DEP_3)
	v_add_f32_e32 v2, v2, v9
	v_add_f32_e32 v9, v14, v12
	s_delay_alu instid0(VALU_DEP_2) | instskip(NEXT) | instid1(VALU_DEP_1)
	v_add_f32_e32 v7, v13, v2
	v_sub_f32_e32 v10, v13, v7
	s_delay_alu instid0(VALU_DEP_3) | instskip(SKIP_2) | instid1(VALU_DEP_4)
	v_mul_f32_e32 v11, v9, v7
	v_sub_f32_e32 v13, v9, v14
	v_subrev_co_ci_u32_e64 v1, s4, 0, v1, s4
	v_add_f32_e32 v2, v2, v10
	s_delay_alu instid0(VALU_DEP_4) | instskip(NEXT) | instid1(VALU_DEP_4)
	v_fma_f32 v10, v9, v7, -v11
	v_sub_f32_e32 v12, v12, v13
	s_delay_alu instid0(VALU_DEP_4) | instskip(NEXT) | instid1(VALU_DEP_3)
	v_cvt_f32_i32_e32 v1, v1
	v_fmac_f32_e32 v10, v9, v2
	v_ldexp_f32 v2, v6, 1
	s_delay_alu instid0(VALU_DEP_2) | instskip(NEXT) | instid1(VALU_DEP_1)
	v_fmac_f32_e32 v10, v12, v7
	v_add_f32_e32 v6, v11, v10
	s_delay_alu instid0(VALU_DEP_1) | instskip(NEXT) | instid1(VALU_DEP_1)
	v_add_f32_e32 v7, v2, v6
	v_dual_sub_f32 v2, v7, v2 :: v_dual_sub_f32 v9, v6, v11
	s_delay_alu instid0(VALU_DEP_1) | instskip(NEXT) | instid1(VALU_DEP_2)
	v_sub_f32_e32 v2, v6, v2
	v_sub_f32_e32 v9, v10, v9
	s_delay_alu instid0(VALU_DEP_1) | instskip(NEXT) | instid1(VALU_DEP_1)
	v_add_f32_e32 v6, v8, v9
	v_dual_mul_f32 v11, 0x3f317218, v1 :: v_dual_add_f32 v2, v6, v2
	s_delay_alu instid0(VALU_DEP_1) | instskip(NEXT) | instid1(VALU_DEP_2)
	v_fma_f32 v10, 0x3f317218, v1, -v11
	v_add_f32_e32 v8, v7, v2
	s_delay_alu instid0(VALU_DEP_1) | instskip(NEXT) | instid1(VALU_DEP_1)
	v_sub_f32_e32 v7, v8, v7
	v_dual_fmamk_f32 v1, v1, 0xb102e308, v10 :: v_dual_sub_f32 v2, v2, v7
	s_delay_alu instid0(VALU_DEP_1) | instskip(NEXT) | instid1(VALU_DEP_1)
	v_add_f32_e32 v6, v11, v1
	v_add_f32_e32 v9, v6, v8
	s_delay_alu instid0(VALU_DEP_1) | instskip(NEXT) | instid1(VALU_DEP_1)
	v_dual_sub_f32 v11, v6, v11 :: v_dual_sub_f32 v10, v9, v6
	v_sub_f32_e32 v12, v9, v10
	s_delay_alu instid0(VALU_DEP_2) | instskip(NEXT) | instid1(VALU_DEP_2)
	v_sub_f32_e32 v1, v1, v11
	v_dual_sub_f32 v7, v8, v10 :: v_dual_sub_f32 v6, v6, v12
	s_delay_alu instid0(VALU_DEP_2) | instskip(NEXT) | instid1(VALU_DEP_2)
	v_add_f32_e32 v8, v1, v2
	v_add_f32_e32 v6, v7, v6
	s_delay_alu instid0(VALU_DEP_1) | instskip(NEXT) | instid1(VALU_DEP_1)
	v_add_f32_e32 v6, v8, v6
	v_dual_sub_f32 v7, v8, v1 :: v_dual_add_f32 v10, v9, v6
	s_delay_alu instid0(VALU_DEP_1) | instskip(SKIP_1) | instid1(VALU_DEP_3)
	v_sub_f32_e32 v8, v8, v7
	v_sub_f32_e32 v2, v2, v7
	;; [unrolled: 1-line block ×3, first 2 shown]
	s_delay_alu instid0(VALU_DEP_3) | instskip(NEXT) | instid1(VALU_DEP_1)
	v_sub_f32_e32 v1, v1, v8
	v_add_f32_e32 v1, v2, v1
	s_delay_alu instid0(VALU_DEP_3) | instskip(NEXT) | instid1(VALU_DEP_1)
	v_sub_f32_e32 v2, v6, v7
	v_add_f32_e32 v1, v1, v2
	s_delay_alu instid0(VALU_DEP_1) | instskip(NEXT) | instid1(VALU_DEP_1)
	v_add_f32_e32 v2, v10, v1
	v_mul_f32_e32 v7, v4, v2
	v_sub_f32_e32 v6, v2, v10
	s_delay_alu instid0(VALU_DEP_2) | instskip(NEXT) | instid1(VALU_DEP_2)
	v_fma_f32 v2, v4, v2, -v7
	v_sub_f32_e32 v1, v1, v6
	v_cmp_class_f32_e64 s4, v7, 0x204
	s_delay_alu instid0(VALU_DEP_2) | instskip(NEXT) | instid1(VALU_DEP_1)
	v_fmac_f32_e32 v2, v4, v1
	v_add_f32_e32 v1, v7, v2
	s_delay_alu instid0(VALU_DEP_1) | instskip(NEXT) | instid1(VALU_DEP_1)
	v_cndmask_b32_e64 v6, v1, v7, s4
	v_cmp_eq_f32_e64 s4, 0x42b17218, v6
	s_delay_alu instid0(VALU_DEP_1) | instskip(SKIP_1) | instid1(VALU_DEP_2)
	v_cndmask_b32_e64 v8, 0, 0x37000000, s4
	v_cmp_neq_f32_e64 s4, 0x7f800000, |v6|
	v_sub_f32_e32 v9, v6, v8
	v_trunc_f32_e32 v6, v4
	s_delay_alu instid0(VALU_DEP_2) | instskip(NEXT) | instid1(VALU_DEP_1)
	v_mul_f32_e32 v10, 0x3fb8aa3b, v9
	v_fma_f32 v11, 0x3fb8aa3b, v9, -v10
	v_rndne_f32_e32 v12, v10
	s_delay_alu instid0(VALU_DEP_1) | instskip(NEXT) | instid1(VALU_DEP_1)
	v_dual_fmamk_f32 v11, v9, 0x32a5705f, v11 :: v_dual_sub_f32 v10, v10, v12
	v_add_f32_e32 v10, v10, v11
	v_sub_f32_e32 v1, v1, v7
	v_cvt_i32_f32_e32 v7, v12
	s_delay_alu instid0(VALU_DEP_3) | instskip(NEXT) | instid1(VALU_DEP_2)
	v_exp_f32_e32 v10, v10
	v_sub_f32_e32 v1, v2, v1
	s_delay_alu instid0(VALU_DEP_1)
	v_cndmask_b32_e64 v1, 0, v1, s4
	v_cmp_ngt_f32_e64 s4, 0xc2ce8ed0, v9
	s_waitcnt_depctr 0xfff
	v_ldexp_f32 v2, v10, v7
	v_mul_f32_e32 v7, 0.5, v4
	v_add_f32_e32 v1, v8, v1
	s_delay_alu instid0(VALU_DEP_3) | instskip(NEXT) | instid1(VALU_DEP_3)
	v_cndmask_b32_e64 v2, 0, v2, s4
	v_trunc_f32_e32 v10, v7
	v_cmp_nlt_f32_e64 s4, 0x42b17218, v9
	s_delay_alu instid0(VALU_DEP_2) | instskip(NEXT) | instid1(VALU_DEP_2)
	v_cmp_neq_f32_e64 s5, v10, v7
	v_cndmask_b32_e64 v2, 0x7f800000, v2, s4
	v_cmp_eq_f32_e64 s4, v6, v4
	s_delay_alu instid0(VALU_DEP_2) | instskip(NEXT) | instid1(VALU_DEP_2)
	v_fma_f32 v1, v2, v1, v2
	s_and_b32 vcc_lo, s4, s5
	v_cmp_class_f32_e64 s5, v2, 0x204
	v_cndmask_b32_e32 v6, 1.0, v3, vcc_lo
	s_delay_alu instid0(VALU_DEP_2) | instskip(SKIP_1) | instid1(VALU_DEP_2)
	v_cndmask_b32_e64 v1, v1, v2, s5
	v_cmp_gt_f32_e64 s5, 0, v4
	v_bfi_b32 v1, 0x7fffffff, v1, v6
	s_delay_alu instid0(VALU_DEP_2)
	s_xor_b32 s5, s5, s6
	v_cndmask_b32_e32 v6, 0, v3, vcc_lo
	v_cndmask_b32_e64 v2, 0x7f800000, 0, s5
	v_cmp_eq_f32_e32 vcc_lo, 0x7f800000, v5
	v_cndmask_b32_e64 v4, 0x7fc00000, v1, s4
	v_cmp_gt_f32_e64 s4, 0, v3
	s_delay_alu instid0(VALU_DEP_4) | instskip(SKIP_1) | instid1(VALU_DEP_2)
	v_bfi_b32 v2, 0x7fffffff, v2, v6
	s_or_b32 vcc_lo, vcc_lo, s6
	v_cndmask_b32_e64 v1, v1, v4, s4
	s_delay_alu instid0(VALU_DEP_1) | instskip(SKIP_1) | instid1(VALU_DEP_2)
	v_cndmask_b32_e32 v1, v1, v2, vcc_lo
	v_cmp_o_f32_e32 vcc_lo, v3, v3
	v_cndmask_b32_e32 v38, 0x7fc00000, v1, vcc_lo
.LBB9_2:
	s_load_b64 s[0:1], s[0:1], 0x4
	v_bfe_u32 v33, v0, 10, 10
	v_and_b32_e32 v32, 0x3ff, v0
	s_load_b512 s[16:31], s[2:3], 0x0
	v_bfe_u32 v0, v0, 20, 10
	s_lshl_b32 s15, s13, 1
	s_mov_b32 s6, exec_lo
	s_waitcnt lgkmcnt(0)
	v_mul_u32_u24_e32 v1, s1, v33
	s_lshr_b32 s0, s0, 16
	s_delay_alu instid0(SALU_CYCLE_1)
	s_mul_i32 s0, s0, s1
	s_delay_alu instid0(VALU_DEP_1) | instid1(SALU_CYCLE_1)
	v_mad_u32_u24 v1, s0, v32, v1
	v_cmp_lt_u32_e64 s0, 1, v33
	s_delay_alu instid0(VALU_DEP_2) | instskip(NEXT) | instid1(VALU_DEP_1)
	v_add_lshl_u32 v8, v1, v0, 4
	v_dual_mov_b32 v4, 0 :: v_dual_add_nc_u32 v1, 0x400, v8
	v_add_nc_u32_e32 v0, 0x604, v8
	ds_store_2addr_b32 v0, v4, v4 offset1:1
	ds_store_2addr_b32 v1, v4, v4 offset0:128 offset1:131
	v_cmpx_gt_u32_e32 2, v33
	s_cbranch_execz .LBB9_23
; %bb.3:
	v_or_b32_e32 v0, s15, v33
	v_lshlrev_b32_e32 v2, 7, v33
	s_mov_b32 s1, exec_lo
	s_delay_alu instid0(VALU_DEP_2)
	v_cmpx_le_i32_e64 s34, v0
	s_xor_b32 s1, exec_lo, s1
	s_cbranch_execz .LBB9_9
; %bb.4:
	s_mov_b32 s4, exec_lo
	v_cmpx_gt_u32_e32 16, v32
	s_cbranch_execz .LBB9_6
; %bb.5:
	v_lshl_add_u32 v0, v32, 2, v2
	v_mov_b32_e32 v1, 0
	ds_store_b32 v0, v1
.LBB9_6:
	s_or_b32 exec_lo, exec_lo, s4
	s_delay_alu instid0(SALU_CYCLE_1)
	s_mov_b32 s4, exec_lo
	v_cmpx_gt_u32_e32 2, v32
	s_cbranch_execz .LBB9_8
; %bb.7:
	v_mov_b32_e32 v0, 0
	v_lshl_add_u32 v2, v32, 3, v2
	s_delay_alu instid0(VALU_DEP_2)
	v_mov_b32_e32 v1, v0
	ds_store_b64 v2, v[0:1] offset:64
.LBB9_8:
	s_or_b32 exec_lo, exec_lo, s4
                                        ; implicit-def: $vgpr2
.LBB9_9:
	s_and_not1_saveexec_b32 s1, s1
	s_cbranch_execz .LBB9_23
; %bb.10:
	s_load_b128 s[44:47], s[2:3], 0x70
	v_lshlrev_b32_e32 v1, 4, v32
	v_cmp_gt_u32_e32 vcc_lo, 16, v32
	v_mov_b32_e32 v5, 0
	s_waitcnt lgkmcnt(0)
	v_mul_lo_u32 v0, v33, s44
	s_mul_i32 s1, s33, s46
	s_mul_i32 s4, s15, s44
	s_mul_i32 s5, s12, s45
	s_add_i32 s1, s1, s4
	s_delay_alu instid0(SALU_CYCLE_1) | instskip(NEXT) | instid1(SALU_CYCLE_1)
	s_add_i32 s1, s1, s5
	s_ashr_i32 s4, s1, 31
	s_delay_alu instid0(VALU_DEP_1) | instskip(SKIP_3) | instid1(VALU_DEP_1)
	v_ashrrev_i32_e32 v3, 31, v0
	s_add_u32 s1, s16, s1
	s_addc_u32 s4, s17, s4
	v_add_co_u32 v0, s1, s1, v0
	v_add_co_ci_u32_e64 v3, s1, s4, v3, s1
	s_delay_alu instid0(VALU_DEP_2) | instskip(NEXT) | instid1(VALU_DEP_1)
	v_add_co_u32 v0, s1, v0, v1
	v_add_co_ci_u32_e64 v1, s1, 0, v3, s1
	v_mov_b32_e32 v3, 0
	s_and_saveexec_b32 s1, vcc_lo
	s_cbranch_execz .LBB9_12
; %bb.11:
	global_load_b32 v3, v[0:1], off
	s_waitcnt vmcnt(0)
	v_mul_f32_e32 v3, s8, v3
.LBB9_12:
	s_or_b32 exec_lo, exec_lo, s1
	s_and_saveexec_b32 s1, vcc_lo
	s_cbranch_execz .LBB9_14
; %bb.13:
	global_load_b32 v5, v[0:1], off offset:4
	s_waitcnt vmcnt(0)
	v_mul_f32_e32 v5, s8, v5
.LBB9_14:
	s_or_b32 exec_lo, exec_lo, s1
	v_dual_mov_b32 v6, 0 :: v_dual_mov_b32 v7, 0
	s_and_saveexec_b32 s1, vcc_lo
	s_cbranch_execz .LBB9_16
; %bb.15:
	global_load_b32 v7, v[0:1], off offset:8
	s_waitcnt vmcnt(0)
	v_mul_f32_e32 v7, s8, v7
.LBB9_16:
	s_or_b32 exec_lo, exec_lo, s1
	s_and_saveexec_b32 s1, vcc_lo
	s_cbranch_execz .LBB9_18
; %bb.17:
	global_load_b32 v0, v[0:1], off offset:12
	s_waitcnt vmcnt(0)
	v_mul_f32_e32 v6, s8, v0
.LBB9_18:
	s_or_b32 exec_lo, exec_lo, s1
	v_mbcnt_lo_u32_b32 v0, -1, 0
	v_max_f32_e64 v1, |v5|, |v5|
	v_max_f32_e64 v9, |v3|, |v3|
	s_mov_b32 s7, exec_lo
	s_delay_alu instid0(VALU_DEP_3) | instskip(SKIP_1) | instid1(VALU_DEP_3)
	v_xor_b32_e32 v10, 4, v0
	v_xor_b32_e32 v11, 2, v0
	v_max_f32_e32 v1, v9, v1
	v_xor_b32_e32 v12, 1, v0
	s_delay_alu instid0(VALU_DEP_4) | instskip(NEXT) | instid1(VALU_DEP_3)
	v_cmp_gt_i32_e32 vcc_lo, 32, v10
	v_max3_f32 v1, v1, |v7|, |v6|
	v_cndmask_b32_e32 v9, v0, v10, vcc_lo
	v_cmp_gt_i32_e32 vcc_lo, 32, v11
	v_cndmask_b32_e32 v11, v0, v11, vcc_lo
	v_cmp_gt_i32_e32 vcc_lo, 32, v12
	v_cndmask_b32_e32 v0, v0, v12, vcc_lo
	v_add_f32_e32 v12, v3, v5
	s_delay_alu instid0(VALU_DEP_2) | instskip(NEXT) | instid1(VALU_DEP_2)
	v_lshlrev_b32_e32 v0, 2, v0
	v_dual_add_f32 v12, v12, v7 :: v_dual_lshlrev_b32 v9, 2, v9
	v_lshlrev_b32_e32 v11, 2, v11
	ds_bpermute_b32 v10, v9, v1
	v_add_f32_e32 v12, v12, v6
	s_waitcnt lgkmcnt(0)
	v_max_f32_e32 v10, v10, v10
	s_delay_alu instid0(VALU_DEP_1)
	v_max_f32_e32 v1, v1, v10
	ds_bpermute_b32 v10, v11, v1
	s_waitcnt lgkmcnt(0)
	v_max_f32_e32 v10, v10, v10
	ds_bpermute_b32 v9, v9, v12
	v_max_f32_e32 v1, v1, v10
	ds_bpermute_b32 v10, v0, v1
	s_waitcnt lgkmcnt(0)
	v_max_f32_e32 v10, v10, v10
	s_delay_alu instid0(VALU_DEP_1) | instskip(NEXT) | instid1(VALU_DEP_1)
	v_dual_max_f32 v10, v1, v10 :: v_dual_add_f32 v1, v12, v9
	v_div_scale_f32 v13, null, 0x42fe0000, 0x42fe0000, v10
	ds_bpermute_b32 v11, v11, v1
	v_div_scale_f32 v12, vcc_lo, v10, 0x42fe0000, v10
	v_rcp_f32_e32 v14, v13
	s_waitcnt_depctr 0xfff
	v_fma_f32 v9, -v13, v14, 1.0
	s_delay_alu instid0(VALU_DEP_1) | instskip(SKIP_2) | instid1(VALU_DEP_2)
	v_fmac_f32_e32 v14, v9, v14
	s_waitcnt lgkmcnt(0)
	v_add_f32_e32 v1, v1, v11
	v_mul_f32_e32 v15, v12, v14
	s_delay_alu instid0(VALU_DEP_1) | instskip(NEXT) | instid1(VALU_DEP_1)
	v_fma_f32 v9, -v13, v15, v12
	v_fmac_f32_e32 v15, v9, v14
	ds_bpermute_b32 v9, v0, v1
	v_fma_f32 v11, -v13, v15, v12
	s_delay_alu instid0(VALU_DEP_1) | instskip(NEXT) | instid1(VALU_DEP_1)
	v_div_fmas_f32 v0, v11, v14, v15
	v_div_fixup_f32 v0, v0, 0x42fe0000, v10
	v_mov_b32_e32 v10, 0
	s_delay_alu instid0(VALU_DEP_2)
	v_cmpx_neq_f32_e32 0, v0
	s_cbranch_execz .LBB9_20
; %bb.19:
	v_div_scale_f32 v10, null, v0, v0, v3
	v_div_scale_f32 v11, null, v0, v0, v5
	;; [unrolled: 1-line block ×3, first 2 shown]
	s_delay_alu instid0(VALU_DEP_3) | instskip(SKIP_1) | instid1(VALU_DEP_3)
	v_rcp_f32_e32 v12, v10
	v_div_scale_f32 v14, null, v0, v0, v6
	v_rcp_f32_e32 v15, v11
	s_delay_alu instid0(VALU_DEP_2) | instskip(SKIP_1) | instid1(VALU_DEP_2)
	v_rcp_f32_e32 v16, v13
	v_div_scale_f32 v20, vcc_lo, v3, v0, v3
	v_rcp_f32_e32 v17, v14
	v_fma_f32 v18, -v10, v12, 1.0
	s_delay_alu instid0(TRANS32_DEP_3)
	v_fma_f32 v19, -v11, v15, 1.0
	s_waitcnt_depctr 0xfff
	v_fma_f32 v21, -v13, v16, 1.0
	v_fmac_f32_e32 v12, v18, v12
	v_div_scale_f32 v18, s1, v5, v0, v5
	v_fmac_f32_e32 v15, v19, v15
	v_fma_f32 v22, -v14, v17, 1.0
	v_fmac_f32_e32 v16, v21, v16
	v_div_scale_f32 v19, s4, v7, v0, v7
	s_delay_alu instid0(VALU_DEP_4) | instskip(NEXT) | instid1(VALU_DEP_4)
	v_mul_f32_e32 v23, v18, v15
	v_dual_fmac_f32 v17, v22, v17 :: v_dual_mul_f32 v22, v20, v12
	v_div_scale_f32 v21, s5, v6, v0, v6
	s_delay_alu instid0(VALU_DEP_4) | instskip(NEXT) | instid1(VALU_DEP_4)
	v_mul_f32_e32 v24, v19, v16
	v_fma_f32 v27, -v11, v23, v18
	s_delay_alu instid0(VALU_DEP_4) | instskip(NEXT) | instid1(VALU_DEP_4)
	v_fma_f32 v26, -v10, v22, v20
	v_mul_f32_e32 v25, v21, v17
	s_delay_alu instid0(VALU_DEP_4) | instskip(NEXT) | instid1(VALU_DEP_3)
	v_fma_f32 v28, -v13, v24, v19
	v_dual_fmac_f32 v23, v27, v15 :: v_dual_fmac_f32 v22, v26, v12
	s_delay_alu instid0(VALU_DEP_3) | instskip(NEXT) | instid1(VALU_DEP_3)
	v_fma_f32 v29, -v14, v25, v21
	v_fmac_f32_e32 v24, v28, v16
	s_delay_alu instid0(VALU_DEP_3) | instskip(NEXT) | instid1(VALU_DEP_4)
	v_fma_f32 v11, -v11, v23, v18
	v_fma_f32 v10, -v10, v22, v20
	s_delay_alu instid0(VALU_DEP_4) | instskip(NEXT) | instid1(VALU_DEP_4)
	v_fmac_f32_e32 v25, v29, v17
	v_fma_f32 v13, -v13, v24, v19
	s_delay_alu instid0(VALU_DEP_3) | instskip(SKIP_3) | instid1(VALU_DEP_2)
	v_div_fmas_f32 v10, v10, v12, v22
	s_mov_b32 vcc_lo, s1
	v_div_fmas_f32 v11, v11, v15, v23
	s_mov_b32 vcc_lo, s4
	v_div_fixup_f32 v3, v10, v0, v3
	v_div_fmas_f32 v12, v13, v16, v24
	v_fma_f32 v13, -v14, v25, v21
	s_mov_b32 vcc_lo, s5
	v_div_fixup_f32 v5, v11, v0, v5
	v_trunc_f32_e32 v15, v3
	v_div_fixup_f32 v7, v12, v0, v7
	v_div_fmas_f32 v12, v13, v17, v25
	s_delay_alu instid0(VALU_DEP_2) | instskip(NEXT) | instid1(VALU_DEP_2)
	v_trunc_f32_e32 v11, v7
	v_div_fixup_f32 v6, v12, v0, v6
	v_trunc_f32_e32 v12, v5
	s_delay_alu instid0(VALU_DEP_3) | instskip(NEXT) | instid1(VALU_DEP_3)
	v_sub_f32_e32 v13, v7, v11
	v_trunc_f32_e32 v10, v6
	s_delay_alu instid0(VALU_DEP_3) | instskip(NEXT) | instid1(VALU_DEP_3)
	v_sub_f32_e32 v14, v5, v12
	v_cmp_ge_f32_e64 s1, |v13|, 0.5
	s_delay_alu instid0(VALU_DEP_3) | instskip(NEXT) | instid1(VALU_DEP_2)
	v_sub_f32_e32 v16, v6, v10
	v_cndmask_b32_e64 v13, 0, 1.0, s1
	s_delay_alu instid0(VALU_DEP_4) | instskip(NEXT) | instid1(VALU_DEP_2)
	v_cmp_ge_f32_e64 s1, |v14|, 0.5
	v_bfi_b32 v7, 0x7fffffff, v13, v7
	v_sub_f32_e32 v13, v3, v15
	s_delay_alu instid0(VALU_DEP_3) | instskip(SKIP_1) | instid1(VALU_DEP_2)
	v_cndmask_b32_e64 v14, 0, 1.0, s1
	v_cmp_ge_f32_e64 s1, |v16|, 0.5
	v_bfi_b32 v5, 0x7fffffff, v14, v5
	s_delay_alu instid0(VALU_DEP_2) | instskip(SKIP_1) | instid1(VALU_DEP_3)
	v_cndmask_b32_e64 v16, 0, 1.0, s1
	v_cmp_ge_f32_e64 s1, |v13|, 0.5
	v_add_f32_e32 v5, v12, v5
	s_delay_alu instid0(VALU_DEP_3) | instskip(SKIP_1) | instid1(VALU_DEP_4)
	v_bfi_b32 v6, 0x7fffffff, v16, v6
	v_add_f32_e32 v7, v11, v7
	v_cndmask_b32_e64 v11, 0, 1.0, s1
	s_delay_alu instid0(VALU_DEP_4) | instskip(NEXT) | instid1(VALU_DEP_4)
	v_cvt_i32_f32_e32 v5, v5
	v_add_f32_e32 v6, v10, v6
	s_delay_alu instid0(VALU_DEP_4) | instskip(NEXT) | instid1(VALU_DEP_4)
	v_cvt_i32_f32_e32 v7, v7
	v_bfi_b32 v3, 0x7fffffff, v11, v3
	s_delay_alu instid0(VALU_DEP_4) | instskip(NEXT) | instid1(VALU_DEP_4)
	v_and_b32_e32 v5, 0xff, v5
	v_cvt_i32_f32_e32 v6, v6
	s_delay_alu instid0(VALU_DEP_4) | instskip(NEXT) | instid1(VALU_DEP_4)
	v_and_b32_e32 v7, 0xff, v7
	v_add_f32_e32 v3, v15, v3
	s_delay_alu instid0(VALU_DEP_4) | instskip(NEXT) | instid1(VALU_DEP_3)
	v_lshlrev_b32_e32 v5, 8, v5
	v_lshlrev_b32_e32 v7, 16, v7
	s_delay_alu instid0(VALU_DEP_3) | instskip(NEXT) | instid1(VALU_DEP_2)
	v_cvt_i32_f32_e32 v3, v3
	v_lshl_or_b32 v6, v6, 24, v7
	s_delay_alu instid0(VALU_DEP_2) | instskip(NEXT) | instid1(VALU_DEP_1)
	v_and_b32_e32 v3, 0xff, v3
	v_or3_b32 v10, v6, v5, v3
.LBB9_20:
	s_or_b32 exec_lo, exec_lo, s7
	v_and_b32_e32 v3, 0x77, v32
	v_lshl_add_u32 v5, v32, 2, v2
	s_mov_b32 s1, exec_lo
	ds_store_b32 v5, v10
	v_cmpx_eq_u32_e32 0, v3
	s_cbranch_execz .LBB9_22
; %bb.21:
	s_waitcnt lgkmcnt(1)
	v_dual_add_f32 v1, v1, v9 :: v_dual_add_nc_u32 v2, v2, v32
	ds_store_b64 v2, v[0:1] offset:64
.LBB9_22:
	s_or_b32 exec_lo, exec_lo, s1
.LBB9_23:
	s_delay_alu instid0(SALU_CYCLE_1)
	s_or_b32 exec_lo, exec_lo, s6
	v_and_b32_e32 v10, 1, v32
	s_waitcnt lgkmcnt(0)
	s_barrier
	buffer_gl0_inv
	s_cmp_eq_u64 s[26:27], 0
	v_lshlrev_b32_e32 v40, 2, v10
	s_mov_b32 s37, s36
	ds_load_2addr_b32 v[12:13], v40 offset1:2
	ds_load_2addr_b32 v[14:15], v40 offset0:4 offset1:6
	ds_load_2addr_b32 v[16:17], v40 offset0:8 offset1:10
	;; [unrolled: 1-line block ×4, first 2 shown]
	ds_load_b128 v[0:3], v4 offset:64
	ds_load_b128 v[4:7], v4 offset:192
	ds_load_2addr_b32 v[22:23], v40 offset0:36 offset1:38
	ds_load_2addr_b32 v[24:25], v40 offset0:40 offset1:42
	;; [unrolled: 1-line block ×3, first 2 shown]
	s_waitcnt lgkmcnt(0)
	s_barrier
	buffer_gl0_inv
	s_cbranch_scc1 .LBB9_25
; %bb.24:
	s_load_b32 s1, s[2:3], 0xd0
	s_mov_b32 s5, 0
	s_waitcnt lgkmcnt(0)
	s_mul_i32 s1, s1, s33
	s_delay_alu instid0(SALU_CYCLE_1) | instskip(NEXT) | instid1(SALU_CYCLE_1)
	s_add_i32 s4, s1, s13
	s_lshl_b64 s[4:5], s[4:5], 2
	s_delay_alu instid0(SALU_CYCLE_1)
	s_add_u32 s4, s26, s4
	s_addc_u32 s5, s27, s5
	s_load_b32 s37, s[4:5], 0x0
.LBB9_25:
	s_mov_b32 s10, 0
	s_mov_b32 s4, 0xfeffffff
	;; [unrolled: 1-line block ×3, first 2 shown]
	v_lshlrev_b32_e32 v11, 5, v33
	v_dual_mov_b32 v29, s11 :: v_dual_lshlrev_b32 v36, 2, v32
	s_mov_b32 s5, s4
	v_mov_b32_e32 v28, s10
	s_delay_alu instid0(VALU_DEP_3) | instskip(SKIP_2) | instid1(VALU_DEP_3)
	v_dual_mov_b32 v31, s5 :: v_dual_add_nc_u32 v34, v11, v32
	v_dual_mov_b32 v30, s4 :: v_dual_add_nc_u32 v37, 0x600, v8
	v_mbcnt_lo_u32_b32 v39, -1, 0
	v_lshlrev_b32_e32 v35, 1, v34
	s_lshl_b32 s8, s14, 7
	s_waitcnt lgkmcnt(0)
	s_cmp_ge_i32 s8, s37
	s_cbranch_scc1 .LBB9_38
; %bb.26:
	s_clause 0x1
	s_load_b128 s[4:7], s[2:3], 0x98
	s_load_b64 s[16:17], s[2:3], 0x8c
	s_sub_i32 s1, 0, s40
	s_sub_i32 s11, 0, s38
	s_mul_i32 s1, s1, s42
	s_abs_i32 s13, s12
	s_mul_hi_u32 s1, s42, s1
	s_mul_i32 s11, s11, s9
	s_add_i32 s42, s42, s1
	s_mul_hi_u32 s1, s9, s11
	s_mul_hi_u32 s11, s13, s42
	s_ashr_i32 s27, s41, 31
	s_ashr_i32 s51, s33, 31
	s_add_i32 s9, s9, s1
	s_mul_i32 s1, s11, s40
	s_ashr_i32 s26, s12, 31
	s_sub_i32 s1, s13, s1
	s_abs_i32 s43, s33
	s_xor_b32 s26, s26, s27
	s_add_i32 s27, s11, 1
	s_waitcnt lgkmcnt(0)
	s_mul_i32 s5, s33, s5
	s_mul_hi_u32 s41, s33, s4
	s_mul_i32 s42, s51, s4
	s_add_i32 s5, s41, s5
	s_mul_i32 s47, s33, s4
	s_add_i32 s42, s5, s42
	s_sub_i32 s5, s1, s40
	s_cmp_ge_u32 s1, s40
	v_xor_b32_e32 v9, 1, v39
	s_cselect_b32 s11, s27, s11
	s_cselect_b32 s1, s5, s1
	s_add_i32 s5, s11, 1
	s_cmp_ge_u32 s1, s40
	v_xor_b32_e32 v43, 8, v39
	s_cselect_b32 s1, s5, s11
	s_mul_hi_u32 s5, s43, s9
	s_xor_b32 s1, s1, s26
	s_mul_i32 s5, s5, s38
	s_sub_i32 s45, s1, s26
	s_sub_i32 s1, s43, s5
	s_mul_i32 s43, s45, s17
	s_mul_i32 s45, s45, s7
	s_ashr_i32 s44, s43, 31
	s_ashr_i32 s46, s45, 31
	s_sub_i32 s5, s1, s38
	s_load_b64 s[26:27], s[2:3], 0xc8
	s_cmp_ge_u32 s1, s38
	v_xor_b32_e32 v31, 4, v39
	s_cselect_b32 s1, s5, s1
	v_and_b32_e32 v28, 0x7e, v32
	s_sub_i32 s5, s1, s38
	s_cmp_ge_u32 s1, s38
	v_lshrrev_b32_e32 v30, 4, v32
	s_cselect_b32 s1, s5, s1
	s_load_b32 s5, s[2:3], 0xd4
	s_xor_b32 s1, s1, s51
	s_load_b64 s[40:41], s[2:3], 0xa8
	s_sub_i32 s49, s1, s51
	v_add_nc_u32_e32 v53, v11, v30
	s_ashr_i32 s9, s49, 31
	v_bfe_u32 v42, v32, 3, 1
	v_or_b32_e32 v51, v11, v30
	v_dual_add_f32 v1, v1, v1 :: v_dual_and_b32 v46, 12, v36
	v_dual_add_f32 v7, v7, v7 :: v_dual_add_nc_u32 v54, 2, v53
	s_waitcnt lgkmcnt(0)
	s_mul_i32 s1, s49, s27
	s_mul_hi_u32 s7, s49, s26
	s_mul_i32 s9, s9, s26
	s_add_i32 s48, s7, s1
	s_mul_i32 s7, s15, s39
	s_add_i32 s48, s48, s9
	s_ashr_i32 s13, s7, 31
	s_cmp_lg_u64 s[22:23], 0
	s_mov_b32 s9, s10
	s_cselect_b32 s11, -1, 0
	s_lshl_b32 s4, s5, 7
	s_cmp_lt_i32 s15, s34
	s_mov_b32 s5, s10
	s_cselect_b32 s1, -1, 0
	s_or_b32 s10, s15, 1
	s_and_b32 s38, s11, s1
	v_cmp_eq_u32_e64 s1, 0, v10
	v_xor_b32_e32 v10, 2, v39
	v_and_b32_e32 v8, 30, v39
	s_cmp_lt_i32 s10, s34
	v_mul_u32_u24_e32 v30, 20, v42
	s_cselect_b32 s10, -1, 0
	s_mul_i32 s49, s49, s26
	v_add_nc_u32_e32 v8, 2, v8
	s_and_b32 s39, s11, s10
	s_ashr_i32 s10, s36, 31
	s_mul_i32 s41, s33, s41
	v_add_f32_e32 v3, v3, v3
	v_cmp_lt_i32_e32 vcc_lo, v9, v8
	s_mul_i32 s51, s51, s40
	v_mul_lo_u32 v54, s6, v54
	v_dual_mov_b32 v131, 0xfeffffff :: v_dual_add_nc_u32 v58, 30, v53
	v_cndmask_b32_e32 v8, v39, v9, vcc_lo
	v_cmp_gt_i32_e32 vcc_lo, 32, v10
	v_add_nc_u32_e32 v9, v11, v28
	v_add_nc_u32_e32 v59, 4, v53
	v_or_b32_e32 v126, 8, v40
	v_or_b32_e32 v127, 16, v40
	v_cndmask_b32_e32 v47, v39, v10, vcc_lo
	v_cmp_gt_i32_e32 vcc_lo, 32, v31
	v_xor_b32_e32 v10, 16, v39
	v_add_nc_u32_e32 v28, s36, v9
	v_or_b32_e32 v128, 24, v40
	v_dual_cndmask_b32 v48, v39, v31 :: v_dual_and_b32 v129, 4, v32
	v_cmp_gt_i32_e32 vcc_lo, 32, v43
	v_mul_hi_u32_u24_e32 v31, 20, v42
	v_ashrrev_i32_e32 v29, 31, v28
	s_mul_i32 s17, s8, s6
                                        ; implicit-def: $vgpr130
	v_dual_mov_b32 v132, 0xfeffffff :: v_dual_cndmask_b32 v49, v39, v43
	v_cmp_gt_i32_e32 vcc_lo, 32, v10
	v_mad_u64_u32 v[44:45], null, s33, s40, v[30:31]
	v_lshlrev_b64 v[28:29], 1, v[28:29]
	v_mul_lo_u32 v30, s6, v53
	v_cndmask_b32_e32 v50, v39, v10, vcc_lo
	v_add_co_u32 v10, s11, v9, s36
	s_delay_alu instid0(VALU_DEP_1)
	v_add_co_ci_u32_e64 v11, null, 0, s10, s11
	s_add_u32 s10, s18, s43
	s_addc_u32 s11, s19, s44
	s_add_u32 s36, s10, s47
	s_addc_u32 s50, s11, s42
	s_lshl_b64 s[26:27], s[8:9], 1
	v_lshlrev_b64 v[10:11], 1, v[10:11]
	s_add_u32 s9, s22, s26
	s_addc_u32 s52, s23, s27
	s_add_u32 s9, s9, s49
	s_addc_u32 s52, s52, s48
	v_add_co_u32 v42, vcc_lo, s9, v28
	v_add3_u32 v28, s41, s51, v45
	v_add_co_ci_u32_e32 v43, vcc_lo, s52, v29, vcc_lo
	v_add_co_u32 v29, vcc_lo, v44, s45
	s_delay_alu instid0(VALU_DEP_3) | instskip(SKIP_4) | instid1(VALU_DEP_4)
	v_add_co_ci_u32_e32 v31, vcc_lo, s46, v28, vcc_lo
	v_ashrrev_i32_e32 v45, 31, v30
	v_add_co_u32 v10, vcc_lo, s9, v10
	v_add_co_ci_u32_e32 v11, vcc_lo, s52, v11, vcc_lo
	v_add_co_u32 v29, vcc_lo, v29, v30
	v_add_co_ci_u32_e32 v31, vcc_lo, v31, v45, vcc_lo
	;; [unrolled: 2-line block ×3, first 2 shown]
	v_add_f32_e32 v5, v5, v5
	s_delay_alu instid0(VALU_DEP_3) | instskip(NEXT) | instid1(VALU_DEP_3)
	v_add_co_u32 v56, vcc_lo, v46, s45
	v_add_co_ci_u32_e32 v57, vcc_lo, s46, v55, vcc_lo
	s_delay_alu instid0(VALU_DEP_2) | instskip(NEXT) | instid1(VALU_DEP_2)
	v_add_co_u32 v30, vcc_lo, v56, v30
	v_add_co_ci_u32_e32 v60, vcc_lo, v57, v45, vcc_lo
	v_ashrrev_i32_e32 v45, 31, v54
	v_mul_lo_u32 v56, s6, v58
	v_add_co_u32 v64, vcc_lo, v44, v54
	v_add_nc_u32_e32 v57, 28, v53
	s_delay_alu instid0(VALU_DEP_4)
	v_add_co_ci_u32_e32 v65, vcc_lo, v28, v45, vcc_lo
	v_add_co_u32 v66, vcc_lo, v46, v54
	v_add_co_ci_u32_e32 v67, vcc_lo, v55, v45, vcc_lo
	v_ashrrev_i32_e32 v45, 31, v56
	v_mul_lo_u32 v54, s6, v57
	v_add_nc_u32_e32 v57, 26, v53
	v_add_co_u32 v68, vcc_lo, v46, v56
	s_delay_alu instid0(VALU_DEP_4)
	v_add_co_ci_u32_e32 v69, vcc_lo, v55, v45, vcc_lo
	v_add_co_u32 v72, vcc_lo, v44, v56
	v_add_co_ci_u32_e32 v73, vcc_lo, v28, v45, vcc_lo
	v_ashrrev_i32_e32 v45, 31, v54
	v_mul_lo_u32 v56, s6, v57
	v_add_co_u32 v74, vcc_lo, v46, v54
	v_add_nc_u32_e32 v57, 24, v53
	s_delay_alu instid0(VALU_DEP_4)
	v_add_co_ci_u32_e32 v75, vcc_lo, v55, v45, vcc_lo
	v_add_co_u32 v76, vcc_lo, v44, v54
	v_add_co_ci_u32_e32 v77, vcc_lo, v28, v45, vcc_lo
	v_ashrrev_i32_e32 v45, 31, v56
	v_mul_lo_u32 v54, s6, v57
	v_add_co_u32 v78, vcc_lo, v46, v56
	v_add_nc_u32_e32 v57, 22, v53
	;; [unrolled: 8-line block ×9, first 2 shown]
	s_delay_alu instid0(VALU_DEP_4)
	v_add_co_ci_u32_e32 v107, vcc_lo, v55, v45, vcc_lo
	v_add_co_u32 v108, vcc_lo, v44, v54
	v_add_co_ci_u32_e32 v109, vcc_lo, v28, v45, vcc_lo
	v_ashrrev_i32_e32 v45, 31, v56
	v_mul_lo_u32 v54, s6, v57
	v_add_nc_u32_e32 v58, 6, v53
	v_add_co_u32 v110, vcc_lo, v46, v56
	s_delay_alu instid0(VALU_DEP_4) | instskip(SKIP_1) | instid1(VALU_DEP_4)
	v_add_co_ci_u32_e32 v111, vcc_lo, v55, v45, vcc_lo
	v_add_co_u32 v112, vcc_lo, v44, v56
	v_mul_lo_u32 v57, s6, v58
	v_add_co_ci_u32_e32 v113, vcc_lo, v28, v45, vcc_lo
	v_ashrrev_i32_e32 v45, 31, v54
	v_add_co_u32 v114, vcc_lo, v46, v54
	v_mul_lo_u32 v58, s6, v59
	s_mul_i32 s6, s4, s6
	s_delay_alu instid0(VALU_DEP_3)
	v_add_co_ci_u32_e32 v115, vcc_lo, v55, v45, vcc_lo
	v_add_co_u32 v116, vcc_lo, v44, v54
	v_ashrrev_i32_e32 v56, 31, v57
	v_add_co_ci_u32_e32 v117, vcc_lo, v28, v45, vcc_lo
	v_lshlrev_b32_e32 v45, 2, v48
	v_lshlrev_b32_e32 v41, 2, v8
	v_mul_lo_u32 v8, v9, s16
	v_add_co_u32 v118, vcc_lo, v46, v57
	v_add_co_ci_u32_e32 v119, vcc_lo, v55, v56, vcc_lo
	v_ashrrev_i32_e32 v59, 31, v58
	v_add_co_u32 v120, vcc_lo, v44, v57
	v_add_nc_u32_e32 v52, s16, v8
	v_add_co_ci_u32_e32 v121, vcc_lo, v28, v56, vcc_lo
	v_add_co_u32 v122, vcc_lo, v46, v58
	v_add_co_ci_u32_e32 v123, vcc_lo, v55, v59, vcc_lo
	v_add_co_u32 v55, s9, s47, v40
	v_add_co_u32 v124, vcc_lo, v44, v58
	v_ashrrev_i32_e32 v54, 31, v52
	v_add_co_ci_u32_e64 v56, null, s42, 0, s9
	v_add_co_ci_u32_e32 v28, vcc_lo, v28, v59, vcc_lo
	v_lshlrev_b32_e32 v44, 2, v47
	v_lshlrev_b32_e32 v47, 2, v50
	v_add_co_u32 v50, vcc_lo, v55, v52
	v_lshlrev_b32_e32 v48, 1, v51
	v_add_co_ci_u32_e32 v51, vcc_lo, v56, v54, vcc_lo
	s_delay_alu instid0(VALU_DEP_3) | instskip(SKIP_1) | instid1(VALU_DEP_3)
	v_add_co_u32 v50, vcc_lo, s10, v50
	v_lshlrev_b32_e32 v9, 1, v9
	v_add_co_ci_u32_e32 v51, vcc_lo, s11, v51, vcc_lo
	s_lshl_b64 s[10:11], s[4:5], 1
	s_add_u32 s5, s49, s26
	s_addc_u32 s9, s48, s27
	s_add_u32 s5, s22, s5
	v_add_co_u32 v52, vcc_lo, s36, v52
	s_addc_u32 s9, s23, s9
	v_add_co_u32 v9, s5, s5, v9
	v_lshlrev_b32_e32 v46, 2, v49
	v_lshl_add_u32 v49, v53, 1, 0x100
	v_add_co_ci_u32_e32 v53, vcc_lo, s50, v54, vcc_lo
	v_add_co_ci_u32_e64 v57, null, s9, 0, s5
	v_add_co_u32 v58, vcc_lo, v55, s43
	v_add_co_ci_u32_e32 v56, vcc_lo, s44, v56, vcc_lo
	v_ashrrev_i32_e32 v70, 31, v8
	v_add_co_u32 v54, vcc_lo, v9, 2
	v_add_co_ci_u32_e32 v55, vcc_lo, 0, v57, vcc_lo
	v_add_co_u32 v9, vcc_lo, v58, v8
	s_delay_alu instid0(VALU_DEP_4) | instskip(SKIP_2) | instid1(VALU_DEP_4)
	v_add_co_ci_u32_e32 v59, vcc_lo, v56, v70, vcc_lo
	v_add_co_u32 v56, vcc_lo, v10, 2
	v_add_co_ci_u32_e32 v57, vcc_lo, 0, v11, vcc_lo
	v_add_co_u32 v58, vcc_lo, s18, v9
	s_delay_alu instid0(VALU_DEP_4) | instskip(SKIP_4) | instid1(VALU_DEP_4)
	v_add_co_ci_u32_e32 v59, vcc_lo, s19, v59, vcc_lo
	v_add_co_u32 v9, vcc_lo, v30, s20
	v_add_co_ci_u32_e32 v10, vcc_lo, s21, v60, vcc_lo
	v_add_co_u32 v60, vcc_lo, s20, v29
	;; [unrolled: 2-line block ×3, first 2 shown]
	s_add_u32 s5, s20, s45
	v_add_co_ci_u32_e32 v63, vcc_lo, 0, v10, vcc_lo
	s_addc_u32 s9, s21, s46
	v_add_co_u32 v9, vcc_lo, s5, v66
	v_add_co_ci_u32_e32 v10, vcc_lo, s9, v67, vcc_lo
	v_add_co_u32 v64, vcc_lo, s5, v64
	v_add_co_ci_u32_e32 v65, vcc_lo, s9, v65, vcc_lo
	s_delay_alu instid0(VALU_DEP_4) | instskip(NEXT) | instid1(VALU_DEP_4)
	v_add_co_u32 v66, vcc_lo, v9, 4
	v_add_co_ci_u32_e32 v67, vcc_lo, 0, v10, vcc_lo
	s_add_u32 s20, s47, s43
	s_addc_u32 s21, s42, s44
	v_add_co_u32 v9, vcc_lo, s5, v68
	s_add_u32 s18, s18, s20
	v_add_co_ci_u32_e32 v10, vcc_lo, s9, v69, vcc_lo
	s_addc_u32 s19, s19, s21
	v_add_co_u32 v68, vcc_lo, s18, v8
	v_add_co_ci_u32_e32 v69, vcc_lo, s19, v70, vcc_lo
	v_add_co_u32 v70, vcc_lo, v9, 4
	v_add_co_ci_u32_e32 v71, vcc_lo, 0, v10, vcc_lo
	;; [unrolled: 2-line block ×4, first 2 shown]
	s_delay_alu instid0(VALU_DEP_4) | instskip(NEXT) | instid1(VALU_DEP_4)
	v_add_co_u32 v74, vcc_lo, v8, 4
	v_add_co_ci_u32_e32 v75, vcc_lo, 0, v9, vcc_lo
	v_add_co_u32 v8, vcc_lo, s5, v78
	v_add_co_ci_u32_e32 v9, vcc_lo, s9, v79, vcc_lo
	v_add_co_u32 v76, vcc_lo, s5, v76
	v_add_co_ci_u32_e32 v77, vcc_lo, s9, v77, vcc_lo
	s_delay_alu instid0(VALU_DEP_4) | instskip(NEXT) | instid1(VALU_DEP_4)
	v_add_co_u32 v78, vcc_lo, v8, 4
	v_add_co_ci_u32_e32 v79, vcc_lo, 0, v9, vcc_lo
	v_add_co_u32 v8, vcc_lo, s5, v82
	v_add_co_ci_u32_e32 v9, vcc_lo, s9, v83, vcc_lo
	v_add_co_u32 v80, vcc_lo, s5, v80
	v_add_co_ci_u32_e32 v81, vcc_lo, s9, v81, vcc_lo
	s_delay_alu instid0(VALU_DEP_4) | instskip(NEXT) | instid1(VALU_DEP_4)
	v_add_co_u32 v82, vcc_lo, v8, 4
	v_add_co_ci_u32_e32 v83, vcc_lo, 0, v9, vcc_lo
	v_add_co_u32 v8, vcc_lo, s5, v86
	v_add_co_ci_u32_e32 v9, vcc_lo, s9, v87, vcc_lo
	v_add_co_u32 v84, vcc_lo, s5, v84
	v_add_co_ci_u32_e32 v85, vcc_lo, s9, v85, vcc_lo
	s_delay_alu instid0(VALU_DEP_4) | instskip(NEXT) | instid1(VALU_DEP_4)
	v_add_co_u32 v86, vcc_lo, v8, 4
	v_add_co_ci_u32_e32 v87, vcc_lo, 0, v9, vcc_lo
	v_add_co_u32 v8, vcc_lo, s5, v90
	v_add_co_ci_u32_e32 v9, vcc_lo, s9, v91, vcc_lo
	v_add_co_u32 v88, vcc_lo, s5, v88
	v_add_co_ci_u32_e32 v89, vcc_lo, s9, v89, vcc_lo
	s_delay_alu instid0(VALU_DEP_4) | instskip(NEXT) | instid1(VALU_DEP_4)
	v_add_co_u32 v90, vcc_lo, v8, 4
	v_add_co_ci_u32_e32 v91, vcc_lo, 0, v9, vcc_lo
	v_add_co_u32 v8, vcc_lo, s5, v94
	v_add_co_ci_u32_e32 v9, vcc_lo, s9, v95, vcc_lo
	v_add_co_u32 v92, vcc_lo, s5, v92
	v_add_co_ci_u32_e32 v93, vcc_lo, s9, v93, vcc_lo
	s_delay_alu instid0(VALU_DEP_4) | instskip(NEXT) | instid1(VALU_DEP_4)
	v_add_co_u32 v94, vcc_lo, v8, 4
	v_add_co_ci_u32_e32 v95, vcc_lo, 0, v9, vcc_lo
	v_add_co_u32 v8, vcc_lo, s5, v98
	v_add_co_ci_u32_e32 v9, vcc_lo, s9, v99, vcc_lo
	v_add_co_u32 v96, vcc_lo, s5, v96
	v_add_co_ci_u32_e32 v97, vcc_lo, s9, v97, vcc_lo
	s_delay_alu instid0(VALU_DEP_4) | instskip(NEXT) | instid1(VALU_DEP_4)
	v_add_co_u32 v98, vcc_lo, v8, 4
	v_add_co_ci_u32_e32 v99, vcc_lo, 0, v9, vcc_lo
	v_add_co_u32 v8, vcc_lo, s5, v102
	v_add_co_ci_u32_e32 v9, vcc_lo, s9, v103, vcc_lo
	v_add_co_u32 v100, vcc_lo, s5, v100
	v_add_co_ci_u32_e32 v101, vcc_lo, s9, v101, vcc_lo
	s_delay_alu instid0(VALU_DEP_4) | instskip(NEXT) | instid1(VALU_DEP_4)
	v_add_co_u32 v102, vcc_lo, v8, 4
	v_add_co_ci_u32_e32 v103, vcc_lo, 0, v9, vcc_lo
	v_add_co_u32 v8, vcc_lo, s5, v106
	v_add_co_ci_u32_e32 v9, vcc_lo, s9, v107, vcc_lo
	v_add_co_u32 v104, vcc_lo, s5, v104
	v_add_co_ci_u32_e32 v105, vcc_lo, s9, v105, vcc_lo
	s_delay_alu instid0(VALU_DEP_4) | instskip(NEXT) | instid1(VALU_DEP_4)
	v_add_co_u32 v106, vcc_lo, v8, 4
	v_add_co_ci_u32_e32 v107, vcc_lo, 0, v9, vcc_lo
	v_add_co_u32 v8, vcc_lo, s5, v110
	v_add_co_ci_u32_e32 v9, vcc_lo, s9, v111, vcc_lo
	v_add_co_u32 v108, vcc_lo, s5, v108
	v_add_co_ci_u32_e32 v109, vcc_lo, s9, v109, vcc_lo
	s_delay_alu instid0(VALU_DEP_4) | instskip(NEXT) | instid1(VALU_DEP_4)
	v_add_co_u32 v110, vcc_lo, v8, 4
	v_add_co_ci_u32_e32 v111, vcc_lo, 0, v9, vcc_lo
	v_add_co_u32 v8, vcc_lo, s5, v114
	v_add_co_ci_u32_e32 v9, vcc_lo, s9, v115, vcc_lo
	v_add_co_u32 v112, vcc_lo, s5, v112
	v_add_co_ci_u32_e32 v113, vcc_lo, s9, v113, vcc_lo
	s_delay_alu instid0(VALU_DEP_4) | instskip(NEXT) | instid1(VALU_DEP_4)
	v_add_co_u32 v114, vcc_lo, v8, 4
	v_add_co_ci_u32_e32 v115, vcc_lo, 0, v9, vcc_lo
	v_add_co_u32 v8, vcc_lo, s5, v118
	v_add_co_ci_u32_e32 v9, vcc_lo, s9, v119, vcc_lo
	v_add_co_u32 v116, vcc_lo, s5, v116
	v_add_co_ci_u32_e32 v117, vcc_lo, s9, v117, vcc_lo
	s_delay_alu instid0(VALU_DEP_4) | instskip(NEXT) | instid1(VALU_DEP_4)
	v_add_co_u32 v118, vcc_lo, v8, 4
	v_add_co_ci_u32_e32 v119, vcc_lo, 0, v9, vcc_lo
	v_add_co_u32 v8, vcc_lo, s5, v122
	v_add_co_ci_u32_e32 v9, vcc_lo, s9, v123, vcc_lo
	v_add_co_u32 v120, vcc_lo, s5, v120
	v_add_co_ci_u32_e32 v121, vcc_lo, s9, v121, vcc_lo
	s_delay_alu instid0(VALU_DEP_4) | instskip(NEXT) | instid1(VALU_DEP_4)
	v_add_co_u32 v122, vcc_lo, v8, 4
	v_add_co_ci_u32_e32 v123, vcc_lo, 0, v9, vcc_lo
	ds_load_b128 v[8:11], v37
	v_add_co_u32 v124, vcc_lo, s5, v124
	v_add_co_ci_u32_e32 v125, vcc_lo, s9, v28, vcc_lo
	v_dual_mov_b32 v28, 0 :: v_dual_mov_b32 v29, 0
	s_mul_i32 s5, s8, s16
	s_mul_i32 s9, s4, s16
.LBB9_27:                               ; =>This Inner Loop Header: Depth=1
	v_add_co_u32 v138, vcc_lo, v68, s5
	v_add_co_ci_u32_e32 v139, vcc_lo, 0, v69, vcc_lo
	v_add_co_u32 v140, vcc_lo, v58, s5
	v_add_co_ci_u32_e32 v141, vcc_lo, 0, v59, vcc_lo
	s_and_b32 vcc_lo, exec_lo, s38
	global_load_b32 v133, v[140:141], off offset:6
	s_clause 0x1
	global_load_b32 v30, v[138:139], off
	global_load_u16 v31, v[138:139], off offset:4
	s_waitcnt vmcnt(2)
	v_and_b32_e32 v135, 0xf0f0f0f, v133
	v_lshrrev_b32_e32 v133, 4, v133
	s_waitcnt vmcnt(0)
	v_perm_b32 v136, v30, v31, 0x1000706
	s_delay_alu instid0(VALU_DEP_2) | instskip(NEXT) | instid1(VALU_DEP_2)
	v_and_b32_e32 v133, 0xf0f0f0f, v133
	v_ashrrev_i32_e32 v31, v40, v136
	s_delay_alu instid0(VALU_DEP_1) | instskip(SKIP_3) | instid1(VALU_DEP_4)
	v_lshlrev_b32_e32 v134, 4, v31
	v_lshlrev_b32_e32 v137, 11, v31
	;; [unrolled: 1-line block ×4, first 2 shown]
	v_and_b32_e32 v134, 16, v134
	s_delay_alu instid0(VALU_DEP_4) | instskip(NEXT) | instid1(VALU_DEP_4)
	v_and_b32_e32 v137, 0x1000, v137
	v_and_b32_e32 v142, 0x100000, v142
	s_delay_alu instid0(VALU_DEP_4) | instskip(NEXT) | instid1(VALU_DEP_1)
	v_and_b32_e32 v31, 0x10000000, v31
	v_or3_b32 v31, v31, v135, v142
	s_delay_alu instid0(VALU_DEP_1) | instskip(SKIP_2) | instid1(VALU_DEP_1)
	v_or3_b32 v31, v31, v134, v137
	global_load_b32 v137, v[140:141], off offset:14
	v_ashrrev_i32_e32 v134, v126, v136
	v_lshlrev_b32_e32 v135, 4, v134
	v_lshlrev_b32_e32 v143, 11, v134
	;; [unrolled: 1-line block ×4, first 2 shown]
	s_delay_alu instid0(VALU_DEP_4) | instskip(NEXT) | instid1(VALU_DEP_4)
	v_and_b32_e32 v135, 16, v135
	v_and_b32_e32 v143, 0x1000, v143
	s_delay_alu instid0(VALU_DEP_4) | instskip(NEXT) | instid1(VALU_DEP_4)
	v_and_b32_e32 v144, 0x100000, v144
	v_and_b32_e32 v134, 0x10000000, v134
	s_waitcnt vmcnt(0)
	v_and_b32_e32 v142, 0xf0f0f0f, v137
	s_delay_alu instid0(VALU_DEP_1) | instskip(NEXT) | instid1(VALU_DEP_1)
	v_or3_b32 v134, v134, v142, v144
	v_or3_b32 v134, v134, v135, v143
	v_ashrrev_i32_e32 v135, v127, v136
	v_ashrrev_i32_e32 v136, v128, v136
	s_delay_alu instid0(VALU_DEP_2) | instskip(SKIP_3) | instid1(VALU_DEP_4)
	v_lshlrev_b32_e32 v142, 4, v135
	v_lshlrev_b32_e32 v143, 11, v135
	;; [unrolled: 1-line block ×4, first 2 shown]
	v_and_b32_e32 v142, 16, v142
	s_delay_alu instid0(VALU_DEP_4) | instskip(NEXT) | instid1(VALU_DEP_4)
	v_and_b32_e32 v143, 0x1000, v143
	v_and_b32_e32 v144, 0x100000, v144
	s_delay_alu instid0(VALU_DEP_4) | instskip(NEXT) | instid1(VALU_DEP_1)
	v_and_b32_e32 v135, 0x10000000, v135
	v_or3_b32 v133, v135, v133, v144
	s_delay_alu instid0(VALU_DEP_1)
	v_or3_b32 v135, v133, v142, v143
	v_lshrrev_b32_e32 v133, 4, v137
	v_lshlrev_b32_e32 v137, 4, v136
	v_lshlrev_b32_e32 v142, 11, v136
	;; [unrolled: 1-line block ×4, first 2 shown]
	v_and_b32_e32 v133, 0xf0f0f0f, v133
	v_and_b32_e32 v137, 16, v137
	;; [unrolled: 1-line block ×5, first 2 shown]
	s_delay_alu instid0(VALU_DEP_1) | instskip(NEXT) | instid1(VALU_DEP_1)
	v_or3_b32 v136, v143, v136, v137
	v_or3_b32 v136, v136, v142, v133
	global_load_b32 v133, v[140:141], off offset:28
	s_clause 0x1
	global_load_b32 v137, v[138:139], off offset:22
	global_load_u16 v138, v[138:139], off offset:26
	global_load_b32 v141, v[140:141], off offset:36
	s_waitcnt vmcnt(3)
	v_and_b32_e32 v143, 0xf0f0f0f, v133
	v_lshrrev_b32_e32 v133, 4, v133
	s_waitcnt vmcnt(1)
	v_perm_b32 v142, v137, v138, 0x1000706
	s_delay_alu instid0(VALU_DEP_2) | instskip(NEXT) | instid1(VALU_DEP_2)
	v_and_b32_e32 v133, 0xf0f0f0f, v133
	v_ashrrev_i32_e32 v138, v40, v142
	s_delay_alu instid0(VALU_DEP_1) | instskip(SKIP_3) | instid1(VALU_DEP_4)
	v_lshlrev_b32_e32 v139, 4, v138
	v_lshlrev_b32_e32 v144, 11, v138
	;; [unrolled: 1-line block ×4, first 2 shown]
	v_and_b32_e32 v139, 16, v139
	s_delay_alu instid0(VALU_DEP_4) | instskip(NEXT) | instid1(VALU_DEP_4)
	v_and_b32_e32 v144, 0x1000, v144
	v_and_b32_e32 v145, 0x100000, v145
	s_delay_alu instid0(VALU_DEP_4) | instskip(NEXT) | instid1(VALU_DEP_1)
	v_and_b32_e32 v138, 0x10000000, v138
	v_or3_b32 v138, v138, v143, v145
	s_waitcnt vmcnt(0)
	v_and_b32_e32 v143, 0xf0f0f0f, v141
	s_delay_alu instid0(VALU_DEP_2) | instskip(SKIP_1) | instid1(VALU_DEP_1)
	v_or3_b32 v138, v138, v139, v144
	v_ashrrev_i32_e32 v139, v126, v142
	v_lshlrev_b32_e32 v140, 4, v139
	v_lshlrev_b32_e32 v144, 11, v139
	;; [unrolled: 1-line block ×4, first 2 shown]
	s_delay_alu instid0(VALU_DEP_4) | instskip(NEXT) | instid1(VALU_DEP_4)
	v_and_b32_e32 v140, 16, v140
	v_and_b32_e32 v144, 0x1000, v144
	s_delay_alu instid0(VALU_DEP_4) | instskip(NEXT) | instid1(VALU_DEP_4)
	v_and_b32_e32 v145, 0x100000, v145
	v_and_b32_e32 v139, 0x10000000, v139
	s_delay_alu instid0(VALU_DEP_1) | instskip(NEXT) | instid1(VALU_DEP_1)
	v_or3_b32 v139, v139, v143, v145
	v_or3_b32 v139, v139, v140, v144
	v_ashrrev_i32_e32 v140, v127, v142
	s_delay_alu instid0(VALU_DEP_1) | instskip(SKIP_3) | instid1(VALU_DEP_4)
	v_lshlrev_b32_e32 v143, 4, v140
	v_lshlrev_b32_e32 v144, 11, v140
	;; [unrolled: 1-line block ×4, first 2 shown]
	v_and_b32_e32 v143, 16, v143
	s_delay_alu instid0(VALU_DEP_4) | instskip(NEXT) | instid1(VALU_DEP_4)
	v_and_b32_e32 v144, 0x1000, v144
	v_and_b32_e32 v145, 0x100000, v145
	s_delay_alu instid0(VALU_DEP_4) | instskip(NEXT) | instid1(VALU_DEP_1)
	v_and_b32_e32 v140, 0x10000000, v140
	v_or3_b32 v133, v140, v133, v145
	s_delay_alu instid0(VALU_DEP_1) | instskip(SKIP_2) | instid1(VALU_DEP_2)
	v_or3_b32 v140, v133, v143, v144
	v_lshrrev_b32_e32 v133, 4, v141
	v_ashrrev_i32_e32 v141, v128, v142
	v_and_b32_e32 v133, 0xf0f0f0f, v133
	s_delay_alu instid0(VALU_DEP_2) | instskip(SKIP_3) | instid1(VALU_DEP_4)
	v_lshlrev_b32_e32 v142, 4, v141
	v_lshlrev_b32_e32 v143, 11, v141
	;; [unrolled: 1-line block ×4, first 2 shown]
	v_and_b32_e32 v142, 16, v142
	s_delay_alu instid0(VALU_DEP_4) | instskip(NEXT) | instid1(VALU_DEP_4)
	v_and_b32_e32 v143, 0x1000, v143
	v_and_b32_e32 v144, 0x100000, v144
	s_delay_alu instid0(VALU_DEP_4) | instskip(NEXT) | instid1(VALU_DEP_1)
	v_and_b32_e32 v141, 0x10000000, v141
	v_or3_b32 v141, v144, v141, v142
	v_dot4_i32_iu8 v142, v134, v13, 0 neg_lo:[1,1,0]
	s_delay_alu instid0(VALU_DEP_2) | instskip(SKIP_1) | instid1(VALU_DEP_3)
	v_or3_b32 v141, v141, v143, v133
	v_dot4_i32_iu8 v133, v31, v12, 0 neg_lo:[1,1,0]
	v_cvt_f32_i32_e32 v142, v142
	s_delay_alu instid0(VALU_DEP_2) | instskip(NEXT) | instid1(VALU_DEP_2)
	v_cvt_f32_i32_e32 v133, v133
	v_fma_f32 v142, v0, v142, -v1
	s_delay_alu instid0(VALU_DEP_2) | instskip(NEXT) | instid1(VALU_DEP_1)
	v_fma_f32 v133, v0, v133, -v1
	v_fma_mix_f32 v133, v133, v30, 0 op_sel_hi:[0,1,0]
	s_delay_alu instid0(VALU_DEP_1) | instskip(SKIP_1) | instid1(VALU_DEP_1)
	v_fma_mix_f32 v133, v142, v30, v133 op_sel_hi:[0,1,0]
	v_dot4_i32_iu8 v142, v135, v14, 0 neg_lo:[1,1,0]
	v_cvt_f32_i32_e32 v142, v142
	s_delay_alu instid0(VALU_DEP_1) | instskip(NEXT) | instid1(VALU_DEP_1)
	v_fma_f32 v142, v0, v142, -v1
	v_fma_mix_f32 v133, v142, v30, v133 op_sel_hi:[0,1,0]
	v_dot4_i32_iu8 v142, v136, v15, 0 neg_lo:[1,1,0]
	s_delay_alu instid0(VALU_DEP_1) | instskip(NEXT) | instid1(VALU_DEP_1)
	v_cvt_f32_i32_e32 v142, v142
	v_fma_f32 v142, v0, v142, -v1
	s_delay_alu instid0(VALU_DEP_1) | instskip(SKIP_1) | instid1(VALU_DEP_1)
	v_fma_mix_f32 v133, v142, v30, v133 op_sel_hi:[0,1,0]
	v_dot4_i32_iu8 v142, v138, v16, 0 neg_lo:[1,1,0]
	v_cvt_f32_i32_e32 v142, v142
	s_delay_alu instid0(VALU_DEP_1) | instskip(NEXT) | instid1(VALU_DEP_1)
	v_fma_f32 v142, v2, v142, -v3
	v_fma_mix_f32 v133, v142, v137, v133 op_sel_hi:[0,1,0]
	v_dot4_i32_iu8 v142, v139, v17, 0 neg_lo:[1,1,0]
	s_delay_alu instid0(VALU_DEP_1) | instskip(NEXT) | instid1(VALU_DEP_1)
	v_cvt_f32_i32_e32 v142, v142
	v_fma_f32 v142, v2, v142, -v3
	;; [unrolled: 11-line block ×3, first 2 shown]
	s_delay_alu instid0(VALU_DEP_1)
	v_fma_mix_f32 v133, v142, v137, v133 op_sel_hi:[0,1,0]
	ds_bpermute_b32 v142, v41, v133
	s_waitcnt lgkmcnt(0)
	v_add_f32_e32 v133, v133, v142
	s_cbranch_vccz .LBB9_29
; %bb.28:                               ;   in Loop: Header=BB9_27 Depth=1
	v_add_co_u32 v142, vcc_lo, v54, s7
	v_add_co_ci_u32_e32 v143, vcc_lo, s13, v55, vcc_lo
	global_load_u16 v142, v[142:143], off offset:-2
	s_waitcnt vmcnt(0)
	v_fma_mix_f32 v133, v38, v142, v133 op_sel_hi:[0,1,0]
.LBB9_29:                               ;   in Loop: Header=BB9_27 Depth=1
	v_dot4_i32_iu8 v31, v31, v20, 0 neg_lo:[1,1,0]
	v_dot4_i32_iu8 v134, v134, v21, 0 neg_lo:[1,1,0]
	v_cvt_f32_f16_e32 v30, v30
	v_dot4_i32_iu8 v135, v135, v22, 0 neg_lo:[1,1,0]
	v_dot4_i32_iu8 v136, v136, v23, 0 neg_lo:[1,1,0]
	v_cvt_f32_i32_e32 v31, v31
	v_cvt_f32_i32_e32 v134, v134
	v_dot4_i32_iu8 v138, v138, v24, 0 neg_lo:[1,1,0]
	v_cvt_f32_i32_e32 v135, v135
	v_cvt_f32_i32_e32 v136, v136
	v_fma_f32 v31, v4, v31, -v5
	v_fma_f32 v134, v4, v134, -v5
	v_cvt_f32_i32_e32 v138, v138
	v_fma_f32 v135, v4, v135, -v5
	v_fma_f32 v136, v4, v136, -v5
	v_fma_f32 v31, v31, v30, 0
	s_and_not1_b32 vcc_lo, exec_lo, s39
	v_fma_f32 v138, v6, v138, -v7
	s_delay_alu instid0(VALU_DEP_2) | instskip(SKIP_1) | instid1(VALU_DEP_2)
	v_fmac_f32_e32 v31, v134, v30
	v_dot4_i32_iu8 v134, v139, v25, 0 neg_lo:[1,1,0]
	v_fmac_f32_e32 v31, v135, v30
	v_cvt_f32_f16_e64 v135, v137
	v_dot4_i32_iu8 v137, v140, v26, 0 neg_lo:[1,1,0]
	s_delay_alu instid0(VALU_DEP_4) | instskip(NEXT) | instid1(VALU_DEP_4)
	v_cvt_f32_i32_e32 v134, v134
	v_fmac_f32_e32 v31, v136, v30
	v_dot4_i32_iu8 v136, v141, v27, 0 neg_lo:[1,1,0]
	s_delay_alu instid0(VALU_DEP_4) | instskip(NEXT) | instid1(VALU_DEP_4)
	v_cvt_f32_i32_e32 v30, v137
	v_fma_f32 v134, v6, v134, -v7
	s_delay_alu instid0(VALU_DEP_4) | instskip(NEXT) | instid1(VALU_DEP_3)
	v_fmac_f32_e32 v31, v138, v135
	v_fma_f32 v30, v6, v30, -v7
	s_delay_alu instid0(VALU_DEP_2) | instskip(SKIP_1) | instid1(VALU_DEP_2)
	v_fmac_f32_e32 v31, v134, v135
	v_cvt_f32_i32_e32 v134, v136
	v_fmac_f32_e32 v31, v30, v135
	s_delay_alu instid0(VALU_DEP_2) | instskip(NEXT) | instid1(VALU_DEP_1)
	v_fma_f32 v30, v6, v134, -v7
	v_fmac_f32_e32 v31, v30, v135
	ds_bpermute_b32 v30, v41, v31
	s_waitcnt lgkmcnt(0)
	v_add_f32_e32 v30, v31, v30
	s_cbranch_vccnz .LBB9_31
; %bb.30:                               ;   in Loop: Header=BB9_27 Depth=1
	v_add_co_u32 v134, vcc_lo, v42, s7
	v_add_co_ci_u32_e32 v135, vcc_lo, s13, v43, vcc_lo
	global_load_u16 v31, v[134:135], off
	s_waitcnt vmcnt(0)
	v_fma_mix_f32 v30, v38, v31, v30 op_sel_hi:[0,1,0]
.LBB9_31:                               ;   in Loop: Header=BB9_27 Depth=1
	v_add_co_u32 v139, vcc_lo, v52, s5
	v_add_co_ci_u32_e32 v140, vcc_lo, 0, v53, vcc_lo
	v_add_co_u32 v141, vcc_lo, v50, s5
	v_add_co_ci_u32_e32 v142, vcc_lo, 0, v51, vcc_lo
	s_and_not1_b32 vcc_lo, exec_lo, s38
	global_load_b32 v136, v[141:142], off offset:6
	s_clause 0x1
	global_load_b32 v31, v[139:140], off
	global_load_u16 v134, v[139:140], off offset:4
	s_waitcnt vmcnt(2)
	v_and_b32_e32 v138, 0xf0f0f0f, v136
	v_lshrrev_b32_e32 v136, 4, v136
	s_waitcnt vmcnt(0)
	v_perm_b32 v137, v31, v134, 0x1000706
	s_delay_alu instid0(VALU_DEP_2) | instskip(NEXT) | instid1(VALU_DEP_2)
	v_and_b32_e32 v136, 0xf0f0f0f, v136
	v_ashrrev_i32_e32 v134, v40, v137
	s_delay_alu instid0(VALU_DEP_1) | instskip(SKIP_3) | instid1(VALU_DEP_4)
	v_lshlrev_b32_e32 v135, 4, v134
	v_lshlrev_b32_e32 v143, 11, v134
	;; [unrolled: 1-line block ×4, first 2 shown]
	v_and_b32_e32 v135, 16, v135
	s_delay_alu instid0(VALU_DEP_4) | instskip(NEXT) | instid1(VALU_DEP_4)
	v_and_b32_e32 v143, 0x1000, v143
	v_and_b32_e32 v144, 0x100000, v144
	s_delay_alu instid0(VALU_DEP_4) | instskip(NEXT) | instid1(VALU_DEP_1)
	v_and_b32_e32 v134, 0x10000000, v134
	v_or3_b32 v134, v134, v138, v144
	global_load_b32 v138, v[141:142], off offset:14
	v_or3_b32 v134, v134, v135, v143
	v_ashrrev_i32_e32 v135, v126, v137
	s_delay_alu instid0(VALU_DEP_1) | instskip(SKIP_3) | instid1(VALU_DEP_4)
	v_lshlrev_b32_e32 v143, 4, v135
	v_lshlrev_b32_e32 v145, 11, v135
	;; [unrolled: 1-line block ×4, first 2 shown]
	v_and_b32_e32 v143, 16, v143
	s_delay_alu instid0(VALU_DEP_4) | instskip(NEXT) | instid1(VALU_DEP_4)
	v_and_b32_e32 v145, 0x1000, v145
	v_and_b32_e32 v146, 0x100000, v146
	s_delay_alu instid0(VALU_DEP_4) | instskip(SKIP_3) | instid1(VALU_DEP_2)
	v_and_b32_e32 v135, 0x10000000, v135
	s_waitcnt vmcnt(0)
	v_and_b32_e32 v144, 0xf0f0f0f, v138
	v_lshrrev_b32_e32 v138, 4, v138
	v_or3_b32 v135, v135, v144, v146
	s_delay_alu instid0(VALU_DEP_2) | instskip(NEXT) | instid1(VALU_DEP_2)
	v_and_b32_e32 v138, 0xf0f0f0f, v138
	v_or3_b32 v135, v135, v143, v145
	v_ashrrev_i32_e32 v143, v127, v137
	v_ashrrev_i32_e32 v137, v128, v137
	s_delay_alu instid0(VALU_DEP_2) | instskip(SKIP_3) | instid1(VALU_DEP_4)
	v_lshlrev_b32_e32 v144, 4, v143
	v_lshlrev_b32_e32 v145, 11, v143
	;; [unrolled: 1-line block ×4, first 2 shown]
	v_and_b32_e32 v144, 16, v144
	s_delay_alu instid0(VALU_DEP_4) | instskip(NEXT) | instid1(VALU_DEP_4)
	v_and_b32_e32 v145, 0x1000, v145
	v_and_b32_e32 v146, 0x100000, v146
	s_delay_alu instid0(VALU_DEP_4) | instskip(NEXT) | instid1(VALU_DEP_1)
	v_and_b32_e32 v143, 0x10000000, v143
	v_or3_b32 v136, v143, v136, v146
	v_lshlrev_b32_e32 v143, 4, v137
	s_delay_alu instid0(VALU_DEP_2) | instskip(SKIP_4) | instid1(VALU_DEP_4)
	v_or3_b32 v136, v136, v144, v145
	v_lshlrev_b32_e32 v144, 11, v137
	v_lshlrev_b32_e32 v145, 18, v137
	;; [unrolled: 1-line block ×3, first 2 shown]
	v_and_b32_e32 v143, 16, v143
	v_and_b32_e32 v144, 0x1000, v144
	s_delay_alu instid0(VALU_DEP_4) | instskip(NEXT) | instid1(VALU_DEP_4)
	v_and_b32_e32 v145, 0x100000, v145
	v_and_b32_e32 v137, 0x10000000, v137
	s_delay_alu instid0(VALU_DEP_1) | instskip(NEXT) | instid1(VALU_DEP_1)
	v_or3_b32 v137, v145, v137, v143
	v_or3_b32 v137, v137, v144, v138
	global_load_b32 v143, v[141:142], off offset:28
	s_clause 0x1
	global_load_b32 v138, v[139:140], off offset:22
	global_load_u16 v139, v[139:140], off offset:26
	global_load_b32 v142, v[141:142], off offset:36
	s_waitcnt vmcnt(3)
	v_and_b32_e32 v145, 0xf0f0f0f, v143
	s_waitcnt vmcnt(1)
	v_perm_b32 v144, v138, v139, 0x1000706
	s_delay_alu instid0(VALU_DEP_1) | instskip(NEXT) | instid1(VALU_DEP_1)
	v_ashrrev_i32_e32 v139, v40, v144
	v_lshlrev_b32_e32 v140, 4, v139
	v_lshlrev_b32_e32 v146, 11, v139
	;; [unrolled: 1-line block ×4, first 2 shown]
	s_delay_alu instid0(VALU_DEP_4) | instskip(NEXT) | instid1(VALU_DEP_4)
	v_and_b32_e32 v140, 16, v140
	v_and_b32_e32 v146, 0x1000, v146
	s_delay_alu instid0(VALU_DEP_4) | instskip(NEXT) | instid1(VALU_DEP_4)
	v_and_b32_e32 v147, 0x100000, v147
	v_and_b32_e32 v139, 0x10000000, v139
	s_delay_alu instid0(VALU_DEP_1) | instskip(SKIP_3) | instid1(VALU_DEP_3)
	v_or3_b32 v139, v139, v145, v147
	s_waitcnt vmcnt(0)
	v_and_b32_e32 v145, 0xf0f0f0f, v142
	v_lshrrev_b32_e32 v142, 4, v142
	v_or3_b32 v139, v139, v140, v146
	v_ashrrev_i32_e32 v140, v126, v144
	s_delay_alu instid0(VALU_DEP_3) | instskip(NEXT) | instid1(VALU_DEP_2)
	v_and_b32_e32 v142, 0xf0f0f0f, v142
	v_lshlrev_b32_e32 v141, 4, v140
	v_lshlrev_b32_e32 v146, 11, v140
	;; [unrolled: 1-line block ×4, first 2 shown]
	s_delay_alu instid0(VALU_DEP_4) | instskip(NEXT) | instid1(VALU_DEP_4)
	v_and_b32_e32 v141, 16, v141
	v_and_b32_e32 v146, 0x1000, v146
	s_delay_alu instid0(VALU_DEP_4) | instskip(NEXT) | instid1(VALU_DEP_4)
	v_and_b32_e32 v147, 0x100000, v147
	v_and_b32_e32 v140, 0x10000000, v140
	s_delay_alu instid0(VALU_DEP_1) | instskip(NEXT) | instid1(VALU_DEP_1)
	v_or3_b32 v140, v140, v145, v147
	v_or3_b32 v140, v140, v141, v146
	v_lshrrev_b32_e32 v141, 4, v143
	v_ashrrev_i32_e32 v143, v127, v144
	s_delay_alu instid0(VALU_DEP_2) | instskip(NEXT) | instid1(VALU_DEP_2)
	v_and_b32_e32 v141, 0xf0f0f0f, v141
	v_lshlrev_b32_e32 v145, 4, v143
	v_lshlrev_b32_e32 v146, 11, v143
	v_lshlrev_b32_e32 v147, 18, v143
	v_lshlrev_b32_e32 v143, 25, v143
	s_delay_alu instid0(VALU_DEP_4) | instskip(NEXT) | instid1(VALU_DEP_4)
	v_and_b32_e32 v145, 16, v145
	v_and_b32_e32 v146, 0x1000, v146
	s_delay_alu instid0(VALU_DEP_4) | instskip(NEXT) | instid1(VALU_DEP_4)
	v_and_b32_e32 v147, 0x100000, v147
	v_and_b32_e32 v143, 0x10000000, v143
	s_delay_alu instid0(VALU_DEP_1) | instskip(SKIP_1) | instid1(VALU_DEP_2)
	v_or3_b32 v141, v143, v141, v147
	v_ashrrev_i32_e32 v143, v128, v144
	v_or3_b32 v141, v141, v145, v146
	s_delay_alu instid0(VALU_DEP_2) | instskip(SKIP_3) | instid1(VALU_DEP_4)
	v_lshlrev_b32_e32 v144, 4, v143
	v_lshlrev_b32_e32 v145, 11, v143
	;; [unrolled: 1-line block ×4, first 2 shown]
	v_and_b32_e32 v144, 16, v144
	s_delay_alu instid0(VALU_DEP_4) | instskip(NEXT) | instid1(VALU_DEP_4)
	v_and_b32_e32 v145, 0x1000, v145
	v_and_b32_e32 v146, 0x100000, v146
	s_delay_alu instid0(VALU_DEP_4) | instskip(NEXT) | instid1(VALU_DEP_1)
	v_and_b32_e32 v143, 0x10000000, v143
	v_or3_b32 v143, v146, v143, v144
	v_dot4_i32_iu8 v144, v135, v13, 0 neg_lo:[1,1,0]
	s_delay_alu instid0(VALU_DEP_2) | instskip(SKIP_1) | instid1(VALU_DEP_3)
	v_or3_b32 v142, v143, v145, v142
	v_dot4_i32_iu8 v143, v134, v12, 0 neg_lo:[1,1,0]
	v_cvt_f32_i32_e32 v144, v144
	s_delay_alu instid0(VALU_DEP_2) | instskip(NEXT) | instid1(VALU_DEP_2)
	v_cvt_f32_i32_e32 v143, v143
	v_fma_f32 v144, v0, v144, -v1
	s_delay_alu instid0(VALU_DEP_2) | instskip(NEXT) | instid1(VALU_DEP_1)
	v_fma_f32 v143, v0, v143, -v1
	v_fma_mix_f32 v143, v143, v31, 0 op_sel_hi:[0,1,0]
	s_delay_alu instid0(VALU_DEP_1) | instskip(SKIP_1) | instid1(VALU_DEP_1)
	v_fma_mix_f32 v143, v144, v31, v143 op_sel_hi:[0,1,0]
	v_dot4_i32_iu8 v144, v136, v14, 0 neg_lo:[1,1,0]
	v_cvt_f32_i32_e32 v144, v144
	s_delay_alu instid0(VALU_DEP_1) | instskip(NEXT) | instid1(VALU_DEP_1)
	v_fma_f32 v144, v0, v144, -v1
	v_fma_mix_f32 v143, v144, v31, v143 op_sel_hi:[0,1,0]
	v_dot4_i32_iu8 v144, v137, v15, 0 neg_lo:[1,1,0]
	s_delay_alu instid0(VALU_DEP_1) | instskip(NEXT) | instid1(VALU_DEP_1)
	v_cvt_f32_i32_e32 v144, v144
	v_fma_f32 v144, v0, v144, -v1
	s_delay_alu instid0(VALU_DEP_1) | instskip(SKIP_1) | instid1(VALU_DEP_1)
	v_fma_mix_f32 v143, v144, v31, v143 op_sel_hi:[0,1,0]
	v_dot4_i32_iu8 v144, v139, v16, 0 neg_lo:[1,1,0]
	v_cvt_f32_i32_e32 v144, v144
	s_delay_alu instid0(VALU_DEP_1) | instskip(NEXT) | instid1(VALU_DEP_1)
	v_fma_f32 v144, v2, v144, -v3
	v_fma_mix_f32 v143, v144, v138, v143 op_sel_hi:[0,1,0]
	v_dot4_i32_iu8 v144, v140, v17, 0 neg_lo:[1,1,0]
	s_delay_alu instid0(VALU_DEP_1) | instskip(NEXT) | instid1(VALU_DEP_1)
	v_cvt_f32_i32_e32 v144, v144
	v_fma_f32 v144, v2, v144, -v3
	;; [unrolled: 11-line block ×3, first 2 shown]
	s_delay_alu instid0(VALU_DEP_1)
	v_fma_mix_f32 v143, v144, v138, v143 op_sel_hi:[0,1,0]
	ds_bpermute_b32 v144, v41, v143
	s_waitcnt lgkmcnt(0)
	v_add_f32_e32 v143, v143, v144
	s_cbranch_vccnz .LBB9_33
; %bb.32:                               ;   in Loop: Header=BB9_27 Depth=1
	v_add_co_u32 v144, vcc_lo, v54, s7
	v_add_co_ci_u32_e32 v145, vcc_lo, s13, v55, vcc_lo
	global_load_u16 v144, v[144:145], off
	s_waitcnt vmcnt(0)
	v_fma_mix_f32 v143, v38, v144, v143 op_sel_hi:[0,1,0]
.LBB9_33:                               ;   in Loop: Header=BB9_27 Depth=1
	v_dot4_i32_iu8 v134, v134, v20, 0 neg_lo:[1,1,0]
	v_dot4_i32_iu8 v135, v135, v21, 0 neg_lo:[1,1,0]
	v_cvt_f32_f16_e32 v31, v31
	v_dot4_i32_iu8 v136, v136, v22, 0 neg_lo:[1,1,0]
	v_dot4_i32_iu8 v137, v137, v23, 0 neg_lo:[1,1,0]
	v_cvt_f32_i32_e32 v134, v134
	v_cvt_f32_i32_e32 v135, v135
	v_dot4_i32_iu8 v139, v139, v24, 0 neg_lo:[1,1,0]
	v_cvt_f32_i32_e32 v136, v136
	v_cvt_f32_i32_e32 v137, v137
	v_fma_f32 v134, v4, v134, -v5
	v_fma_f32 v135, v4, v135, -v5
	v_cvt_f32_i32_e32 v139, v139
	v_fma_f32 v136, v4, v136, -v5
	v_fma_f32 v137, v4, v137, -v5
	v_fma_f32 v134, v134, v31, 0
	s_and_not1_b32 vcc_lo, exec_lo, s39
	v_fma_f32 v139, v6, v139, -v7
	s_delay_alu instid0(VALU_DEP_2) | instskip(SKIP_1) | instid1(VALU_DEP_2)
	v_fmac_f32_e32 v134, v135, v31
	v_dot4_i32_iu8 v135, v140, v25, 0 neg_lo:[1,1,0]
	v_fmac_f32_e32 v134, v136, v31
	v_cvt_f32_f16_e64 v136, v138
	v_dot4_i32_iu8 v138, v141, v26, 0 neg_lo:[1,1,0]
	s_delay_alu instid0(VALU_DEP_4) | instskip(NEXT) | instid1(VALU_DEP_4)
	v_cvt_f32_i32_e32 v135, v135
	v_fmac_f32_e32 v134, v137, v31
	v_dot4_i32_iu8 v137, v142, v27, 0 neg_lo:[1,1,0]
	s_delay_alu instid0(VALU_DEP_4) | instskip(NEXT) | instid1(VALU_DEP_4)
	v_cvt_f32_i32_e32 v31, v138
	v_fma_f32 v135, v6, v135, -v7
	s_delay_alu instid0(VALU_DEP_4) | instskip(NEXT) | instid1(VALU_DEP_3)
	v_fmac_f32_e32 v134, v139, v136
	v_fma_f32 v31, v6, v31, -v7
	s_delay_alu instid0(VALU_DEP_2) | instskip(SKIP_1) | instid1(VALU_DEP_2)
	v_fmac_f32_e32 v134, v135, v136
	v_cvt_f32_i32_e32 v135, v137
	v_fmac_f32_e32 v134, v31, v136
	s_delay_alu instid0(VALU_DEP_2) | instskip(NEXT) | instid1(VALU_DEP_1)
	v_fma_f32 v31, v6, v135, -v7
	v_fmac_f32_e32 v134, v31, v136
	ds_bpermute_b32 v31, v41, v134
	s_waitcnt lgkmcnt(0)
	v_add_f32_e32 v31, v134, v31
	s_cbranch_vccnz .LBB9_35
; %bb.34:                               ;   in Loop: Header=BB9_27 Depth=1
	v_add_co_u32 v134, vcc_lo, v56, s7
	v_add_co_ci_u32_e32 v135, vcc_lo, s13, v57, vcc_lo
	global_load_u16 v134, v[134:135], off
	s_waitcnt vmcnt(0)
	v_fma_mix_f32 v31, v38, v134, v31 op_sel_hi:[0,1,0]
.LBB9_35:                               ;   in Loop: Header=BB9_27 Depth=1
	v_cndmask_b32_e64 v130, v130, v133, s1
	v_dual_add_f32 v133, 0x40051340, v133 :: v_dual_add_f32 v134, 0x40051340, v143
	s_add_i32 s8, s8, s4
	s_delay_alu instid0(VALU_DEP_3) | instskip(SKIP_1) | instid1(VALU_DEP_2)
	v_add_f32_e32 v135, 0x40051340, v31
	s_cmp_ge_i32 s8, s37
	v_max3_f32 v133, v132, v133, v134
	v_add_f32_e32 v134, 0x40051340, v30
	s_delay_alu instid0(VALU_DEP_1)
	v_max3_f32 v134, v131, v134, v135
	v_cndmask_b32_e64 v135, v31, v30, s1
	ds_bpermute_b32 v30, v44, v133
	v_cndmask_b32_e64 v31, v143, v130, s1
	s_waitcnt lgkmcnt(0)
	v_max_f32_e32 v30, v30, v30
	s_delay_alu instid0(VALU_DEP_1) | instskip(SKIP_3) | instid1(VALU_DEP_1)
	v_max_f32_e32 v30, v133, v30
	ds_bpermute_b32 v130, v45, v30
	s_waitcnt lgkmcnt(0)
	v_max_f32_e32 v130, v130, v130
	v_max_f32_e32 v30, v30, v130
	ds_bpermute_b32 v130, v46, v30
	s_waitcnt lgkmcnt(0)
	v_max_f32_e32 v130, v130, v130
	s_delay_alu instid0(VALU_DEP_1) | instskip(SKIP_3) | instid1(VALU_DEP_1)
	v_max_f32_e32 v30, v30, v130
	ds_bpermute_b32 v130, v47, v30
	s_waitcnt lgkmcnt(0)
	v_max_f32_e32 v130, v130, v130
	v_max_f32_e32 v30, v30, v130
	s_delay_alu instid0(VALU_DEP_1) | instskip(SKIP_1) | instid1(VALU_DEP_2)
	v_sub_f32_e32 v130, v132, v30
	v_sub_f32_e32 v31, v31, v30
	v_mul_f32_e32 v132, 0x3fb8aa3b, v130
	v_cmp_ngt_f32_e32 vcc_lo, 0xc2ce8ed0, v130
	s_delay_alu instid0(VALU_DEP_2) | instskip(SKIP_1) | instid1(VALU_DEP_1)
	v_fma_f32 v133, 0x3fb8aa3b, v130, -v132
	v_rndne_f32_e32 v136, v132
	v_dual_fmac_f32 v133, 0x32a5705f, v130 :: v_dual_sub_f32 v132, v132, v136
	s_delay_alu instid0(VALU_DEP_1) | instskip(SKIP_1) | instid1(VALU_DEP_2)
	v_add_f32_e32 v132, v132, v133
	v_cvt_i32_f32_e32 v133, v136
	v_exp_f32_e32 v132, v132
	s_waitcnt_depctr 0xfff
	v_ldexp_f32 v132, v132, v133
	s_delay_alu instid0(VALU_DEP_1) | instskip(SKIP_2) | instid1(VALU_DEP_3)
	v_cndmask_b32_e32 v132, 0, v132, vcc_lo
	v_cmp_nlt_f32_e32 vcc_lo, 0x42b17218, v130
	v_mul_f32_e32 v130, 0x3fb8aa3b, v31
	v_cndmask_b32_e32 v132, 0x7f800000, v132, vcc_lo
	s_delay_alu instid0(VALU_DEP_2) | instskip(SKIP_2) | instid1(VALU_DEP_4)
	v_fma_f32 v133, 0x3fb8aa3b, v31, -v130
	v_rndne_f32_e32 v136, v130
	v_cmp_ngt_f32_e32 vcc_lo, 0xc2ce8ed0, v31
	v_cvt_f16_f32_e64 v138, v132
	s_delay_alu instid0(VALU_DEP_3) | instskip(NEXT) | instid1(VALU_DEP_1)
	v_dual_fmac_f32 v133, 0x32a5705f, v31 :: v_dual_sub_f32 v130, v130, v136
	v_add_f32_e32 v130, v130, v133
	v_cvt_i32_f32_e32 v133, v136
	s_delay_alu instid0(VALU_DEP_2) | instskip(SKIP_2) | instid1(VALU_DEP_1)
	v_exp_f32_e32 v130, v130
	s_waitcnt_depctr 0xfff
	v_ldexp_f32 v130, v130, v133
	v_cndmask_b32_e32 v130, 0, v130, vcc_lo
	v_cmp_nlt_f32_e32 vcc_lo, 0x42b17218, v31
	s_delay_alu instid0(VALU_DEP_2) | instskip(NEXT) | instid1(VALU_DEP_1)
	v_cndmask_b32_e32 v130, 0x7f800000, v130, vcc_lo
	v_cvt_f16_f32_e64 v31, v130
	v_fma_f32 v28, v28, v132, v130
	ds_store_b16 v35, v31
	ds_bpermute_b32 v31, v44, v134
	s_waitcnt lgkmcnt(0)
	v_max_f32_e32 v31, v31, v31
	s_delay_alu instid0(VALU_DEP_1) | instskip(SKIP_3) | instid1(VALU_DEP_1)
	v_max_f32_e32 v31, v134, v31
	ds_bpermute_b32 v132, v45, v31
	s_waitcnt lgkmcnt(0)
	v_max_f32_e32 v132, v132, v132
	v_max_f32_e32 v31, v31, v132
	ds_bpermute_b32 v132, v46, v31
	s_waitcnt lgkmcnt(0)
	v_max_f32_e32 v132, v132, v132
	s_delay_alu instid0(VALU_DEP_1) | instskip(SKIP_3) | instid1(VALU_DEP_1)
	v_max_f32_e32 v31, v31, v132
	ds_bpermute_b32 v132, v47, v31
	s_waitcnt lgkmcnt(0)
	v_max_f32_e32 v132, v132, v132
	v_max_f32_e32 v31, v31, v132
	s_delay_alu instid0(VALU_DEP_1) | instskip(NEXT) | instid1(VALU_DEP_1)
	v_sub_f32_e32 v131, v131, v31
	v_mul_f32_e32 v132, 0x3fb8aa3b, v131
	v_cmp_ngt_f32_e32 vcc_lo, 0xc2ce8ed0, v131
	s_delay_alu instid0(VALU_DEP_2) | instskip(SKIP_1) | instid1(VALU_DEP_1)
	v_fma_f32 v133, 0x3fb8aa3b, v131, -v132
	v_rndne_f32_e32 v134, v132
	v_dual_fmac_f32 v133, 0x32a5705f, v131 :: v_dual_sub_f32 v132, v132, v134
	s_delay_alu instid0(VALU_DEP_1) | instskip(SKIP_1) | instid1(VALU_DEP_2)
	v_add_f32_e32 v132, v132, v133
	v_cvt_i32_f32_e32 v133, v134
	v_exp_f32_e32 v132, v132
	s_waitcnt_depctr 0xfff
	v_ldexp_f32 v132, v132, v133
	s_delay_alu instid0(VALU_DEP_1) | instskip(SKIP_1) | instid1(VALU_DEP_2)
	v_cndmask_b32_e32 v132, 0, v132, vcc_lo
	v_cmp_nlt_f32_e32 vcc_lo, 0x42b17218, v131
	v_dual_cndmask_b32 v131, 0x7f800000, v132 :: v_dual_sub_f32 v132, v135, v31
	s_delay_alu instid0(VALU_DEP_1) | instskip(NEXT) | instid1(VALU_DEP_2)
	v_cvt_f16_f32_e64 v140, v131
	v_mul_f32_e32 v133, 0x3fb8aa3b, v132
	v_cmp_ngt_f32_e32 vcc_lo, 0xc2ce8ed0, v132
	s_delay_alu instid0(VALU_DEP_2) | instskip(SKIP_1) | instid1(VALU_DEP_1)
	v_fma_f32 v134, 0x3fb8aa3b, v132, -v133
	v_rndne_f32_e32 v135, v133
	v_dual_fmac_f32 v134, 0x32a5705f, v132 :: v_dual_sub_f32 v133, v133, v135
	s_delay_alu instid0(VALU_DEP_1) | instskip(SKIP_1) | instid1(VALU_DEP_2)
	v_add_f32_e32 v133, v133, v134
	v_cvt_i32_f32_e32 v134, v135
	v_exp_f32_e32 v133, v133
	s_waitcnt_depctr 0xfff
	v_ldexp_f32 v133, v133, v134
	s_delay_alu instid0(VALU_DEP_1) | instskip(SKIP_1) | instid1(VALU_DEP_2)
	v_cndmask_b32_e32 v133, 0, v133, vcc_lo
	v_cmp_nlt_f32_e32 vcc_lo, 0x42b17218, v132
	v_cndmask_b32_e32 v132, 0x7f800000, v133, vcc_lo
	s_delay_alu instid0(VALU_DEP_1)
	v_fma_f32 v29, v29, v131, v132
	v_cvt_f16_f32_e64 v132, v132
	v_add_co_u32 v131, vcc_lo, v60, s17
	ds_store_b16 v35, v132 offset:256
	v_add_co_ci_u32_e32 v132, vcc_lo, 0, v61, vcc_lo
	v_add_co_u32 v133, vcc_lo, v62, s17
	v_add_co_ci_u32_e32 v134, vcc_lo, 0, v63, vcc_lo
	global_load_b32 v131, v[131:132], off
	ds_load_u16 v143, v48 offset:256
	global_load_b32 v133, v[133:134], off
	s_waitcnt vmcnt(0)
	v_ashrrev_i32_e32 v133, v129, v133
	s_delay_alu instid0(VALU_DEP_1) | instskip(SKIP_3) | instid1(VALU_DEP_4)
	v_lshrrev_b32_e32 v135, 8, v133
	v_and_b32_e32 v134, 15, v133
	v_lshrrev_b32_e32 v136, 16, v133
	v_bfe_u32 v133, v133, 24, 4
	v_and_b32_e32 v135, 15, v135
	s_delay_alu instid0(VALU_DEP_4) | instskip(NEXT) | instid1(VALU_DEP_4)
	v_cvt_f16_u16_e64 v132, v134
	v_and_b32_e32 v136, 15, v136
	s_delay_alu instid0(VALU_DEP_4) | instskip(NEXT) | instid1(VALU_DEP_4)
	v_cvt_f16_u16_e64 v133, v133
	v_cvt_f16_u16_e64 v134, v135
	s_delay_alu instid0(VALU_DEP_1) | instskip(NEXT) | instid1(VALU_DEP_1)
	v_pack_b32_f16 v132, v132, v134
	v_pk_fma_f16 v144, v131, v132, v131 op_sel:[0,0,1] op_sel_hi:[0,1,1]
	v_cvt_f16_u16_e64 v132, v136
	s_delay_alu instid0(VALU_DEP_1) | instskip(NEXT) | instid1(VALU_DEP_1)
	v_pack_b32_f16 v132, v132, v133
	v_pk_fma_f16 v145, v131, v132, v131 op_sel:[0,0,1] op_sel_hi:[0,1,1]
	ds_load_u16 v146, v48
	ds_load_u16 v147, v48 offset:4
	ds_load_u16 v148, v48 offset:8
	;; [unrolled: 1-line block ×15, first 2 shown]
	s_waitcnt lgkmcnt(15)
	v_pk_mul_f16 v152, v144, v146 op_sel_hi:[1,0]
	s_delay_alu instid0(VALU_DEP_1) | instskip(SKIP_1) | instid1(VALU_DEP_1)
	v_pk_fma_f16 v152, v138, v8, v152 op_sel_hi:[0,1,1]
	v_pk_mul_f16 v8, v144, v143 op_sel_hi:[1,0]
	v_pk_fma_f16 v144, v140, v10, v8 op_sel_hi:[0,1,1]
	v_pk_mul_f16 v8, v145, v146 op_sel_hi:[1,0]
	s_delay_alu instid0(VALU_DEP_1) | instskip(SKIP_1) | instid1(VALU_DEP_1)
	v_pk_fma_f16 v146, v138, v9, v8 op_sel_hi:[0,1,1]
	v_pk_mul_f16 v8, v145, v143 op_sel_hi:[1,0]
	v_pk_fma_f16 v145, v140, v11, v8 op_sel_hi:[0,1,1]
	v_add_co_u32 v8, vcc_lo, v64, s17
	v_add_co_ci_u32_e32 v9, vcc_lo, 0, v65, vcc_lo
	v_add_co_u32 v10, vcc_lo, v66, s17
	v_add_co_ci_u32_e32 v11, vcc_lo, 0, v67, vcc_lo
	global_load_b32 v8, v[8:9], off
	global_load_b32 v10, v[10:11], off
	s_waitcnt vmcnt(0)
	v_ashrrev_i32_e32 v10, v129, v10
	s_delay_alu instid0(VALU_DEP_1) | instskip(SKIP_3) | instid1(VALU_DEP_4)
	v_lshrrev_b32_e32 v138, 8, v10
	v_and_b32_e32 v11, 15, v10
	v_lshrrev_b32_e32 v140, 16, v10
	v_bfe_u32 v10, v10, 24, 4
	v_and_b32_e32 v138, 15, v138
	s_delay_alu instid0(VALU_DEP_4) | instskip(NEXT) | instid1(VALU_DEP_4)
	v_cvt_f16_u16_e32 v9, v11
	v_and_b32_e32 v140, 15, v140
	s_delay_alu instid0(VALU_DEP_4) | instskip(NEXT) | instid1(VALU_DEP_4)
	v_cvt_f16_u16_e32 v10, v10
	v_cvt_f16_u16_e64 v11, v138
	s_delay_alu instid0(VALU_DEP_1) | instskip(NEXT) | instid1(VALU_DEP_1)
	v_pack_b32_f16 v9, v9, v11
	v_pk_fma_f16 v153, v8, v9, v8 op_sel:[0,0,1] op_sel_hi:[0,1,1]
	v_cvt_f16_u16_e64 v9, v140
	s_waitcnt lgkmcnt(14)
	s_delay_alu instid0(VALU_DEP_2) | instskip(NEXT) | instid1(VALU_DEP_2)
	v_pk_fma_f16 v152, v153, v147, v152 op_sel_hi:[1,0,1]
	v_pack_b32_f16 v9, v9, v10
	s_delay_alu instid0(VALU_DEP_1)
	v_pk_fma_f16 v154, v8, v9, v8 op_sel:[0,0,1] op_sel_hi:[0,1,1]
	ds_load_u16 v155, v49 offset:4
	ds_load_u16 v156, v49 offset:8
	;; [unrolled: 1-line block ×12, first 2 shown]
	v_pk_fma_f16 v160, v154, v147, v146 op_sel_hi:[1,0,1]
	s_waitcnt lgkmcnt(11)
	v_pk_fma_f16 v153, v153, v155, v144 op_sel_hi:[1,0,1]
	v_add_co_u32 v144, vcc_lo, v124, s17
	v_pk_fma_f16 v154, v154, v155, v145 op_sel_hi:[1,0,1]
	v_add_co_ci_u32_e32 v145, vcc_lo, 0, v125, vcc_lo
	v_add_co_u32 v146, vcc_lo, v122, s17
	v_add_co_ci_u32_e32 v147, vcc_lo, 0, v123, vcc_lo
	global_load_b32 v144, v[144:145], off
	global_load_b32 v146, v[146:147], off
	s_waitcnt vmcnt(0)
	v_ashrrev_i32_e32 v146, v129, v146
	s_delay_alu instid0(VALU_DEP_1) | instskip(SKIP_3) | instid1(VALU_DEP_4)
	v_lshrrev_b32_e32 v155, 8, v146
	v_and_b32_e32 v147, 15, v146
	v_lshrrev_b32_e32 v161, 16, v146
	v_bfe_u32 v146, v146, 24, 4
	v_and_b32_e32 v155, 15, v155
	s_delay_alu instid0(VALU_DEP_4) | instskip(NEXT) | instid1(VALU_DEP_4)
	v_cvt_f16_u16_e64 v145, v147
	v_and_b32_e32 v161, 15, v161
	s_delay_alu instid0(VALU_DEP_4) | instskip(NEXT) | instid1(VALU_DEP_4)
	v_cvt_f16_u16_e64 v146, v146
	v_cvt_f16_u16_e64 v147, v155
	s_delay_alu instid0(VALU_DEP_1) | instskip(NEXT) | instid1(VALU_DEP_4)
	v_pack_b32_f16 v145, v145, v147
	v_cvt_f16_u16_e64 v147, v161
	s_delay_alu instid0(VALU_DEP_2) | instskip(NEXT) | instid1(VALU_DEP_2)
	v_pk_fma_f16 v145, v144, v145, v144 op_sel:[0,0,1] op_sel_hi:[0,1,1]
	v_pack_b32_f16 v146, v147, v146
	s_delay_alu instid0(VALU_DEP_2) | instskip(NEXT) | instid1(VALU_DEP_2)
	v_pk_fma_f16 v152, v145, v148, v152 op_sel_hi:[1,0,1]
	v_pk_fma_f16 v144, v144, v146, v144 op_sel:[0,0,1] op_sel_hi:[0,1,1]
	s_waitcnt lgkmcnt(10)
	v_pk_fma_f16 v153, v145, v156, v153 op_sel_hi:[1,0,1]
	s_delay_alu instid0(VALU_DEP_2)
	v_pk_fma_f16 v148, v144, v148, v160 op_sel_hi:[1,0,1]
	v_pk_fma_f16 v154, v144, v156, v154 op_sel_hi:[1,0,1]
	v_add_co_u32 v144, vcc_lo, v120, s17
	v_add_co_ci_u32_e32 v145, vcc_lo, 0, v121, vcc_lo
	v_add_co_u32 v146, vcc_lo, v118, s17
	v_add_co_ci_u32_e32 v147, vcc_lo, 0, v119, vcc_lo
	global_load_b32 v144, v[144:145], off
	global_load_b32 v146, v[146:147], off
	s_waitcnt vmcnt(0)
	v_ashrrev_i32_e32 v146, v129, v146
	s_delay_alu instid0(VALU_DEP_1) | instskip(SKIP_3) | instid1(VALU_DEP_4)
	v_lshrrev_b32_e32 v155, 8, v146
	v_and_b32_e32 v147, 15, v146
	v_lshrrev_b32_e32 v156, 16, v146
	v_bfe_u32 v146, v146, 24, 4
	v_and_b32_e32 v155, 15, v155
	s_delay_alu instid0(VALU_DEP_4) | instskip(NEXT) | instid1(VALU_DEP_4)
	v_cvt_f16_u16_e64 v145, v147
	v_and_b32_e32 v156, 15, v156
	s_delay_alu instid0(VALU_DEP_4) | instskip(NEXT) | instid1(VALU_DEP_4)
	v_cvt_f16_u16_e64 v146, v146
	v_cvt_f16_u16_e64 v147, v155
	s_delay_alu instid0(VALU_DEP_1) | instskip(NEXT) | instid1(VALU_DEP_4)
	v_pack_b32_f16 v145, v145, v147
	v_cvt_f16_u16_e64 v147, v156
	s_delay_alu instid0(VALU_DEP_2) | instskip(NEXT) | instid1(VALU_DEP_2)
	v_pk_fma_f16 v145, v144, v145, v144 op_sel:[0,0,1] op_sel_hi:[0,1,1]
	v_pack_b32_f16 v146, v147, v146
	s_delay_alu instid0(VALU_DEP_2) | instskip(NEXT) | instid1(VALU_DEP_2)
	v_pk_fma_f16 v152, v145, v149, v152 op_sel_hi:[1,0,1]
	v_pk_fma_f16 v144, v144, v146, v144 op_sel:[0,0,1] op_sel_hi:[0,1,1]
	s_waitcnt lgkmcnt(9)
	v_pk_fma_f16 v153, v145, v157, v153 op_sel_hi:[1,0,1]
	s_delay_alu instid0(VALU_DEP_2)
	v_pk_fma_f16 v148, v144, v149, v148 op_sel_hi:[1,0,1]
	v_pk_fma_f16 v149, v144, v157, v154 op_sel_hi:[1,0,1]
	v_add_co_u32 v144, vcc_lo, v116, s17
	v_add_co_ci_u32_e32 v145, vcc_lo, 0, v117, vcc_lo
	v_add_co_u32 v146, vcc_lo, v114, s17
	v_add_co_ci_u32_e32 v147, vcc_lo, 0, v115, vcc_lo
	global_load_b32 v144, v[144:145], off
	ds_load_u16 v154, v48 offset:272
	global_load_b32 v146, v[146:147], off
	s_waitcnt vmcnt(0)
	v_ashrrev_i32_e32 v146, v129, v146
	s_delay_alu instid0(VALU_DEP_1) | instskip(SKIP_3) | instid1(VALU_DEP_4)
	v_lshrrev_b32_e32 v155, 8, v146
	v_and_b32_e32 v147, 15, v146
	v_lshrrev_b32_e32 v156, 16, v146
	v_bfe_u32 v146, v146, 24, 4
	v_and_b32_e32 v155, 15, v155
	s_delay_alu instid0(VALU_DEP_4) | instskip(NEXT) | instid1(VALU_DEP_4)
	v_cvt_f16_u16_e64 v145, v147
	v_and_b32_e32 v156, 15, v156
	s_delay_alu instid0(VALU_DEP_4) | instskip(NEXT) | instid1(VALU_DEP_4)
	v_cvt_f16_u16_e64 v146, v146
	v_cvt_f16_u16_e64 v147, v155
	s_delay_alu instid0(VALU_DEP_1) | instskip(NEXT) | instid1(VALU_DEP_4)
	v_pack_b32_f16 v145, v145, v147
	v_cvt_f16_u16_e64 v147, v156
	s_delay_alu instid0(VALU_DEP_2) | instskip(NEXT) | instid1(VALU_DEP_2)
	v_pk_fma_f16 v145, v144, v145, v144 op_sel:[0,0,1] op_sel_hi:[0,1,1]
	v_pack_b32_f16 v146, v147, v146
	s_delay_alu instid0(VALU_DEP_2) | instskip(NEXT) | instid1(VALU_DEP_2)
	v_pk_fma_f16 v152, v145, v150, v152 op_sel_hi:[1,0,1]
	v_pk_fma_f16 v144, v144, v146, v144 op_sel:[0,0,1] op_sel_hi:[0,1,1]
	s_waitcnt lgkmcnt(0)
	v_pk_fma_f16 v153, v145, v154, v153 op_sel_hi:[1,0,1]
	s_delay_alu instid0(VALU_DEP_2)
	v_pk_fma_f16 v148, v144, v150, v148 op_sel_hi:[1,0,1]
	v_pk_fma_f16 v149, v144, v154, v149 op_sel_hi:[1,0,1]
	v_add_co_u32 v144, vcc_lo, v112, s17
	v_add_co_ci_u32_e32 v145, vcc_lo, 0, v113, vcc_lo
	v_add_co_u32 v146, vcc_lo, v110, s17
	v_add_co_ci_u32_e32 v147, vcc_lo, 0, v111, vcc_lo
	global_load_b32 v144, v[144:145], off
	global_load_b32 v146, v[146:147], off
	s_waitcnt vmcnt(0)
	v_ashrrev_i32_e32 v146, v129, v146
	s_delay_alu instid0(VALU_DEP_1) | instskip(SKIP_3) | instid1(VALU_DEP_4)
	v_lshrrev_b32_e32 v150, 8, v146
	v_and_b32_e32 v147, 15, v146
	v_lshrrev_b32_e32 v154, 16, v146
	v_bfe_u32 v146, v146, 24, 4
	v_and_b32_e32 v150, 15, v150
	s_delay_alu instid0(VALU_DEP_4) | instskip(NEXT) | instid1(VALU_DEP_4)
	v_cvt_f16_u16_e64 v145, v147
	v_and_b32_e32 v154, 15, v154
	s_delay_alu instid0(VALU_DEP_4) | instskip(NEXT) | instid1(VALU_DEP_4)
	v_cvt_f16_u16_e64 v146, v146
	v_cvt_f16_u16_e64 v147, v150
	s_delay_alu instid0(VALU_DEP_1) | instskip(NEXT) | instid1(VALU_DEP_4)
	v_pack_b32_f16 v145, v145, v147
	v_cvt_f16_u16_e64 v147, v154
	s_delay_alu instid0(VALU_DEP_2) | instskip(NEXT) | instid1(VALU_DEP_2)
	v_pk_fma_f16 v145, v144, v145, v144 op_sel:[0,0,1] op_sel_hi:[0,1,1]
	v_pack_b32_f16 v146, v147, v146
	s_delay_alu instid0(VALU_DEP_2) | instskip(NEXT) | instid1(VALU_DEP_2)
	v_pk_fma_f16 v150, v145, v151, v152 op_sel_hi:[1,0,1]
	v_pk_fma_f16 v144, v144, v146, v144 op_sel:[0,0,1] op_sel_hi:[0,1,1]
	v_pk_fma_f16 v152, v145, v158, v153 op_sel_hi:[1,0,1]
	s_delay_alu instid0(VALU_DEP_2)
	v_pk_fma_f16 v148, v144, v151, v148 op_sel_hi:[1,0,1]
	v_pk_fma_f16 v149, v144, v158, v149 op_sel_hi:[1,0,1]
	v_add_co_u32 v144, vcc_lo, v108, s17
	v_add_co_ci_u32_e32 v145, vcc_lo, 0, v109, vcc_lo
	v_add_co_u32 v146, vcc_lo, v106, s17
	v_add_co_ci_u32_e32 v147, vcc_lo, 0, v107, vcc_lo
	global_load_b32 v144, v[144:145], off
	global_load_b32 v146, v[146:147], off
	s_waitcnt vmcnt(0)
	v_ashrrev_i32_e32 v146, v129, v146
	s_delay_alu instid0(VALU_DEP_1) | instskip(SKIP_3) | instid1(VALU_DEP_4)
	v_lshrrev_b32_e32 v151, 8, v146
	v_and_b32_e32 v147, 15, v146
	v_lshrrev_b32_e32 v153, 16, v146
	v_bfe_u32 v146, v146, 24, 4
	v_and_b32_e32 v151, 15, v151
	s_delay_alu instid0(VALU_DEP_4) | instskip(NEXT) | instid1(VALU_DEP_4)
	v_cvt_f16_u16_e64 v145, v147
	v_and_b32_e32 v153, 15, v153
	s_delay_alu instid0(VALU_DEP_4) | instskip(NEXT) | instid1(VALU_DEP_4)
	v_cvt_f16_u16_e64 v146, v146
	v_cvt_f16_u16_e64 v147, v151
	s_delay_alu instid0(VALU_DEP_1) | instskip(NEXT) | instid1(VALU_DEP_4)
	v_pack_b32_f16 v145, v145, v147
	v_cvt_f16_u16_e64 v147, v153
	s_delay_alu instid0(VALU_DEP_2) | instskip(NEXT) | instid1(VALU_DEP_2)
	v_pk_fma_f16 v145, v144, v145, v144 op_sel:[0,0,1] op_sel_hi:[0,1,1]
	v_pack_b32_f16 v146, v147, v146
	s_delay_alu instid0(VALU_DEP_2) | instskip(NEXT) | instid1(VALU_DEP_2)
	v_pk_fma_f16 v150, v145, v142, v150 op_sel_hi:[1,0,1]
	v_pk_fma_f16 v144, v144, v146, v144 op_sel:[0,0,1] op_sel_hi:[0,1,1]
	v_pk_fma_f16 v151, v145, v159, v152 op_sel_hi:[1,0,1]
	s_delay_alu instid0(VALU_DEP_2)
	v_pk_fma_f16 v142, v144, v142, v148 op_sel_hi:[1,0,1]
	v_pk_fma_f16 v148, v144, v159, v149 op_sel_hi:[1,0,1]
	v_add_co_u32 v144, vcc_lo, v104, s17
	v_add_co_ci_u32_e32 v145, vcc_lo, 0, v105, vcc_lo
	v_add_co_u32 v146, vcc_lo, v102, s17
	v_add_co_ci_u32_e32 v147, vcc_lo, 0, v103, vcc_lo
	global_load_b32 v144, v[144:145], off
	global_load_b32 v146, v[146:147], off
	s_waitcnt vmcnt(0)
	v_ashrrev_i32_e32 v146, v129, v146
	s_delay_alu instid0(VALU_DEP_1) | instskip(SKIP_3) | instid1(VALU_DEP_4)
	v_and_b32_e32 v147, 15, v146
	v_lshrrev_b32_e32 v149, 8, v146
	v_lshrrev_b32_e32 v152, 16, v146
	v_bfe_u32 v146, v146, 24, 4
	v_cvt_f16_u16_e64 v145, v147
	s_delay_alu instid0(VALU_DEP_4) | instskip(NEXT) | instid1(VALU_DEP_4)
	v_and_b32_e32 v149, 15, v149
	v_and_b32_e32 v152, 15, v152
	s_delay_alu instid0(VALU_DEP_4) | instskip(NEXT) | instid1(VALU_DEP_3)
	v_cvt_f16_u16_e64 v146, v146
	v_cvt_f16_u16_e64 v147, v149
	ds_load_u16 v149, v48 offset:288
	v_pack_b32_f16 v145, v145, v147
	v_cvt_f16_u16_e64 v147, v152
	s_delay_alu instid0(VALU_DEP_2) | instskip(NEXT) | instid1(VALU_DEP_2)
	v_pk_fma_f16 v145, v144, v145, v144 op_sel:[0,0,1] op_sel_hi:[0,1,1]
	v_pack_b32_f16 v146, v147, v146
	s_delay_alu instid0(VALU_DEP_1) | instskip(NEXT) | instid1(VALU_DEP_3)
	v_pk_fma_f16 v144, v144, v146, v144 op_sel:[0,0,1] op_sel_hi:[0,1,1]
	v_pk_fma_f16 v146, v145, v141, v150 op_sel_hi:[1,0,1]
	v_pk_fma_f16 v145, v145, v143, v151 op_sel_hi:[1,0,1]
	s_delay_alu instid0(VALU_DEP_3)
	v_pk_fma_f16 v147, v144, v141, v142 op_sel_hi:[1,0,1]
	v_add_co_u32 v141, vcc_lo, v100, s17
	v_add_co_ci_u32_e32 v142, vcc_lo, 0, v101, vcc_lo
	v_pk_fma_f16 v148, v144, v143, v148 op_sel_hi:[1,0,1]
	v_add_co_u32 v143, vcc_lo, v98, s17
	v_add_co_ci_u32_e32 v144, vcc_lo, 0, v99, vcc_lo
	global_load_b32 v141, v[141:142], off
	global_load_b32 v143, v[143:144], off
	s_waitcnt vmcnt(0)
	v_ashrrev_i32_e32 v143, v129, v143
	s_delay_alu instid0(VALU_DEP_1) | instskip(SKIP_3) | instid1(VALU_DEP_4)
	v_lshrrev_b32_e32 v150, 8, v143
	v_and_b32_e32 v144, 15, v143
	v_lshrrev_b32_e32 v151, 16, v143
	v_bfe_u32 v143, v143, 24, 4
	v_and_b32_e32 v150, 15, v150
	s_delay_alu instid0(VALU_DEP_4) | instskip(NEXT) | instid1(VALU_DEP_4)
	v_cvt_f16_u16_e64 v142, v144
	v_and_b32_e32 v151, 15, v151
	s_delay_alu instid0(VALU_DEP_4) | instskip(NEXT) | instid1(VALU_DEP_4)
	v_cvt_f16_u16_e64 v143, v143
	v_cvt_f16_u16_e64 v144, v150
	s_delay_alu instid0(VALU_DEP_1) | instskip(NEXT) | instid1(VALU_DEP_4)
	v_pack_b32_f16 v142, v142, v144
	v_cvt_f16_u16_e64 v144, v151
	s_delay_alu instid0(VALU_DEP_2) | instskip(NEXT) | instid1(VALU_DEP_2)
	v_pk_fma_f16 v142, v141, v142, v141 op_sel:[0,0,1] op_sel_hi:[0,1,1]
	v_pack_b32_f16 v143, v144, v143
	s_delay_alu instid0(VALU_DEP_2) | instskip(NEXT) | instid1(VALU_DEP_2)
	v_pk_fma_f16 v146, v142, v139, v146 op_sel_hi:[1,0,1]
	v_pk_fma_f16 v141, v141, v143, v141 op_sel:[0,0,1] op_sel_hi:[0,1,1]
	s_waitcnt lgkmcnt(0)
	v_pk_fma_f16 v145, v142, v149, v145 op_sel_hi:[1,0,1]
	s_delay_alu instid0(VALU_DEP_2)
	v_pk_fma_f16 v139, v141, v139, v147 op_sel_hi:[1,0,1]
	v_pk_fma_f16 v147, v141, v149, v148 op_sel_hi:[1,0,1]
	v_add_co_u32 v141, vcc_lo, v96, s17
	v_add_co_ci_u32_e32 v142, vcc_lo, 0, v97, vcc_lo
	v_add_co_u32 v143, vcc_lo, v94, s17
	v_add_co_ci_u32_e32 v144, vcc_lo, 0, v95, vcc_lo
	global_load_b32 v141, v[141:142], off
	global_load_b32 v143, v[143:144], off
	s_waitcnt vmcnt(0)
	v_ashrrev_i32_e32 v143, v129, v143
	s_delay_alu instid0(VALU_DEP_1) | instskip(SKIP_3) | instid1(VALU_DEP_4)
	v_lshrrev_b32_e32 v148, 8, v143
	v_and_b32_e32 v144, 15, v143
	v_lshrrev_b32_e32 v149, 16, v143
	v_bfe_u32 v143, v143, 24, 4
	v_and_b32_e32 v148, 15, v148
	s_delay_alu instid0(VALU_DEP_4) | instskip(NEXT) | instid1(VALU_DEP_4)
	v_cvt_f16_u16_e64 v142, v144
	v_and_b32_e32 v149, 15, v149
	s_delay_alu instid0(VALU_DEP_4) | instskip(NEXT) | instid1(VALU_DEP_4)
	v_cvt_f16_u16_e64 v143, v143
	v_cvt_f16_u16_e64 v144, v148
	s_delay_alu instid0(VALU_DEP_1) | instskip(NEXT) | instid1(VALU_DEP_4)
	v_pack_b32_f16 v142, v142, v144
	v_cvt_f16_u16_e64 v144, v149
	s_delay_alu instid0(VALU_DEP_2) | instskip(NEXT) | instid1(VALU_DEP_2)
	v_pk_fma_f16 v142, v141, v142, v141 op_sel:[0,0,1] op_sel_hi:[0,1,1]
	v_pack_b32_f16 v143, v144, v143
	s_delay_alu instid0(VALU_DEP_2) | instskip(NEXT) | instid1(VALU_DEP_2)
	v_pk_fma_f16 v144, v142, v140, v145 op_sel_hi:[1,0,1]
	v_pk_fma_f16 v141, v141, v143, v141 op_sel:[0,0,1] op_sel_hi:[0,1,1]
	v_pk_fma_f16 v143, v142, v137, v146 op_sel_hi:[1,0,1]
	s_delay_alu instid0(VALU_DEP_2)
	v_pk_fma_f16 v137, v141, v137, v139 op_sel_hi:[1,0,1]
	v_add_co_u32 v139, vcc_lo, v92, s17
	v_pk_fma_f16 v145, v141, v140, v147 op_sel_hi:[1,0,1]
	v_add_co_ci_u32_e32 v140, vcc_lo, 0, v93, vcc_lo
	v_add_co_u32 v141, vcc_lo, v90, s17
	v_add_co_ci_u32_e32 v142, vcc_lo, 0, v91, vcc_lo
	global_load_b32 v139, v[139:140], off
	global_load_b32 v141, v[141:142], off
	s_waitcnt vmcnt(0)
	v_ashrrev_i32_e32 v141, v129, v141
	s_delay_alu instid0(VALU_DEP_1) | instskip(SKIP_3) | instid1(VALU_DEP_4)
	v_lshrrev_b32_e32 v146, 8, v141
	v_and_b32_e32 v142, 15, v141
	v_lshrrev_b32_e32 v147, 16, v141
	v_bfe_u32 v141, v141, 24, 4
	v_and_b32_e32 v146, 15, v146
	s_delay_alu instid0(VALU_DEP_4) | instskip(NEXT) | instid1(VALU_DEP_4)
	v_cvt_f16_u16_e64 v140, v142
	v_and_b32_e32 v147, 15, v147
	s_delay_alu instid0(VALU_DEP_4) | instskip(NEXT) | instid1(VALU_DEP_4)
	v_cvt_f16_u16_e64 v141, v141
	v_cvt_f16_u16_e64 v142, v146
	s_delay_alu instid0(VALU_DEP_1) | instskip(NEXT) | instid1(VALU_DEP_4)
	v_pack_b32_f16 v140, v140, v142
	v_cvt_f16_u16_e64 v142, v147
	s_delay_alu instid0(VALU_DEP_2) | instskip(NEXT) | instid1(VALU_DEP_2)
	v_pk_fma_f16 v140, v139, v140, v139 op_sel:[0,0,1] op_sel_hi:[0,1,1]
	v_pack_b32_f16 v141, v142, v141
	s_delay_alu instid0(VALU_DEP_1) | instskip(NEXT) | instid1(VALU_DEP_3)
	v_pk_fma_f16 v139, v139, v141, v139 op_sel:[0,0,1] op_sel_hi:[0,1,1]
	v_pk_fma_f16 v141, v140, v136, v143 op_sel_hi:[1,0,1]
	v_pk_fma_f16 v140, v140, v138, v144 op_sel_hi:[1,0,1]
	s_delay_alu instid0(VALU_DEP_3)
	v_pk_fma_f16 v142, v139, v136, v137 op_sel_hi:[1,0,1]
	v_add_co_u32 v136, vcc_lo, v88, s17
	v_add_co_ci_u32_e32 v137, vcc_lo, 0, v89, vcc_lo
	v_pk_fma_f16 v143, v139, v138, v145 op_sel_hi:[1,0,1]
	v_add_co_u32 v138, vcc_lo, v86, s17
	v_add_co_ci_u32_e32 v139, vcc_lo, 0, v87, vcc_lo
	global_load_b32 v136, v[136:137], off
	global_load_b32 v138, v[138:139], off
	s_waitcnt vmcnt(0)
	v_ashrrev_i32_e32 v138, v129, v138
	s_delay_alu instid0(VALU_DEP_1) | instskip(SKIP_3) | instid1(VALU_DEP_4)
	v_lshrrev_b32_e32 v144, 8, v138
	v_and_b32_e32 v139, 15, v138
	v_lshrrev_b32_e32 v145, 16, v138
	v_bfe_u32 v138, v138, 24, 4
	v_and_b32_e32 v144, 15, v144
	s_delay_alu instid0(VALU_DEP_4) | instskip(NEXT) | instid1(VALU_DEP_4)
	v_cvt_f16_u16_e64 v137, v139
	v_and_b32_e32 v145, 15, v145
	s_delay_alu instid0(VALU_DEP_4) | instskip(NEXT) | instid1(VALU_DEP_4)
	v_cvt_f16_u16_e64 v138, v138
	v_cvt_f16_u16_e64 v139, v144
	s_delay_alu instid0(VALU_DEP_1) | instskip(NEXT) | instid1(VALU_DEP_4)
	v_pack_b32_f16 v137, v137, v139
	v_cvt_f16_u16_e64 v139, v145
	s_delay_alu instid0(VALU_DEP_2) | instskip(NEXT) | instid1(VALU_DEP_2)
	v_pk_fma_f16 v137, v136, v137, v136 op_sel:[0,0,1] op_sel_hi:[0,1,1]
	v_pack_b32_f16 v138, v139, v138
	s_delay_alu instid0(VALU_DEP_2) | instskip(NEXT) | instid1(VALU_DEP_2)
	v_pk_fma_f16 v139, v137, v135, v141 op_sel_hi:[1,0,1]
	v_pk_fma_f16 v136, v136, v138, v136 op_sel:[0,0,1] op_sel_hi:[0,1,1]
	v_pk_fma_f16 v140, v137, v10, v140 op_sel_hi:[1,0,1]
	s_delay_alu instid0(VALU_DEP_2)
	v_pk_fma_f16 v141, v136, v135, v142 op_sel_hi:[1,0,1]
	v_add_co_u32 v135, vcc_lo, v84, s17
	v_pk_fma_f16 v10, v136, v10, v143 op_sel_hi:[1,0,1]
	v_add_co_ci_u32_e32 v136, vcc_lo, 0, v85, vcc_lo
	v_add_co_u32 v137, vcc_lo, v82, s17
	v_add_co_ci_u32_e32 v138, vcc_lo, 0, v83, vcc_lo
	global_load_b32 v135, v[135:136], off
	ds_load_u16 v142, v48 offset:304
	global_load_b32 v137, v[137:138], off
	s_waitcnt vmcnt(0)
	v_ashrrev_i32_e32 v137, v129, v137
	s_delay_alu instid0(VALU_DEP_1) | instskip(SKIP_3) | instid1(VALU_DEP_4)
	v_lshrrev_b32_e32 v143, 8, v137
	v_and_b32_e32 v138, 15, v137
	v_lshrrev_b32_e32 v144, 16, v137
	v_bfe_u32 v137, v137, 24, 4
	v_and_b32_e32 v143, 15, v143
	s_delay_alu instid0(VALU_DEP_4) | instskip(NEXT) | instid1(VALU_DEP_4)
	v_cvt_f16_u16_e64 v136, v138
	v_and_b32_e32 v144, 15, v144
	s_delay_alu instid0(VALU_DEP_4) | instskip(NEXT) | instid1(VALU_DEP_4)
	v_cvt_f16_u16_e64 v137, v137
	v_cvt_f16_u16_e64 v138, v143
	s_delay_alu instid0(VALU_DEP_1) | instskip(NEXT) | instid1(VALU_DEP_4)
	v_pack_b32_f16 v136, v136, v138
	v_cvt_f16_u16_e64 v138, v144
	s_delay_alu instid0(VALU_DEP_2) | instskip(NEXT) | instid1(VALU_DEP_2)
	v_pk_fma_f16 v136, v135, v136, v135 op_sel:[0,0,1] op_sel_hi:[0,1,1]
	v_pack_b32_f16 v137, v138, v137
	s_delay_alu instid0(VALU_DEP_2) | instskip(NEXT) | instid1(VALU_DEP_2)
	v_pk_fma_f16 v138, v136, v134, v139 op_sel_hi:[1,0,1]
	v_pk_fma_f16 v135, v135, v137, v135 op_sel:[0,0,1] op_sel_hi:[0,1,1]
	s_waitcnt lgkmcnt(0)
	v_pk_fma_f16 v139, v136, v142, v140 op_sel_hi:[1,0,1]
	s_delay_alu instid0(VALU_DEP_2)
	v_pk_fma_f16 v140, v135, v134, v141 op_sel_hi:[1,0,1]
	v_add_co_u32 v134, vcc_lo, v80, s17
	v_pk_fma_f16 v10, v135, v142, v10 op_sel_hi:[1,0,1]
	v_add_co_ci_u32_e32 v135, vcc_lo, 0, v81, vcc_lo
	v_add_co_u32 v136, vcc_lo, v78, s17
	v_add_co_ci_u32_e32 v137, vcc_lo, 0, v79, vcc_lo
	global_load_b32 v134, v[134:135], off
	global_load_b32 v136, v[136:137], off
	s_waitcnt vmcnt(0)
	v_ashrrev_i32_e32 v136, v129, v136
	s_delay_alu instid0(VALU_DEP_1) | instskip(SKIP_3) | instid1(VALU_DEP_4)
	v_lshrrev_b32_e32 v141, 8, v136
	v_and_b32_e32 v137, 15, v136
	v_lshrrev_b32_e32 v142, 16, v136
	v_bfe_u32 v136, v136, 24, 4
	v_and_b32_e32 v141, 15, v141
	s_delay_alu instid0(VALU_DEP_4) | instskip(NEXT) | instid1(VALU_DEP_4)
	v_cvt_f16_u16_e64 v135, v137
	v_and_b32_e32 v142, 15, v142
	s_delay_alu instid0(VALU_DEP_4) | instskip(NEXT) | instid1(VALU_DEP_4)
	v_cvt_f16_u16_e64 v136, v136
	v_cvt_f16_u16_e64 v137, v141
	s_delay_alu instid0(VALU_DEP_1) | instskip(NEXT) | instid1(VALU_DEP_4)
	v_pack_b32_f16 v135, v135, v137
	v_cvt_f16_u16_e64 v137, v142
	s_delay_alu instid0(VALU_DEP_2) | instskip(NEXT) | instid1(VALU_DEP_2)
	v_pk_fma_f16 v135, v134, v135, v134 op_sel:[0,0,1] op_sel_hi:[0,1,1]
	v_pack_b32_f16 v136, v137, v136
	s_delay_alu instid0(VALU_DEP_1) | instskip(NEXT) | instid1(VALU_DEP_3)
	v_pk_fma_f16 v134, v134, v136, v134 op_sel:[0,0,1] op_sel_hi:[0,1,1]
	v_pk_fma_f16 v136, v135, v133, v138 op_sel_hi:[1,0,1]
	v_pk_fma_f16 v135, v135, v9, v139 op_sel_hi:[1,0,1]
	s_delay_alu instid0(VALU_DEP_3)
	v_pk_fma_f16 v138, v134, v9, v10 op_sel_hi:[1,0,1]
	v_add_co_u32 v9, vcc_lo, v76, s17
	v_add_co_ci_u32_e32 v10, vcc_lo, 0, v77, vcc_lo
	v_pk_fma_f16 v137, v134, v133, v140 op_sel_hi:[1,0,1]
	v_add_co_u32 v133, vcc_lo, v74, s17
	v_add_co_ci_u32_e32 v134, vcc_lo, 0, v75, vcc_lo
	global_load_b32 v9, v[9:10], off
	global_load_b32 v133, v[133:134], off
	s_waitcnt vmcnt(0)
	v_ashrrev_i32_e32 v133, v129, v133
	s_delay_alu instid0(VALU_DEP_1) | instskip(SKIP_3) | instid1(VALU_DEP_4)
	v_lshrrev_b32_e32 v139, 8, v133
	v_and_b32_e32 v134, 15, v133
	v_lshrrev_b32_e32 v140, 16, v133
	v_bfe_u32 v133, v133, 24, 4
	v_and_b32_e32 v139, 15, v139
	s_delay_alu instid0(VALU_DEP_4) | instskip(NEXT) | instid1(VALU_DEP_4)
	v_cvt_f16_u16_e64 v10, v134
	v_and_b32_e32 v140, 15, v140
	s_delay_alu instid0(VALU_DEP_4) | instskip(NEXT) | instid1(VALU_DEP_4)
	v_cvt_f16_u16_e64 v133, v133
	v_cvt_f16_u16_e64 v134, v139
	s_delay_alu instid0(VALU_DEP_1) | instskip(NEXT) | instid1(VALU_DEP_4)
	v_pack_b32_f16 v10, v10, v134
	v_cvt_f16_u16_e64 v134, v140
	s_delay_alu instid0(VALU_DEP_2) | instskip(NEXT) | instid1(VALU_DEP_2)
	v_pk_fma_f16 v10, v9, v10, v9 op_sel:[0,0,1] op_sel_hi:[0,1,1]
	v_pack_b32_f16 v133, v134, v133
	s_delay_alu instid0(VALU_DEP_1) | instskip(NEXT) | instid1(VALU_DEP_3)
	v_pk_fma_f16 v133, v9, v133, v9 op_sel:[0,0,1] op_sel_hi:[0,1,1]
	v_pk_fma_f16 v9, v10, v132, v136 op_sel_hi:[1,0,1]
	v_pk_fma_f16 v10, v10, v8, v135 op_sel_hi:[1,0,1]
	s_delay_alu instid0(VALU_DEP_3)
	v_pk_fma_f16 v132, v133, v132, v137 op_sel_hi:[1,0,1]
	v_add_co_u32 v137, vcc_lo, v72, s17
	v_pk_fma_f16 v133, v133, v8, v138 op_sel_hi:[1,0,1]
	v_add_co_ci_u32_e32 v138, vcc_lo, 0, v73, vcc_lo
	v_add_co_u32 v134, vcc_lo, v70, s17
	v_add_co_ci_u32_e32 v135, vcc_lo, 0, v71, vcc_lo
	global_load_b32 v137, v[137:138], off
	v_add_co_u32 v50, vcc_lo, v50, s9
	global_load_b32 v8, v[134:135], off
	v_add_co_ci_u32_e32 v51, vcc_lo, 0, v51, vcc_lo
	v_add_co_u32 v52, vcc_lo, v52, s9
	v_add_co_ci_u32_e32 v53, vcc_lo, 0, v53, vcc_lo
	v_add_co_u32 v42, vcc_lo, v42, s10
	;; [unrolled: 2-line block ×38, first 2 shown]
	v_add_co_ci_u32_e32 v125, vcc_lo, 0, v125, vcc_lo
	s_waitcnt vmcnt(0)
	v_ashrrev_i32_e32 v134, v129, v8
	s_delay_alu instid0(VALU_DEP_1) | instskip(SKIP_1) | instid1(VALU_DEP_2)
	v_lshrrev_b32_e32 v8, 8, v134
	v_and_b32_e32 v135, 15, v134
	v_and_b32_e32 v136, 15, v8
	v_lshrrev_b32_e32 v8, 16, v134
	v_bfe_u32 v134, v134, 24, 4
	s_delay_alu instid0(VALU_DEP_4) | instskip(NEXT) | instid1(VALU_DEP_4)
	v_cvt_f16_u16_e64 v135, v135
	v_cvt_f16_u16_e64 v136, v136
	s_delay_alu instid0(VALU_DEP_4) | instskip(NEXT) | instid1(VALU_DEP_4)
	v_and_b32_e32 v8, 15, v8
	v_cvt_f16_u16_e64 v134, v134
	s_delay_alu instid0(VALU_DEP_3) | instskip(NEXT) | instid1(VALU_DEP_3)
	v_pack_b32_f16 v135, v135, v136
	v_cvt_f16_u16_e32 v8, v8
	s_delay_alu instid0(VALU_DEP_2) | instskip(NEXT) | instid1(VALU_DEP_2)
	v_pk_fma_f16 v135, v137, v135, v137 op_sel:[0,0,1] op_sel_hi:[0,1,1]
	v_pack_b32_f16 v8, v8, v134
	s_delay_alu instid0(VALU_DEP_2) | instskip(NEXT) | instid1(VALU_DEP_2)
	v_pk_fma_f16 v10, v135, v11, v10 op_sel_hi:[1,0,1]
	v_pk_fma_f16 v134, v137, v8, v137 op_sel:[0,0,1] op_sel_hi:[0,1,1]
	v_pk_fma_f16 v8, v135, v131, v9 op_sel_hi:[1,0,1]
	s_delay_alu instid0(VALU_DEP_2)
	v_pk_fma_f16 v9, v134, v131, v132 op_sel_hi:[1,0,1]
	v_pk_fma_f16 v11, v134, v11, v133 op_sel_hi:[1,0,1]
	s_cbranch_scc1 .LBB9_37
; %bb.36:                               ;   in Loop: Header=BB9_27 Depth=1
	v_dual_mov_b32 v132, v30 :: v_dual_mov_b32 v131, v31
	s_branch .LBB9_27
.LBB9_37:
	ds_store_b128 v37, v[8:11]
.LBB9_38:
	s_cmp_eq_u64 s[24:25], 0
	s_cselect_b32 s1, -1, 0
	s_cmp_lg_u32 s14, 0
	s_cselect_b32 s4, -1, 0
	s_delay_alu instid0(SALU_CYCLE_1) | instskip(NEXT) | instid1(SALU_CYCLE_1)
	s_or_b32 s1, s4, s1
	s_or_b32 s0, s0, s1
	s_delay_alu instid0(SALU_CYCLE_1) | instskip(NEXT) | instid1(SALU_CYCLE_1)
	s_xor_b32 s0, s0, -1
	s_and_saveexec_b32 s1, s0
	s_cbranch_execz .LBB9_40
; %bb.39:
	s_ashr_i32 s13, s12, 31
	v_cmp_eq_u32_e32 vcc_lo, 1, v33
	s_lshl_b64 s[4:5], s[12:13], 2
	s_delay_alu instid0(SALU_CYCLE_1) | instskip(SKIP_3) | instid1(VALU_DEP_1)
	s_add_u32 s4, s24, s4
	s_addc_u32 s5, s25, s5
	s_load_b32 s0, s[4:5], 0x0
	v_cndmask_b32_e32 v0, v30, v31, vcc_lo
	v_max_f32_e32 v1, v0, v0
	s_waitcnt lgkmcnt(0)
	v_max_f32_e64 v2, s0, s0
	s_delay_alu instid0(VALU_DEP_1) | instskip(NEXT) | instid1(VALU_DEP_1)
	v_max_f32_e32 v2, v2, v1
	v_sub_f32_e32 v3, s0, v2
	v_sub_f32_e32 v4, v0, v2
	s_delay_alu instid0(VALU_DEP_2) | instskip(SKIP_1) | instid1(VALU_DEP_2)
	v_mul_f32_e32 v0, 0x3fb8aa3b, v3
	v_cmp_ngt_f32_e64 s0, 0xc2ce8ed0, v3
	v_fma_f32 v5, 0x3fb8aa3b, v3, -v0
	v_rndne_f32_e32 v6, v0
	s_delay_alu instid0(VALU_DEP_2) | instskip(SKIP_2) | instid1(VALU_DEP_2)
	v_fmac_f32_e32 v5, 0x32a5705f, v3
	v_mul_f32_e32 v1, 0x3fb8aa3b, v4
	v_cndmask_b32_e32 v31, v31, v2, vcc_lo
	v_fma_f32 v7, 0x3fb8aa3b, v4, -v1
	v_rndne_f32_e32 v8, v1
	s_delay_alu instid0(VALU_DEP_2) | instskip(NEXT) | instid1(VALU_DEP_1)
	v_dual_sub_f32 v0, v0, v6 :: v_dual_fmac_f32 v7, 0x32a5705f, v4
	v_dual_sub_f32 v1, v1, v8 :: v_dual_add_f32 v0, v0, v5
	s_delay_alu instid0(VALU_DEP_1) | instskip(NEXT) | instid1(VALU_DEP_2)
	v_add_f32_e32 v1, v1, v7
	v_exp_f32_e32 v0, v0
	v_cvt_i32_f32_e32 v7, v8
	s_delay_alu instid0(VALU_DEP_2)
	v_exp_f32_e32 v5, v1
	v_cvt_i32_f32_e32 v1, v6
	v_lshl_add_u32 v6, v33, 3, v37
	s_waitcnt_depctr 0xfff
	v_ldexp_f32 v8, v0, v1
	ds_load_b64 v[0:1], v6
	v_ldexp_f32 v5, v5, v7
	v_cndmask_b32_e64 v7, 0, v8, s0
	v_cmp_ngt_f32_e64 s0, 0xc2ce8ed0, v4
	s_delay_alu instid0(VALU_DEP_1) | instskip(SKIP_1) | instid1(VALU_DEP_1)
	v_cndmask_b32_e64 v5, 0, v5, s0
	v_cmp_nlt_f32_e64 s0, 0x42b17218, v3
	v_cndmask_b32_e64 v3, 0x7f800000, v7, s0
	v_cmp_nlt_f32_e64 s0, 0x42b17218, v4
	v_cndmask_b32_e32 v7, v28, v29, vcc_lo
	s_delay_alu instid0(VALU_DEP_2) | instskip(SKIP_1) | instid1(VALU_DEP_2)
	v_cndmask_b32_e64 v4, 0x7f800000, v5, s0
	v_cmp_eq_u32_e64 s0, 0, v32
	v_cvt_f16_f32_e32 v5, v4
	s_delay_alu instid0(VALU_DEP_2) | instskip(SKIP_2) | instid1(VALU_DEP_3)
	v_cndmask_b32_e64 v3, 0, v3, s0
	v_cmp_eq_u32_e64 s0, 0, v33
	s_waitcnt lgkmcnt(0)
	v_pk_mul_f16 v0, v5, v0 op_sel_hi:[0,1]
	s_delay_alu instid0(VALU_DEP_3) | instskip(NEXT) | instid1(VALU_DEP_3)
	v_fmac_f32_e32 v3, v7, v4
	v_cndmask_b32_e64 v30, v30, v2, s0
	v_pk_mul_f16 v1, v5, v1 op_sel_hi:[0,1]
	s_delay_alu instid0(VALU_DEP_3)
	v_cndmask_b32_e32 v29, v29, v3, vcc_lo
	v_cndmask_b32_e64 v28, v28, v3, s0
	ds_store_b64 v6, v[0:1]
.LBB9_40:
	s_or_b32 exec_lo, exec_lo, s1
	s_delay_alu instid0(SALU_CYCLE_1)
	s_mov_b32 s0, exec_lo
	v_cmpx_eq_u32_e32 0, v33
	s_cbranch_execz .LBB9_42
; %bb.41:
	v_mov_b32_e32 v0, 0xfeffffff
	v_dual_mov_b32 v2, 0 :: v_dual_add_nc_u32 v1, 0x400, v36
	ds_store_2addr_b32 v1, v0, v0 offset1:32
	ds_store_2addr_b32 v1, v2, v2 offset0:64 offset1:96
.LBB9_42:
	s_or_b32 exec_lo, exec_lo, s0
	v_cmp_eq_u32_e64 s0, 0, v32
	s_waitcnt lgkmcnt(0)
	s_barrier
	buffer_gl0_inv
	s_and_saveexec_b32 s1, s0
	s_cbranch_execz .LBB9_44
; %bb.43:
	v_lshlrev_b32_e32 v0, 2, v33
	s_delay_alu instid0(VALU_DEP_1)
	v_add_nc_u32_e32 v0, 0x400, v0
	ds_store_2addr_b32 v0, v30, v31 offset1:32
.LBB9_44:
	s_or_b32 exec_lo, exec_lo, s1
	s_cmp_lt_i32 s15, s34
	s_waitcnt lgkmcnt(0)
	s_barrier
	buffer_gl0_inv
	s_cbranch_scc1 .LBB9_46
; %bb.45:
	s_add_u32 s4, s2, 0xd0
	s_addc_u32 s5, s3, 0
	s_cbranch_execz .LBB9_47
	s_branch .LBB9_59
.LBB9_46:
                                        ; implicit-def: $sgpr4_sgpr5
.LBB9_47:
	ds_load_b32 v0, v36 offset:1024
	v_xor_b32_e32 v1, 16, v39
	v_xor_b32_e32 v3, 8, v39
	;; [unrolled: 1-line block ×3, first 2 shown]
	v_lshlrev_b32_e32 v13, 3, v32
	s_delay_alu instid0(VALU_DEP_4) | instskip(SKIP_2) | instid1(VALU_DEP_2)
	v_cmp_gt_i32_e32 vcc_lo, 32, v1
	v_cndmask_b32_e32 v1, v39, v1, vcc_lo
	v_cmp_gt_i32_e32 vcc_lo, 32, v3
	v_dual_cndmask_b32 v3, v39, v3 :: v_dual_lshlrev_b32 v2, 2, v1
	v_cmp_gt_i32_e32 vcc_lo, 32, v4
	s_waitcnt lgkmcnt(0)
	ds_bpermute_b32 v1, v2, v0
	v_max_f32_e32 v0, v0, v0
	s_waitcnt lgkmcnt(0)
	v_dual_cndmask_b32 v4, v39, v4 :: v_dual_max_f32 v1, v1, v1
	s_delay_alu instid0(VALU_DEP_1) | instskip(NEXT) | instid1(VALU_DEP_2)
	v_dual_max_f32 v0, v0, v1 :: v_dual_lshlrev_b32 v3, 2, v3
	v_lshlrev_b32_e32 v5, 2, v4
	v_xor_b32_e32 v4, 2, v39
	ds_bpermute_b32 v1, v3, v0
	v_cmp_gt_i32_e32 vcc_lo, 32, v4
	v_cndmask_b32_e32 v4, v39, v4, vcc_lo
	s_delay_alu instid0(VALU_DEP_1) | instskip(SKIP_1) | instid1(VALU_DEP_1)
	v_lshlrev_b32_e32 v6, 2, v4
	v_xor_b32_e32 v4, 1, v39
	v_cmp_gt_i32_e32 vcc_lo, 32, v4
	s_waitcnt lgkmcnt(0)
	v_max_f32_e32 v1, v1, v1
	s_delay_alu instid0(VALU_DEP_1) | instskip(SKIP_3) | instid1(VALU_DEP_1)
	v_max_f32_e32 v0, v0, v1
	ds_bpermute_b32 v1, v5, v0
	s_waitcnt lgkmcnt(0)
	v_max_f32_e32 v1, v1, v1
	v_max_f32_e32 v0, v0, v1
	ds_bpermute_b32 v1, v6, v0
	s_waitcnt lgkmcnt(0)
	v_dual_cndmask_b32 v4, v39, v4 :: v_dual_max_f32 v1, v1, v1
	s_delay_alu instid0(VALU_DEP_1) | instskip(NEXT) | instid1(VALU_DEP_2)
	v_lshlrev_b32_e32 v4, 2, v4
	v_max_f32_e32 v0, v0, v1
	ds_bpermute_b32 v1, v4, v0
	s_waitcnt lgkmcnt(0)
	v_max_f32_e32 v1, v1, v1
	s_delay_alu instid0(VALU_DEP_1) | instskip(NEXT) | instid1(VALU_DEP_1)
	v_max_f32_e32 v0, v0, v1
	v_sub_f32_e32 v1, v30, v0
	s_delay_alu instid0(VALU_DEP_1) | instskip(SKIP_1) | instid1(VALU_DEP_2)
	v_mul_f32_e32 v7, 0x3fb8aa3b, v1
	v_cmp_ngt_f32_e32 vcc_lo, 0xc2ce8ed0, v1
	v_fma_f32 v8, 0x3fb8aa3b, v1, -v7
	v_rndne_f32_e32 v9, v7
	s_delay_alu instid0(VALU_DEP_1) | instskip(NEXT) | instid1(VALU_DEP_1)
	v_dual_fmamk_f32 v8, v1, 0x32a5705f, v8 :: v_dual_sub_f32 v7, v7, v9
	v_add_f32_e32 v7, v7, v8
	v_cvt_i32_f32_e32 v8, v9
	v_and_b32_e32 v9, 0x380, v13
	s_delay_alu instid0(VALU_DEP_3) | instskip(NEXT) | instid1(VALU_DEP_1)
	v_exp_f32_e32 v7, v7
	v_lshl_add_u32 v14, v33, 8, v9
	s_waitcnt_depctr 0xfff
	v_ldexp_f32 v7, v7, v8
	s_delay_alu instid0(VALU_DEP_1) | instskip(SKIP_1) | instid1(VALU_DEP_2)
	v_cndmask_b32_e32 v7, 0, v7, vcc_lo
	v_cmp_nlt_f32_e32 vcc_lo, 0x42b17218, v1
	v_cndmask_b32_e32 v1, 0x7f800000, v7, vcc_lo
	s_delay_alu instid0(VALU_DEP_1)
	v_mul_f32_e32 v7, v28, v1
	ds_bpermute_b32 v7, v2, v7
	s_waitcnt lgkmcnt(0)
	v_fmac_f32_e32 v7, v28, v1
	v_cvt_f16_f32_e32 v1, v1
	ds_bpermute_b32 v8, v3, v7
	s_waitcnt lgkmcnt(0)
	v_add_f32_e32 v7, v7, v8
	ds_bpermute_b32 v8, v5, v7
	s_waitcnt lgkmcnt(0)
	v_add_f32_e32 v7, v7, v8
	;; [unrolled: 3-line block ×3, first 2 shown]
	ds_load_b64 v[7:8], v37
	ds_bpermute_b32 v12, v4, v11
	s_waitcnt lgkmcnt(1)
	v_pk_mul_f16 v9, v1, v7 op_sel_hi:[0,1]
	v_pk_mul_f16 v10, v1, v8 op_sel_hi:[0,1]
	v_and_or_b32 v7, 0x78, v13, v14
	ds_store_b64 v37, v[9:10]
	ds_store_b64 v7, v[9:10]
	s_waitcnt lgkmcnt(2)
	v_add_f32_e32 v28, v11, v12
	s_and_saveexec_b32 s1, s0
	s_cbranch_execz .LBB9_49
; %bb.48:
	v_lshlrev_b32_e32 v1, 2, v33
	ds_store_b32 v1, v28 offset:1280
.LBB9_49:
	s_or_b32 exec_lo, exec_lo, s1
	v_cmp_gt_u32_e64 s1, 64, v34
	s_add_u32 s4, s2, 0xd0
	s_mul_i32 s2, s33, s34
	s_addc_u32 s5, s3, 0
	s_add_i32 s2, s2, s15
	s_waitcnt lgkmcnt(0)
	s_barrier
	buffer_gl0_inv
	s_and_saveexec_b32 s3, s1
	s_cbranch_execz .LBB9_51
; %bb.50:
	ds_load_b32 v1, v36 offset:1280
	ds_load_u16 v8, v35
	ds_load_u16 v9, v35 offset:128
	ds_load_u16 v10, v35 offset:256
	;; [unrolled: 1-line block ×6, first 2 shown]
	s_load_b32 s6, s[4:5], 0x4
	s_mul_i32 s7, s2, s35
	s_waitcnt lgkmcnt(0)
	ds_bpermute_b32 v15, v2, v1
	v_cvt_f32_f16_e32 v8, v8
	v_cvt_f32_f16_e32 v9, v9
	;; [unrolled: 1-line block ×4, first 2 shown]
	s_delay_alu instid0(VALU_DEP_4) | instskip(SKIP_1) | instid1(VALU_DEP_1)
	v_add_f32_e32 v8, 0, v8
	s_cmp_eq_u32 s6, 1
	v_add_f32_e32 v8, v8, v9
	ds_load_u16 v9, v35 offset:896
	v_add_f32_e32 v8, v8, v10
	v_cvt_f32_f16_e32 v10, v12
	v_cvt_f32_f16_e32 v12, v13
	s_waitcnt lgkmcnt(1)
	v_add_f32_e32 v1, v1, v15
	v_add_f32_e32 v8, v8, v11
	ds_bpermute_b32 v15, v3, v1
	v_add_f32_e32 v8, v8, v10
	v_cvt_f32_f16_e32 v10, v14
	s_delay_alu instid0(VALU_DEP_2) | instskip(SKIP_2) | instid1(VALU_DEP_2)
	v_add_f32_e32 v8, v8, v12
	s_waitcnt lgkmcnt(1)
	v_cvt_f32_f16_e32 v9, v9
	v_add_f32_e32 v8, v8, v10
	s_waitcnt lgkmcnt(0)
	s_delay_alu instid0(VALU_DEP_1)
	v_dual_add_f32 v10, v8, v9 :: v_dual_add_f32 v1, v1, v15
	ds_bpermute_b32 v15, v5, v1
	s_waitcnt lgkmcnt(0)
	v_add_f32_e32 v1, v1, v15
	ds_bpermute_b32 v15, v6, v1
	s_waitcnt lgkmcnt(0)
	v_add_f32_e32 v1, v1, v15
	;; [unrolled: 3-line block ×3, first 2 shown]
	s_delay_alu instid0(VALU_DEP_1) | instskip(SKIP_1) | instid1(VALU_DEP_2)
	v_div_scale_f32 v1, null, v28, v28, v10
	v_div_scale_f32 v11, vcc_lo, v10, v28, v10
	v_rcp_f32_e32 v8, v1
	s_waitcnt_depctr 0xfff
	v_fma_f32 v9, -v1, v8, 1.0
	s_delay_alu instid0(VALU_DEP_1) | instskip(NEXT) | instid1(VALU_DEP_1)
	v_fmac_f32_e32 v8, v9, v8
	v_mul_f32_e32 v9, v11, v8
	s_delay_alu instid0(VALU_DEP_1) | instskip(NEXT) | instid1(VALU_DEP_1)
	v_fma_f32 v12, -v1, v9, v11
	v_fmac_f32_e32 v9, v12, v8
	s_delay_alu instid0(VALU_DEP_1) | instskip(NEXT) | instid1(VALU_DEP_1)
	v_fma_f32 v1, -v1, v9, v11
	v_div_fmas_f32 v1, v1, v8, v9
	s_cselect_b32 vcc_lo, -1, 0
	s_add_i32 s7, s7, s12
	v_mov_b32_e32 v9, 0
	s_mul_i32 s6, s6, s7
	v_div_fixup_f32 v1, v1, v28, v10
	s_add_i32 s6, s6, s14
	s_delay_alu instid0(SALU_CYCLE_1) | instskip(NEXT) | instid1(VALU_DEP_2)
	v_lshl_or_b32 v8, s6, 6, v34
	v_cndmask_b32_e32 v1, v10, v1, vcc_lo
	s_delay_alu instid0(VALU_DEP_2) | instskip(NEXT) | instid1(VALU_DEP_1)
	v_lshlrev_b64 v[8:9], 2, v[8:9]
	v_add_co_u32 v8, vcc_lo, s28, v8
	s_delay_alu instid0(VALU_DEP_2)
	v_add_co_ci_u32_e32 v9, vcc_lo, s29, v9, vcc_lo
	global_store_b32 v[8:9], v1, off
.LBB9_51:
	s_or_b32 exec_lo, exec_lo, s3
	s_or_b32 s3, s15, 1
	s_waitcnt_vscnt null, 0x0
	s_cmp_ge_i32 s3, s34
	s_barrier
	buffer_gl0_inv
	s_cbranch_scc1 .LBB9_57
; %bb.52:
	v_or_b32_e32 v1, 0x400, v36
	ds_load_b32 v1, v1 offset:128
	s_waitcnt lgkmcnt(0)
	ds_bpermute_b32 v8, v2, v1
	s_waitcnt lgkmcnt(0)
	v_dual_max_f32 v1, v1, v1 :: v_dual_max_f32 v8, v8, v8
	s_delay_alu instid0(VALU_DEP_1) | instskip(SKIP_3) | instid1(VALU_DEP_1)
	v_max_f32_e32 v1, v1, v8
	ds_bpermute_b32 v8, v3, v1
	s_waitcnt lgkmcnt(0)
	v_max_f32_e32 v8, v8, v8
	v_max_f32_e32 v1, v1, v8
	ds_bpermute_b32 v8, v5, v1
	s_waitcnt lgkmcnt(0)
	v_max_f32_e32 v8, v8, v8
	s_delay_alu instid0(VALU_DEP_1) | instskip(SKIP_3) | instid1(VALU_DEP_1)
	v_max_f32_e32 v1, v1, v8
	ds_bpermute_b32 v8, v6, v1
	s_waitcnt lgkmcnt(0)
	v_max_f32_e32 v8, v8, v8
	v_max_f32_e32 v1, v1, v8
	ds_bpermute_b32 v8, v4, v1
	s_waitcnt lgkmcnt(0)
	v_max_f32_e32 v8, v8, v8
	s_delay_alu instid0(VALU_DEP_1) | instskip(NEXT) | instid1(VALU_DEP_1)
	v_max_f32_e32 v1, v1, v8
	v_sub_f32_e32 v8, v31, v1
	s_delay_alu instid0(VALU_DEP_1) | instskip(SKIP_1) | instid1(VALU_DEP_2)
	v_mul_f32_e32 v9, 0x3fb8aa3b, v8
	v_cmp_ngt_f32_e32 vcc_lo, 0xc2ce8ed0, v8
	v_fma_f32 v10, 0x3fb8aa3b, v8, -v9
	v_rndne_f32_e32 v11, v9
	s_delay_alu instid0(VALU_DEP_1) | instskip(NEXT) | instid1(VALU_DEP_1)
	v_dual_fmamk_f32 v10, v8, 0x32a5705f, v10 :: v_dual_sub_f32 v9, v9, v11
	v_add_f32_e32 v9, v9, v10
	v_cvt_i32_f32_e32 v10, v11
	s_delay_alu instid0(VALU_DEP_2) | instskip(SKIP_2) | instid1(VALU_DEP_1)
	v_exp_f32_e32 v9, v9
	s_waitcnt_depctr 0xfff
	v_ldexp_f32 v9, v9, v10
	v_cndmask_b32_e32 v9, 0, v9, vcc_lo
	v_cmp_nlt_f32_e32 vcc_lo, 0x42b17218, v8
	s_delay_alu instid0(VALU_DEP_2) | instskip(NEXT) | instid1(VALU_DEP_1)
	v_cndmask_b32_e32 v10, 0x7f800000, v9, vcc_lo
	v_mul_f32_e32 v8, v29, v10
	ds_bpermute_b32 v8, v2, v8
	s_waitcnt lgkmcnt(0)
	v_fmac_f32_e32 v8, v29, v10
	v_cvt_f16_f32_e32 v10, v10
	ds_bpermute_b32 v9, v3, v8
	s_waitcnt lgkmcnt(0)
	v_add_f32_e32 v8, v8, v9
	ds_bpermute_b32 v9, v5, v8
	s_waitcnt lgkmcnt(0)
	v_add_f32_e32 v8, v8, v9
	;; [unrolled: 3-line block ×3, first 2 shown]
	ds_load_b64 v[8:9], v37 offset:8
	ds_bpermute_b32 v12, v4, v11
	s_waitcnt lgkmcnt(1)
	v_pk_mul_f16 v8, v10, v8 op_sel_hi:[0,1]
	v_pk_mul_f16 v9, v10, v9 op_sel_hi:[0,1]
	ds_store_b64 v37, v[8:9] offset:8
	ds_store_b64 v7, v[8:9]
	s_waitcnt lgkmcnt(2)
	v_add_f32_e32 v29, v11, v12
	s_and_saveexec_b32 s3, s0
	s_cbranch_execz .LBB9_54
; %bb.53:
	v_lshlrev_b32_e32 v7, 2, v33
	ds_store_b32 v7, v29 offset:1408
.LBB9_54:
	s_or_b32 exec_lo, exec_lo, s3
	s_waitcnt lgkmcnt(0)
	s_barrier
	buffer_gl0_inv
	s_and_saveexec_b32 s0, s1
	s_cbranch_execz .LBB9_56
; %bb.55:
	ds_load_b32 v7, v36 offset:1408
	ds_load_u16 v8, v35
	ds_load_u16 v9, v35 offset:128
	ds_load_u16 v10, v35 offset:256
	;; [unrolled: 1-line block ×6, first 2 shown]
	s_load_b32 s1, s[4:5], 0x4
	s_add_i32 s2, s2, 1
	s_delay_alu instid0(SALU_CYCLE_1) | instskip(NEXT) | instid1(SALU_CYCLE_1)
	s_mul_i32 s2, s2, s35
	s_add_i32 s2, s2, s12
	s_waitcnt lgkmcnt(0)
	ds_bpermute_b32 v2, v2, v7
	s_cmp_eq_u32 s1, 1
	s_mul_i32 s1, s1, s2
	s_waitcnt lgkmcnt(0)
	v_add_f32_e32 v2, v7, v2
	v_cvt_f32_f16_e32 v7, v10
	ds_bpermute_b32 v3, v3, v2
	s_waitcnt lgkmcnt(0)
	v_add_f32_e32 v2, v2, v3
	ds_bpermute_b32 v3, v5, v2
	v_cvt_f32_f16_e32 v5, v8
	v_cvt_f32_f16_e32 v8, v11
	s_waitcnt lgkmcnt(0)
	s_delay_alu instid0(VALU_DEP_2) | instskip(SKIP_2) | instid1(VALU_DEP_1)
	v_dual_add_f32 v5, 0, v5 :: v_dual_add_f32 v2, v2, v3
	ds_bpermute_b32 v3, v6, v2
	v_cvt_f32_f16_e32 v6, v9
	v_add_f32_e32 v5, v5, v6
	ds_load_u16 v6, v35 offset:896
	v_add_f32_e32 v5, v5, v7
	v_cvt_f32_f16_e32 v7, v13
	s_waitcnt lgkmcnt(1)
	s_delay_alu instid0(VALU_DEP_2) | instskip(SKIP_1) | instid1(VALU_DEP_1)
	v_dual_add_f32 v5, v5, v8 :: v_dual_add_f32 v2, v2, v3
	v_cvt_f32_f16_e32 v3, v12
	v_add_f32_e32 v3, v5, v3
	v_cvt_f32_f16_e32 v5, v14
	s_waitcnt lgkmcnt(0)
	v_cvt_f32_f16_e32 v6, v6
	s_delay_alu instid0(VALU_DEP_3) | instskip(NEXT) | instid1(VALU_DEP_1)
	v_add_f32_e32 v3, v3, v7
	v_add_f32_e32 v3, v3, v5
	ds_bpermute_b32 v4, v4, v2
	v_add_f32_e32 v5, v3, v6
	s_waitcnt lgkmcnt(0)
	v_add_f32_e32 v29, v2, v4
	s_delay_alu instid0(VALU_DEP_1) | instskip(SKIP_1) | instid1(VALU_DEP_2)
	v_div_scale_f32 v2, null, v29, v29, v5
	v_div_scale_f32 v6, vcc_lo, v5, v29, v5
	v_rcp_f32_e32 v3, v2
	s_waitcnt_depctr 0xfff
	v_fma_f32 v4, -v2, v3, 1.0
	s_delay_alu instid0(VALU_DEP_1) | instskip(NEXT) | instid1(VALU_DEP_1)
	v_fmac_f32_e32 v3, v4, v3
	v_mul_f32_e32 v4, v6, v3
	s_delay_alu instid0(VALU_DEP_1) | instskip(NEXT) | instid1(VALU_DEP_1)
	v_fma_f32 v7, -v2, v4, v6
	v_fmac_f32_e32 v4, v7, v3
	s_delay_alu instid0(VALU_DEP_1) | instskip(NEXT) | instid1(VALU_DEP_1)
	v_fma_f32 v2, -v2, v4, v6
	v_div_fmas_f32 v2, v2, v3, v4
	s_cselect_b32 vcc_lo, -1, 0
	s_add_i32 s1, s1, s14
	v_mov_b32_e32 v3, 0
	s_delay_alu instid0(VALU_DEP_2) | instskip(SKIP_1) | instid1(VALU_DEP_2)
	v_div_fixup_f32 v4, v2, v29, v5
	v_lshl_or_b32 v2, s1, 6, v34
	v_cndmask_b32_e32 v4, v5, v4, vcc_lo
	s_delay_alu instid0(VALU_DEP_2) | instskip(NEXT) | instid1(VALU_DEP_1)
	v_lshlrev_b64 v[2:3], 2, v[2:3]
	v_add_co_u32 v2, vcc_lo, s28, v2
	s_delay_alu instid0(VALU_DEP_2)
	v_add_co_ci_u32_e32 v3, vcc_lo, s29, v3, vcc_lo
	global_store_b32 v[2:3], v4, off
.LBB9_56:
	s_or_b32 exec_lo, exec_lo, s0
	s_branch .LBB9_58
.LBB9_57:
	v_mov_b32_e32 v1, v31
.LBB9_58:
	s_delay_alu instid0(VALU_DEP_1)
	v_dual_mov_b32 v31, v1 :: v_dual_mov_b32 v30, v0
.LBB9_59:
	s_load_b32 s1, s[4:5], 0x4
	v_or_b32_e32 v0, s15, v32
	v_cmp_gt_u32_e32 vcc_lo, 2, v34
	s_delay_alu instid0(VALU_DEP_2) | instskip(SKIP_3) | instid1(SALU_CYCLE_1)
	v_cmp_gt_i32_e64 s0, s34, v0
	s_waitcnt lgkmcnt(0)
	s_cmp_lg_u32 s1, 1
	s_cselect_b32 s2, -1, 0
	s_and_b32 s2, vcc_lo, s2
	s_delay_alu instid0(SALU_CYCLE_1) | instskip(NEXT) | instid1(SALU_CYCLE_1)
	s_and_b32 s0, s2, s0
	s_and_saveexec_b32 s2, s0
	s_cbranch_execz .LBB9_61
; %bb.60:
	v_mad_u64_u32 v[1:2], null, s33, s34, v[0:1]
	v_cmp_eq_u32_e32 vcc_lo, 1, v34
	s_delay_alu instid0(VALU_DEP_2) | instskip(SKIP_1) | instid1(VALU_DEP_2)
	v_mad_u64_u32 v[2:3], null, v1, s35, s[12:13]
	v_cndmask_b32_e32 v3, v28, v29, vcc_lo
	v_mad_u64_u32 v[0:1], null, s1, v2, s[14:15]
	v_dual_mov_b32 v1, 0 :: v_dual_cndmask_b32 v2, v30, v31
	s_delay_alu instid0(VALU_DEP_1) | instskip(NEXT) | instid1(VALU_DEP_1)
	v_lshlrev_b64 v[0:1], 3, v[0:1]
	v_add_co_u32 v0, vcc_lo, s30, v0
	s_delay_alu instid0(VALU_DEP_2)
	v_add_co_ci_u32_e32 v1, vcc_lo, s31, v1, vcc_lo
	global_store_b64 v[0:1], v[2:3], off
.LBB9_61:
	s_nop 0
	s_sendmsg sendmsg(MSG_DEALLOC_VGPRS)
	s_endpgm
	.section	.rodata,"a",@progbits
	.p2align	6, 0x0
	.amdhsa_kernel _ZL18flash_attn_ext_vecILi64ELi2EL9ggml_type6ELS0_3ELb0EEvPKcS2_S2_S2_S2_PKiPfP15HIP_vector_typeIfLj2EEffffjfiS6_IjLj3EEiiiiiiiiiiiliiliiiiil
		.amdhsa_group_segment_fixed_size 3584
		.amdhsa_private_segment_fixed_size 0
		.amdhsa_kernarg_size 464
		.amdhsa_user_sgpr_count 13
		.amdhsa_user_sgpr_dispatch_ptr 1
		.amdhsa_user_sgpr_queue_ptr 0
		.amdhsa_user_sgpr_kernarg_segment_ptr 1
		.amdhsa_user_sgpr_dispatch_id 0
		.amdhsa_user_sgpr_private_segment_size 0
		.amdhsa_wavefront_size32 1
		.amdhsa_uses_dynamic_stack 0
		.amdhsa_enable_private_segment 0
		.amdhsa_system_sgpr_workgroup_id_x 1
		.amdhsa_system_sgpr_workgroup_id_y 1
		.amdhsa_system_sgpr_workgroup_id_z 1
		.amdhsa_system_sgpr_workgroup_info 0
		.amdhsa_system_vgpr_workitem_id 2
		.amdhsa_next_free_vgpr 162
		.amdhsa_next_free_sgpr 53
		.amdhsa_reserve_vcc 1
		.amdhsa_float_round_mode_32 0
		.amdhsa_float_round_mode_16_64 0
		.amdhsa_float_denorm_mode_32 3
		.amdhsa_float_denorm_mode_16_64 3
		.amdhsa_dx10_clamp 1
		.amdhsa_ieee_mode 1
		.amdhsa_fp16_overflow 0
		.amdhsa_workgroup_processor_mode 1
		.amdhsa_memory_ordered 1
		.amdhsa_forward_progress 0
		.amdhsa_shared_vgpr_count 0
		.amdhsa_exception_fp_ieee_invalid_op 0
		.amdhsa_exception_fp_denorm_src 0
		.amdhsa_exception_fp_ieee_div_zero 0
		.amdhsa_exception_fp_ieee_overflow 0
		.amdhsa_exception_fp_ieee_underflow 0
		.amdhsa_exception_fp_ieee_inexact 0
		.amdhsa_exception_int_div_zero 0
	.end_amdhsa_kernel
	.section	.text._ZL18flash_attn_ext_vecILi64ELi2EL9ggml_type6ELS0_3ELb0EEvPKcS2_S2_S2_S2_PKiPfP15HIP_vector_typeIfLj2EEffffjfiS6_IjLj3EEiiiiiiiiiiiliiliiiiil,"axG",@progbits,_ZL18flash_attn_ext_vecILi64ELi2EL9ggml_type6ELS0_3ELb0EEvPKcS2_S2_S2_S2_PKiPfP15HIP_vector_typeIfLj2EEffffjfiS6_IjLj3EEiiiiiiiiiiiliiliiiiil,comdat
.Lfunc_end9:
	.size	_ZL18flash_attn_ext_vecILi64ELi2EL9ggml_type6ELS0_3ELb0EEvPKcS2_S2_S2_S2_PKiPfP15HIP_vector_typeIfLj2EEffffjfiS6_IjLj3EEiiiiiiiiiiiliiliiiiil, .Lfunc_end9-_ZL18flash_attn_ext_vecILi64ELi2EL9ggml_type6ELS0_3ELb0EEvPKcS2_S2_S2_S2_PKiPfP15HIP_vector_typeIfLj2EEffffjfiS6_IjLj3EEiiiiiiiiiiiliiliiiiil
                                        ; -- End function
	.section	.AMDGPU.csdata,"",@progbits
; Kernel info:
; codeLenInByte = 16028
; NumSgprs: 55
; NumVgprs: 162
; ScratchSize: 0
; MemoryBound: 0
; FloatMode: 240
; IeeeMode: 1
; LDSByteSize: 3584 bytes/workgroup (compile time only)
; SGPRBlocks: 6
; VGPRBlocks: 20
; NumSGPRsForWavesPerEU: 55
; NumVGPRsForWavesPerEU: 162
; Occupancy: 9
; WaveLimiterHint : 0
; COMPUTE_PGM_RSRC2:SCRATCH_EN: 0
; COMPUTE_PGM_RSRC2:USER_SGPR: 13
; COMPUTE_PGM_RSRC2:TRAP_HANDLER: 0
; COMPUTE_PGM_RSRC2:TGID_X_EN: 1
; COMPUTE_PGM_RSRC2:TGID_Y_EN: 1
; COMPUTE_PGM_RSRC2:TGID_Z_EN: 1
; COMPUTE_PGM_RSRC2:TIDIG_COMP_CNT: 2
	.section	.text._ZL25flash_attn_mask_to_KV_maxILi2EEvPK7__half2Piiii,"axG",@progbits,_ZL25flash_attn_mask_to_KV_maxILi2EEvPK7__half2Piiii,comdat
	.globl	_ZL25flash_attn_mask_to_KV_maxILi2EEvPK7__half2Piiii ; -- Begin function _ZL25flash_attn_mask_to_KV_maxILi2EEvPK7__half2Piiii
	.p2align	8
	.type	_ZL25flash_attn_mask_to_KV_maxILi2EEvPK7__half2Piiii,@function
_ZL25flash_attn_mask_to_KV_maxILi2EEvPK7__half2Piiii: ; @_ZL25flash_attn_mask_to_KV_maxILi2EEvPK7__half2Piiii
; %bb.0:
	s_load_b128 s[4:7], s[0:1], 0x0
	s_mov_b32 s2, exec_lo
	v_cmpx_gt_u32_e32 32, v0
	s_cbranch_execz .LBB10_2
; %bb.1:
	v_dual_mov_b32 v2, 1 :: v_dual_lshlrev_b32 v1, 2, v0
	ds_store_b32 v1, v2
.LBB10_2:
	s_or_b32 exec_lo, exec_lo, s2
	s_clause 0x1
	s_load_b128 s[8:11], s[0:1], 0x10
	s_load_b32 s1, s[0:1], 0x20
	v_dual_mov_b32 v2, 0 :: v_dual_and_b32 v1, 31, v0
	v_lshrrev_b32_e32 v3, 3, v0
	s_waitcnt lgkmcnt(0)
	s_barrier
	s_delay_alu instid0(VALU_DEP_2) | instskip(SKIP_4) | instid1(SALU_CYCLE_1)
	v_lshlrev_b32_e32 v4, 2, v1
	buffer_gl0_inv
	s_mul_i32 s0, s14, s9
	s_mul_i32 s2, s15, s10
	s_lshl_b32 s0, s0, 1
	s_add_i32 s2, s2, s0
	v_cmp_eq_u32_e64 s0, 0, v1
	s_ashr_i32 s3, s2, 31
	s_delay_alu instid0(SALU_CYCLE_1) | instskip(NEXT) | instid1(SALU_CYCLE_1)
	s_lshl_b64 s[10:11], s[2:3], 2
	s_add_u32 s3, s4, s10
	s_addc_u32 s4, s5, s11
	s_lshl_b32 s5, s8, 8
	s_branch .LBB10_4
.LBB10_3:                               ;   in Loop: Header=BB10_4 Depth=1
	s_or_b32 exec_lo, exec_lo, s10
	s_waitcnt lgkmcnt(0)
	s_barrier
	buffer_gl0_inv
	ds_load_b32 v1, v4
	s_waitcnt lgkmcnt(0)
	s_barrier
	buffer_gl0_inv
	;;#ASMSTART
	;;#ASMEND
	v_cmp_ne_u32_e32 vcc_lo, 0, v1
	s_cmp_lg_u32 vcc_lo, exec_lo
	s_cselect_b32 s8, -1, 0
	s_delay_alu instid0(SALU_CYCLE_1)
	s_and_b32 vcc_lo, exec_lo, s8
	s_cbranch_vccnz .LBB10_12
.LBB10_4:                               ; =>This Inner Loop Header: Depth=1
	s_mov_b32 s2, s5
	s_addk_i32 s5, 0xff00
	s_delay_alu instid0(SALU_CYCLE_1)
	s_cmp_lt_i32 s5, 0
	s_cbranch_scc1 .LBB10_11
; %bb.5:                                ;   in Loop: Header=BB10_4 Depth=1
	s_lshr_b32 s8, s5, 1
	s_mov_b32 s10, 0
	v_add_nc_u32_e32 v1, s8, v0
	s_delay_alu instid0(VALU_DEP_1) | instskip(NEXT) | instid1(VALU_DEP_1)
	v_lshlrev_b64 v[5:6], 2, v[1:2]
	v_add_co_u32 v5, vcc_lo, s3, v5
	s_delay_alu instid0(VALU_DEP_2) | instskip(SKIP_4) | instid1(VALU_DEP_2)
	v_add_co_ci_u32_e32 v6, vcc_lo, s4, v6, vcc_lo
	global_load_b32 v5, v[5:6], off
	s_waitcnt vmcnt(0)
	v_lshrrev_b32_e32 v6, 16, v5
	v_cmp_class_f16_e64 s8, v5, 0x204
	v_and_b32_e32 v6, 0x7fff, v6
	s_delay_alu instid0(VALU_DEP_1) | instskip(NEXT) | instid1(VALU_DEP_3)
	v_cmp_eq_f16_e32 vcc_lo, 0x7c00, v6
	s_and_b32 s11, s8, vcc_lo
	s_delay_alu instid0(SALU_CYCLE_1)
	s_and_saveexec_b32 s8, s11
	s_cbranch_execz .LBB10_9
; %bb.6:                                ;   in Loop: Header=BB10_4 Depth=1
	v_add_nc_u32_e32 v5, s9, v1
	s_delay_alu instid0(VALU_DEP_1) | instskip(NEXT) | instid1(VALU_DEP_1)
	v_ashrrev_i32_e32 v6, 31, v5
	v_lshlrev_b64 v[5:6], 2, v[5:6]
	s_delay_alu instid0(VALU_DEP_1) | instskip(NEXT) | instid1(VALU_DEP_2)
	v_add_co_u32 v5, vcc_lo, s3, v5
	v_add_co_ci_u32_e32 v6, vcc_lo, s4, v6, vcc_lo
	global_load_b32 v1, v[5:6], off
	s_waitcnt vmcnt(0)
	v_cmp_class_f16_e64 s12, v1, 0x204
	s_delay_alu instid0(VALU_DEP_1)
	s_and_saveexec_b32 s11, s12
; %bb.7:                                ;   in Loop: Header=BB10_4 Depth=1
	v_lshrrev_b32_e32 v1, 16, v1
	s_delay_alu instid0(VALU_DEP_1) | instskip(NEXT) | instid1(VALU_DEP_1)
	v_cmp_class_f16_e64 s10, v1, 0x204
	s_and_b32 s10, s10, exec_lo
; %bb.8:                                ;   in Loop: Header=BB10_4 Depth=1
	s_or_b32 exec_lo, exec_lo, s11
	s_delay_alu instid0(SALU_CYCLE_1)
	s_and_b32 s10, s10, exec_lo
.LBB10_9:                               ;   in Loop: Header=BB10_4 Depth=1
	s_or_b32 exec_lo, exec_lo, s8
	v_cndmask_b32_e64 v1, 0, 1, s10
	;;#ASMSTART
	;;#ASMEND
	s_delay_alu instid0(VALU_DEP_1)
	v_cmp_ne_u32_e32 vcc_lo, 0, v1
	s_mov_b32 s8, exec_lo
	s_and_saveexec_b32 s10, s0
	s_cbranch_execz .LBB10_3
; %bb.10:                               ;   in Loop: Header=BB10_4 Depth=1
	s_cmp_eq_u32 vcc_lo, s8
	s_cselect_b32 s8, -1, 0
	s_delay_alu instid0(SALU_CYCLE_1)
	v_cndmask_b32_e64 v1, 0, 1, s8
	ds_store_b32 v3, v1
	s_branch .LBB10_3
.LBB10_11:                              ;   in Loop: Header=BB10_4 Depth=1
                                        ; implicit-def: $sgpr5
	s_cbranch_execz .LBB10_4
.LBB10_12:
	s_mov_b32 s0, exec_lo
	v_cmpx_eq_u32_e32 0, v0
	s_cbranch_execz .LBB10_14
; %bb.13:
	s_mul_i32 s0, s1, s15
	v_dual_mov_b32 v0, 0 :: v_dual_mov_b32 v1, s2
	s_add_i32 s0, s0, s14
	s_delay_alu instid0(SALU_CYCLE_1) | instskip(NEXT) | instid1(SALU_CYCLE_1)
	s_ashr_i32 s1, s0, 31
	s_lshl_b64 s[0:1], s[0:1], 2
	s_delay_alu instid0(SALU_CYCLE_1)
	s_add_u32 s0, s6, s0
	s_addc_u32 s1, s7, s1
	global_store_b32 v0, v1, s[0:1]
.LBB10_14:
	s_nop 0
	s_sendmsg sendmsg(MSG_DEALLOC_VGPRS)
	s_endpgm
	.section	.rodata,"a",@progbits
	.p2align	6, 0x0
	.amdhsa_kernel _ZL25flash_attn_mask_to_KV_maxILi2EEvPK7__half2Piiii
		.amdhsa_group_segment_fixed_size 128
		.amdhsa_private_segment_fixed_size 0
		.amdhsa_kernarg_size 288
		.amdhsa_user_sgpr_count 14
		.amdhsa_user_sgpr_dispatch_ptr 0
		.amdhsa_user_sgpr_queue_ptr 0
		.amdhsa_user_sgpr_kernarg_segment_ptr 1
		.amdhsa_user_sgpr_dispatch_id 0
		.amdhsa_user_sgpr_private_segment_size 0
		.amdhsa_wavefront_size32 1
		.amdhsa_uses_dynamic_stack 0
		.amdhsa_enable_private_segment 0
		.amdhsa_system_sgpr_workgroup_id_x 1
		.amdhsa_system_sgpr_workgroup_id_y 1
		.amdhsa_system_sgpr_workgroup_id_z 0
		.amdhsa_system_sgpr_workgroup_info 0
		.amdhsa_system_vgpr_workitem_id 0
		.amdhsa_next_free_vgpr 7
		.amdhsa_next_free_sgpr 16
		.amdhsa_reserve_vcc 1
		.amdhsa_float_round_mode_32 0
		.amdhsa_float_round_mode_16_64 0
		.amdhsa_float_denorm_mode_32 3
		.amdhsa_float_denorm_mode_16_64 3
		.amdhsa_dx10_clamp 1
		.amdhsa_ieee_mode 1
		.amdhsa_fp16_overflow 0
		.amdhsa_workgroup_processor_mode 1
		.amdhsa_memory_ordered 1
		.amdhsa_forward_progress 0
		.amdhsa_shared_vgpr_count 0
		.amdhsa_exception_fp_ieee_invalid_op 0
		.amdhsa_exception_fp_denorm_src 0
		.amdhsa_exception_fp_ieee_div_zero 0
		.amdhsa_exception_fp_ieee_overflow 0
		.amdhsa_exception_fp_ieee_underflow 0
		.amdhsa_exception_fp_ieee_inexact 0
		.amdhsa_exception_int_div_zero 0
	.end_amdhsa_kernel
	.section	.text._ZL25flash_attn_mask_to_KV_maxILi2EEvPK7__half2Piiii,"axG",@progbits,_ZL25flash_attn_mask_to_KV_maxILi2EEvPK7__half2Piiii,comdat
.Lfunc_end10:
	.size	_ZL25flash_attn_mask_to_KV_maxILi2EEvPK7__half2Piiii, .Lfunc_end10-_ZL25flash_attn_mask_to_KV_maxILi2EEvPK7__half2Piiii
                                        ; -- End function
	.section	.AMDGPU.csdata,"",@progbits
; Kernel info:
; codeLenInByte = 584
; NumSgprs: 18
; NumVgprs: 7
; ScratchSize: 0
; MemoryBound: 0
; FloatMode: 240
; IeeeMode: 1
; LDSByteSize: 128 bytes/workgroup (compile time only)
; SGPRBlocks: 2
; VGPRBlocks: 0
; NumSGPRsForWavesPerEU: 18
; NumVGPRsForWavesPerEU: 7
; Occupancy: 16
; WaveLimiterHint : 0
; COMPUTE_PGM_RSRC2:SCRATCH_EN: 0
; COMPUTE_PGM_RSRC2:USER_SGPR: 14
; COMPUTE_PGM_RSRC2:TRAP_HANDLER: 0
; COMPUTE_PGM_RSRC2:TGID_X_EN: 1
; COMPUTE_PGM_RSRC2:TGID_Y_EN: 1
; COMPUTE_PGM_RSRC2:TGID_Z_EN: 0
; COMPUTE_PGM_RSRC2:TIDIG_COMP_CNT: 0
	.section	.text._ZL33flash_attn_stream_k_fixup_uniformILi64ELi2ELi1EEvPfPK15HIP_vector_typeIfLj2EEiiiiiiS1_IjLj3EES5_S5_,"axG",@progbits,_ZL33flash_attn_stream_k_fixup_uniformILi64ELi2ELi1EEvPfPK15HIP_vector_typeIfLj2EEiiiiiiS1_IjLj3EES5_S5_,comdat
	.globl	_ZL33flash_attn_stream_k_fixup_uniformILi64ELi2ELi1EEvPfPK15HIP_vector_typeIfLj2EEiiiiiiS1_IjLj3EES5_S5_ ; -- Begin function _ZL33flash_attn_stream_k_fixup_uniformILi64ELi2ELi1EEvPfPK15HIP_vector_typeIfLj2EEiiiiiiS1_IjLj3EES5_S5_
	.p2align	8
	.type	_ZL33flash_attn_stream_k_fixup_uniformILi64ELi2ELi1EEvPfPK15HIP_vector_typeIfLj2EEiiiiiiS1_IjLj3EES5_S5_,@function
_ZL33flash_attn_stream_k_fixup_uniformILi64ELi2ELi1EEvPfPK15HIP_vector_typeIfLj2EEiiiiiiS1_IjLj3EES5_S5_: ; @_ZL33flash_attn_stream_k_fixup_uniformILi64ELi2ELi1EEvPfPK15HIP_vector_typeIfLj2EEiiiiiiS1_IjLj3EES5_S5_
; %bb.0:
	s_clause 0x1
	s_load_b256 s[4:11], s[0:1], 0x1c
	s_load_b128 s[16:19], s[0:1], 0x3c
	s_waitcnt lgkmcnt(0)
	s_mul_hi_u32 s2, s7, s13
	s_delay_alu instid0(SALU_CYCLE_1) | instskip(NEXT) | instid1(SALU_CYCLE_1)
	s_add_i32 s2, s13, s2
	s_lshr_b32 s2, s2, s8
	s_delay_alu instid0(SALU_CYCLE_1) | instskip(SKIP_2) | instid1(SALU_CYCLE_1)
	s_mul_i32 s3, s2, s9
	s_load_b64 s[8:9], s[0:1], 0x10
	s_sub_i32 s7, s13, s3
	s_mul_hi_u32 s3, s7, s10
	s_delay_alu instid0(SALU_CYCLE_1) | instskip(NEXT) | instid1(SALU_CYCLE_1)
	s_add_i32 s3, s7, s3
	s_lshr_b32 s3, s3, s11
	s_delay_alu instid0(SALU_CYCLE_1) | instskip(NEXT) | instid1(SALU_CYCLE_1)
	s_mul_i32 s10, s3, s16
	s_sub_i32 s10, s7, s10
	s_delay_alu instid0(SALU_CYCLE_1) | instskip(NEXT) | instid1(SALU_CYCLE_1)
	s_mul_hi_u32 s7, s10, s17
	s_add_i32 s7, s10, s7
	s_delay_alu instid0(SALU_CYCLE_1) | instskip(NEXT) | instid1(SALU_CYCLE_1)
	s_lshr_b32 s7, s7, s18
	s_mul_i32 s11, s7, s19
	s_delay_alu instid0(SALU_CYCLE_1) | instskip(NEXT) | instid1(SALU_CYCLE_1)
	s_sub_i32 s10, s10, s11
	s_lshl_b32 s11, s10, 1
	s_delay_alu instid0(SALU_CYCLE_1) | instskip(SKIP_4) | instid1(SALU_CYCLE_1)
	s_add_i32 s11, s11, s14
	s_waitcnt lgkmcnt(0)
	s_cmp_lt_i32 s11, s8
	s_cselect_b32 s11, -1, 0
	s_add_i32 s12, s7, s15
	s_cmp_lt_i32 s12, s5
	s_cselect_b32 s12, -1, 0
	s_delay_alu instid0(SALU_CYCLE_1) | instskip(NEXT) | instid1(SALU_CYCLE_1)
	s_and_b32 s11, s11, s12
	s_and_not1_b32 vcc_lo, exec_lo, s11
	s_cbranch_vccnz .LBB11_6
; %bb.1:
	s_mul_i32 s2, s2, s8
	s_mul_i32 s5, s3, s5
	s_add_i32 s2, s2, s14
	s_delay_alu instid0(SALU_CYCLE_1) | instskip(NEXT) | instid1(SALU_CYCLE_1)
	s_mul_i32 s2, s2, s9
	s_add_i32 s8, s2, s15
	s_load_b128 s[0:3], s[0:1], 0x0
	s_add_i32 s5, s8, s5
	s_mul_i32 s8, s9, s10
	s_add_i32 s5, s5, s7
	s_lshl_b32 s7, s8, 7
	s_lshl_b32 s5, s5, 6
	s_add_i32 s10, s14, s15
	s_add_i32 s7, s7, s5
	s_mul_i32 s5, s13, s6
	v_or_b32_e32 v1, s7, v0
	s_add_i32 s9, s5, s6
	s_delay_alu instid0(VALU_DEP_1) | instskip(NEXT) | instid1(VALU_DEP_1)
	v_ashrrev_i32_e32 v2, 31, v1
	v_lshlrev_b64 v[1:2], 2, v[1:2]
	s_waitcnt lgkmcnt(0)
	s_delay_alu instid0(VALU_DEP_1) | instskip(NEXT) | instid1(VALU_DEP_2)
	v_add_co_u32 v1, vcc_lo, s0, v1
	v_add_co_ci_u32_e32 v2, vcc_lo, s1, v2, vcc_lo
	s_lshl_b32 s0, s9, 1
	s_delay_alu instid0(SALU_CYCLE_1) | instskip(SKIP_2) | instid1(SALU_CYCLE_1)
	s_add_i32 s0, s10, s0
	global_load_b32 v5, v[1:2], off
	s_add_i32 s0, s0, -2
	s_ashr_i32 s1, s0, 31
	s_delay_alu instid0(SALU_CYCLE_1) | instskip(NEXT) | instid1(SALU_CYCLE_1)
	s_lshl_b64 s[0:1], s[0:1], 3
	s_add_u32 s0, s2, s0
	s_addc_u32 s1, s3, s1
	s_add_i32 s7, s9, -2
	s_load_b32 s11, s[0:1], 0x4
	s_cmp_lt_i32 s7, s5
	s_cbranch_scc1 .LBB11_4
; %bb.2:
	s_lshl_b32 s14, s4, 3
	s_load_b32 s12, s[0:1], 0x0
	s_ashr_i32 s15, s14, 31
	s_delay_alu instid0(SALU_CYCLE_1) | instskip(NEXT) | instid1(SALU_CYCLE_1)
	s_lshl_b64 s[0:1], s[14:15], 2
	s_add_u32 s7, s2, s0
	s_addc_u32 s8, s3, s1
	s_add_i32 s13, s13, 1
	s_lshl_b32 s1, s10, 6
	s_mul_i32 s0, s6, s13
	s_delay_alu instid0(SALU_CYCLE_1)
	s_lshl_b32 s6, s0, 7
	s_lshl_b32 s0, s0, 1
	s_add_i32 s1, s1, s6
	s_add_i32 s0, s10, s0
	v_or_b32_e32 v0, s1, v0
	s_lshl_b32 s1, s4, 1
	s_waitcnt lgkmcnt(0)
	v_mov_b32_e32 v6, s11
	s_add_i32 s0, s0, s1
	s_add_i32 s4, s9, -1
	v_dual_mov_b32 v0, s12 :: v_dual_add_nc_u32 v3, 0xffffff00, v0
	s_add_i32 s0, s0, -4
.LBB11_3:                               ; =>This Inner Loop Header: Depth=1
	s_delay_alu instid0(VALU_DEP_1) | instskip(SKIP_1) | instid1(SALU_CYCLE_1)
	v_ashrrev_i32_e32 v4, 31, v3
	s_ashr_i32 s1, s0, 31
	s_lshl_b64 s[10:11], s[0:1], 3
	s_delay_alu instid0(SALU_CYCLE_1) | instskip(NEXT) | instid1(VALU_DEP_1)
	s_add_u32 s10, s2, s10
	v_lshlrev_b64 v[7:8], 2, v[3:4]
	s_addc_u32 s11, s3, s11
	s_add_i32 s4, s4, -1
	s_add_i32 s0, s0, -2
	s_cmp_le_i32 s4, s5
	s_load_b64 s[10:11], s[10:11], 0x0
	v_add_co_u32 v7, vcc_lo, s7, v7
	v_add_co_ci_u32_e32 v8, vcc_lo, s8, v8, vcc_lo
	global_load_b32 v4, v[7:8], off
	v_max_f32_e32 v7, v0, v0
	s_waitcnt lgkmcnt(0)
	v_max_f32_e64 v8, s10, s10
	s_delay_alu instid0(VALU_DEP_1) | instskip(NEXT) | instid1(VALU_DEP_1)
	v_max_f32_e32 v7, v7, v8
	v_sub_f32_e32 v8, s10, v7
	s_delay_alu instid0(VALU_DEP_1) | instskip(NEXT) | instid1(VALU_DEP_1)
	v_dual_sub_f32 v0, v0, v7 :: v_dual_mul_f32 v9, 0x3fb8aa3b, v8
	v_fma_f32 v10, 0x3fb8aa3b, v8, -v9
	v_rndne_f32_e32 v11, v9
	s_delay_alu instid0(VALU_DEP_3) | instskip(NEXT) | instid1(VALU_DEP_2)
	v_mul_f32_e32 v12, 0x3fb8aa3b, v0
	v_dual_fmac_f32 v10, 0x32a5705f, v8 :: v_dual_sub_f32 v9, v9, v11
	v_cvt_i32_f32_e32 v11, v11
	s_delay_alu instid0(VALU_DEP_3) | instskip(SKIP_1) | instid1(VALU_DEP_4)
	v_fma_f32 v13, 0x3fb8aa3b, v0, -v12
	v_rndne_f32_e32 v14, v12
	v_add_f32_e32 v9, v9, v10
	v_cmp_ngt_f32_e32 vcc_lo, 0xc2ce8ed0, v8
	s_delay_alu instid0(VALU_DEP_3) | instskip(NEXT) | instid1(VALU_DEP_3)
	v_sub_f32_e32 v10, v12, v14
	v_exp_f32_e32 v9, v9
	s_waitcnt_depctr 0xfff
	v_ldexp_f32 v9, v9, v11
	v_cvt_i32_f32_e32 v11, v14
	s_delay_alu instid0(VALU_DEP_2) | instskip(SKIP_1) | instid1(VALU_DEP_2)
	v_cndmask_b32_e32 v9, 0, v9, vcc_lo
	v_cmp_nlt_f32_e32 vcc_lo, 0x42b17218, v8
	v_cndmask_b32_e32 v9, 0x7f800000, v9, vcc_lo
	v_cmp_ngt_f32_e32 vcc_lo, 0xc2ce8ed0, v0
	v_fmac_f32_e32 v13, 0x32a5705f, v0
	s_delay_alu instid0(VALU_DEP_1) | instskip(NEXT) | instid1(VALU_DEP_1)
	v_add_f32_e32 v10, v10, v13
	v_exp_f32_e32 v10, v10
	s_waitcnt_depctr 0xfff
	v_ldexp_f32 v10, v10, v11
	s_delay_alu instid0(VALU_DEP_1)
	v_dual_mov_b32 v11, v6 :: v_dual_cndmask_b32 v10, 0, v10
	v_cmp_le_f32_e32 vcc_lo, 0xc1a00000, v8
	s_waitcnt vmcnt(1)
	v_dual_cndmask_b32 v8, 0, v9 :: v_dual_mov_b32 v9, v5
	v_cmp_nlt_f32_e32 vcc_lo, 0x42b17218, v0
	v_cndmask_b32_e32 v5, 0x7f800000, v10, vcc_lo
	s_delay_alu instid0(VALU_DEP_3) | instskip(SKIP_2) | instid1(VALU_DEP_3)
	v_mul_f32_e32 v10, s11, v8
	v_cmp_le_f32_e32 vcc_lo, 0xc1a00000, v0
	v_mov_b32_e32 v0, v7
	v_mov_b32_e32 v6, v10
	s_waitcnt vmcnt(0)
	v_dual_cndmask_b32 v12, 0, v5 :: v_dual_mul_f32 v5, v4, v8
	s_delay_alu instid0(VALU_DEP_1) | instskip(NEXT) | instid1(VALU_DEP_2)
	v_dual_fmac_f32 v6, v11, v12 :: v_dual_add_nc_u32 v3, 0xffffff80, v3
	v_fmac_f32_e32 v5, v9, v12
	s_cbranch_scc0 .LBB11_3
	s_branch .LBB11_5
.LBB11_4:
	s_waitcnt lgkmcnt(0)
	v_mov_b32_e32 v6, s11
.LBB11_5:
	s_waitcnt vmcnt(0)
	s_delay_alu instid0(VALU_DEP_1) | instskip(NEXT) | instid1(VALU_DEP_1)
	v_div_scale_f32 v0, null, v6, v6, v5
	v_rcp_f32_e32 v3, v0
	s_waitcnt_depctr 0xfff
	v_fma_f32 v4, -v0, v3, 1.0
	s_delay_alu instid0(VALU_DEP_1) | instskip(SKIP_1) | instid1(VALU_DEP_1)
	v_fmac_f32_e32 v3, v4, v3
	v_div_scale_f32 v4, vcc_lo, v5, v6, v5
	v_mul_f32_e32 v7, v4, v3
	s_delay_alu instid0(VALU_DEP_1) | instskip(NEXT) | instid1(VALU_DEP_1)
	v_fma_f32 v8, -v0, v7, v4
	v_fmac_f32_e32 v7, v8, v3
	s_delay_alu instid0(VALU_DEP_1) | instskip(NEXT) | instid1(VALU_DEP_1)
	v_fma_f32 v0, -v0, v7, v4
	v_div_fmas_f32 v0, v0, v3, v7
	s_delay_alu instid0(VALU_DEP_1)
	v_div_fixup_f32 v0, v0, v6, v5
	global_store_b32 v[1:2], v0, off
.LBB11_6:
	s_nop 0
	s_sendmsg sendmsg(MSG_DEALLOC_VGPRS)
	s_endpgm
	.section	.rodata,"a",@progbits
	.p2align	6, 0x0
	.amdhsa_kernel _ZL33flash_attn_stream_k_fixup_uniformILi64ELi2ELi1EEvPfPK15HIP_vector_typeIfLj2EEiiiiiiS1_IjLj3EES5_S5_
		.amdhsa_group_segment_fixed_size 0
		.amdhsa_private_segment_fixed_size 0
		.amdhsa_kernarg_size 76
		.amdhsa_user_sgpr_count 13
		.amdhsa_user_sgpr_dispatch_ptr 0
		.amdhsa_user_sgpr_queue_ptr 0
		.amdhsa_user_sgpr_kernarg_segment_ptr 1
		.amdhsa_user_sgpr_dispatch_id 0
		.amdhsa_user_sgpr_private_segment_size 0
		.amdhsa_wavefront_size32 1
		.amdhsa_uses_dynamic_stack 0
		.amdhsa_enable_private_segment 0
		.amdhsa_system_sgpr_workgroup_id_x 1
		.amdhsa_system_sgpr_workgroup_id_y 1
		.amdhsa_system_sgpr_workgroup_id_z 1
		.amdhsa_system_sgpr_workgroup_info 0
		.amdhsa_system_vgpr_workitem_id 0
		.amdhsa_next_free_vgpr 15
		.amdhsa_next_free_sgpr 20
		.amdhsa_reserve_vcc 1
		.amdhsa_float_round_mode_32 0
		.amdhsa_float_round_mode_16_64 0
		.amdhsa_float_denorm_mode_32 3
		.amdhsa_float_denorm_mode_16_64 3
		.amdhsa_dx10_clamp 1
		.amdhsa_ieee_mode 1
		.amdhsa_fp16_overflow 0
		.amdhsa_workgroup_processor_mode 1
		.amdhsa_memory_ordered 1
		.amdhsa_forward_progress 0
		.amdhsa_shared_vgpr_count 0
		.amdhsa_exception_fp_ieee_invalid_op 0
		.amdhsa_exception_fp_denorm_src 0
		.amdhsa_exception_fp_ieee_div_zero 0
		.amdhsa_exception_fp_ieee_overflow 0
		.amdhsa_exception_fp_ieee_underflow 0
		.amdhsa_exception_fp_ieee_inexact 0
		.amdhsa_exception_int_div_zero 0
	.end_amdhsa_kernel
	.section	.text._ZL33flash_attn_stream_k_fixup_uniformILi64ELi2ELi1EEvPfPK15HIP_vector_typeIfLj2EEiiiiiiS1_IjLj3EES5_S5_,"axG",@progbits,_ZL33flash_attn_stream_k_fixup_uniformILi64ELi2ELi1EEvPfPK15HIP_vector_typeIfLj2EEiiiiiiS1_IjLj3EES5_S5_,comdat
.Lfunc_end11:
	.size	_ZL33flash_attn_stream_k_fixup_uniformILi64ELi2ELi1EEvPfPK15HIP_vector_typeIfLj2EEiiiiiiS1_IjLj3EES5_S5_, .Lfunc_end11-_ZL33flash_attn_stream_k_fixup_uniformILi64ELi2ELi1EEvPfPK15HIP_vector_typeIfLj2EEiiiiiiS1_IjLj3EES5_S5_
                                        ; -- End function
	.section	.AMDGPU.csdata,"",@progbits
; Kernel info:
; codeLenInByte = 976
; NumSgprs: 22
; NumVgprs: 15
; ScratchSize: 0
; MemoryBound: 0
; FloatMode: 240
; IeeeMode: 1
; LDSByteSize: 0 bytes/workgroup (compile time only)
; SGPRBlocks: 2
; VGPRBlocks: 1
; NumSGPRsForWavesPerEU: 22
; NumVGPRsForWavesPerEU: 15
; Occupancy: 16
; WaveLimiterHint : 0
; COMPUTE_PGM_RSRC2:SCRATCH_EN: 0
; COMPUTE_PGM_RSRC2:USER_SGPR: 13
; COMPUTE_PGM_RSRC2:TRAP_HANDLER: 0
; COMPUTE_PGM_RSRC2:TGID_X_EN: 1
; COMPUTE_PGM_RSRC2:TGID_Y_EN: 1
; COMPUTE_PGM_RSRC2:TGID_Z_EN: 1
; COMPUTE_PGM_RSRC2:TIDIG_COMP_CNT: 0
	.section	.text._ZL33flash_attn_stream_k_fixup_generalILi64ELi2ELi1EEvPfPK15HIP_vector_typeIfLj2EEiiiiS1_IjLj3EES5_S5_S5_,"axG",@progbits,_ZL33flash_attn_stream_k_fixup_generalILi64ELi2ELi1EEvPfPK15HIP_vector_typeIfLj2EEiiiiS1_IjLj3EES5_S5_S5_,comdat
	.globl	_ZL33flash_attn_stream_k_fixup_generalILi64ELi2ELi1EEvPfPK15HIP_vector_typeIfLj2EEiiiiS1_IjLj3EES5_S5_S5_ ; -- Begin function _ZL33flash_attn_stream_k_fixup_generalILi64ELi2ELi1EEvPfPK15HIP_vector_typeIfLj2EEiiiiS1_IjLj3EES5_S5_S5_
	.p2align	8
	.type	_ZL33flash_attn_stream_k_fixup_generalILi64ELi2ELi1EEvPfPK15HIP_vector_typeIfLj2EEiiiiS1_IjLj3EES5_S5_S5_,@function
_ZL33flash_attn_stream_k_fixup_generalILi64ELi2ELi1EEvPfPK15HIP_vector_typeIfLj2EEiiiiS1_IjLj3EES5_S5_S5_: ; @_ZL33flash_attn_stream_k_fixup_generalILi64ELi2ELi1EEvPfPK15HIP_vector_typeIfLj2EEiiiiS1_IjLj3EES5_S5_S5_
; %bb.0:
	s_clause 0x1
	s_load_b128 s[4:7], s[0:1], 0x10
	s_load_b32 s20, s[0:1], 0x50
	s_mov_b32 s2, 0
	s_waitcnt lgkmcnt(0)
	s_mul_hi_i32 s3, s7, s13
	s_mul_i32 s12, s7, s13
	s_cmp_lg_u64 s[2:3], 0
	s_cbranch_scc0 .LBB12_21
; %bb.1:
	v_cvt_f32_ubyte0_e32 v1, 0
	v_cvt_f32_u32_e32 v2, s20
	s_sub_u32 s10, 0, s20
	s_subb_u32 s11, 0, 0
	s_delay_alu instid0(VALU_DEP_1) | instskip(NEXT) | instid1(VALU_DEP_1)
	v_fmamk_f32 v1, v1, 0x4f800000, v2
	v_rcp_f32_e32 v1, v1
	s_waitcnt_depctr 0xfff
	v_mul_f32_e32 v1, 0x5f7ffffc, v1
	s_delay_alu instid0(VALU_DEP_1) | instskip(NEXT) | instid1(VALU_DEP_1)
	v_mul_f32_e32 v2, 0x2f800000, v1
	v_trunc_f32_e32 v2, v2
	s_delay_alu instid0(VALU_DEP_1) | instskip(SKIP_1) | instid1(VALU_DEP_2)
	v_fmamk_f32 v1, v2, 0xcf800000, v1
	v_cvt_u32_f32_e32 v2, v2
	v_cvt_u32_f32_e32 v1, v1
	s_delay_alu instid0(VALU_DEP_2) | instskip(NEXT) | instid1(VALU_DEP_2)
	v_readfirstlane_b32 s8, v2
	v_readfirstlane_b32 s9, v1
	s_delay_alu instid0(VALU_DEP_2) | instskip(NEXT) | instid1(VALU_DEP_1)
	s_mul_i32 s16, s10, s8
	s_mul_hi_u32 s18, s10, s9
	s_mul_i32 s17, s11, s9
	s_add_i32 s16, s18, s16
	s_mul_i32 s19, s10, s9
	s_add_i32 s16, s16, s17
	s_mul_hi_u32 s18, s9, s19
	s_mul_hi_u32 s21, s8, s19
	s_mul_i32 s17, s8, s19
	s_mul_hi_u32 s19, s9, s16
	s_mul_i32 s9, s9, s16
	s_mul_hi_u32 s22, s8, s16
	s_add_u32 s9, s18, s9
	s_addc_u32 s18, 0, s19
	s_add_u32 s9, s9, s17
	s_mul_i32 s16, s8, s16
	s_addc_u32 s9, s18, s21
	s_addc_u32 s17, s22, 0
	s_add_u32 s9, s9, s16
	s_addc_u32 s16, 0, s17
	v_add_co_u32 v1, s9, v1, s9
	s_delay_alu instid0(VALU_DEP_1) | instskip(SKIP_1) | instid1(VALU_DEP_1)
	s_cmp_lg_u32 s9, 0
	s_addc_u32 s8, s8, s16
	v_readfirstlane_b32 s9, v1
	s_mul_i32 s16, s10, s8
	s_delay_alu instid0(VALU_DEP_1)
	s_mul_hi_u32 s17, s10, s9
	s_mul_i32 s11, s11, s9
	s_add_i32 s16, s17, s16
	s_mul_i32 s10, s10, s9
	s_add_i32 s16, s16, s11
	s_mul_hi_u32 s17, s8, s10
	s_mul_i32 s18, s8, s10
	s_mul_hi_u32 s10, s9, s10
	s_mul_hi_u32 s19, s9, s16
	s_mul_i32 s9, s9, s16
	s_mul_hi_u32 s11, s8, s16
	s_add_u32 s9, s10, s9
	s_addc_u32 s10, 0, s19
	s_add_u32 s9, s9, s18
	s_mul_i32 s16, s8, s16
	s_addc_u32 s9, s10, s17
	s_addc_u32 s10, s11, 0
	s_add_u32 s9, s9, s16
	s_addc_u32 s10, 0, s10
	v_add_co_u32 v1, s9, v1, s9
	s_delay_alu instid0(VALU_DEP_1) | instskip(SKIP_2) | instid1(SALU_CYCLE_1)
	s_cmp_lg_u32 s9, 0
	s_addc_u32 s16, s8, s10
	s_ashr_i32 s8, s3, 31
	s_add_u32 s10, s12, s8
	s_addc_u32 s11, s3, s8
	v_readfirstlane_b32 s3, v1
	s_mov_b32 s9, s8
	s_delay_alu instid0(SALU_CYCLE_1) | instskip(NEXT) | instid1(SALU_CYCLE_1)
	s_xor_b64 s[10:11], s[10:11], s[8:9]
	s_mul_i32 s18, s10, s16
	s_delay_alu instid0(VALU_DEP_1)
	s_mul_hi_u32 s19, s10, s3
	s_mul_hi_u32 s17, s10, s16
	;; [unrolled: 1-line block ×3, first 2 shown]
	s_mul_i32 s3, s11, s3
	s_add_u32 s18, s19, s18
	s_addc_u32 s17, 0, s17
	s_mul_hi_u32 s21, s11, s16
	s_add_u32 s3, s18, s3
	s_mul_i32 s16, s11, s16
	s_addc_u32 s3, s17, s22
	s_addc_u32 s17, s21, 0
	s_add_u32 s3, s3, s16
	s_addc_u32 s16, 0, s17
	s_mul_i32 s18, s20, s3
	s_add_u32 s17, s3, 1
	v_sub_co_u32 v1, s10, s10, s18
	s_mul_hi_u32 s18, s20, s3
	s_addc_u32 s19, s16, 0
	s_mul_i32 s21, s20, s16
	s_delay_alu instid0(VALU_DEP_1)
	v_sub_co_u32 v2, s22, v1, s20
	s_add_u32 s23, s3, 2
	s_addc_u32 s24, s16, 0
	s_add_i32 s18, s18, s21
	s_cmp_lg_u32 s10, 0
	v_readfirstlane_b32 s10, v2
	s_subb_u32 s11, s11, s18
	s_cmp_lg_u32 s22, 0
	s_subb_u32 s18, s11, 0
	s_delay_alu instid0(VALU_DEP_1) | instskip(SKIP_4) | instid1(SALU_CYCLE_1)
	s_cmp_ge_u32 s10, s20
	s_cselect_b32 s10, -1, 0
	s_cmp_eq_u32 s18, 0
	v_readfirstlane_b32 s18, v1
	s_cselect_b32 s10, s10, -1
	s_cmp_lg_u32 s10, 0
	s_cselect_b32 s10, s23, s17
	s_cselect_b32 s17, s24, s19
	s_cmp_ge_u32 s18, s20
	s_cselect_b32 s18, -1, 0
	s_cmp_eq_u32 s11, 0
	s_cselect_b32 s11, s18, -1
	s_delay_alu instid0(SALU_CYCLE_1) | instskip(SKIP_2) | instid1(SALU_CYCLE_1)
	s_cmp_lg_u32 s11, 0
	s_cselect_b32 s11, s17, s16
	s_cselect_b32 s10, s10, s3
	s_xor_b64 s[10:11], s[10:11], s[8:9]
	s_delay_alu instid0(SALU_CYCLE_1)
	s_sub_u32 s16, s10, s8
	s_load_b128 s[8:11], s[0:1], 0x44
	s_and_not1_b32 vcc_lo, exec_lo, s2
	s_cbranch_vccnz .LBB12_3
.LBB12_2:
	v_cvt_f32_u32_e32 v1, s20
	s_sub_i32 s3, 0, s20
	s_delay_alu instid0(VALU_DEP_1) | instskip(SKIP_2) | instid1(VALU_DEP_1)
	v_rcp_iflag_f32_e32 v1, v1
	s_waitcnt_depctr 0xfff
	v_mul_f32_e32 v1, 0x4f7ffffe, v1
	v_cvt_u32_f32_e32 v1, v1
	s_delay_alu instid0(VALU_DEP_1) | instskip(NEXT) | instid1(VALU_DEP_1)
	v_readfirstlane_b32 s2, v1
	s_mul_i32 s3, s3, s2
	s_delay_alu instid0(SALU_CYCLE_1) | instskip(NEXT) | instid1(SALU_CYCLE_1)
	s_mul_hi_u32 s3, s2, s3
	s_add_i32 s2, s2, s3
	s_delay_alu instid0(SALU_CYCLE_1) | instskip(NEXT) | instid1(SALU_CYCLE_1)
	s_mul_hi_u32 s2, s12, s2
	s_mul_i32 s3, s2, s20
	s_waitcnt lgkmcnt(0)
	s_add_i32 s11, s2, 1
	s_sub_i32 s3, s12, s3
	s_delay_alu instid0(SALU_CYCLE_1)
	s_sub_i32 s12, s3, s20
	s_cmp_ge_u32 s3, s20
	s_cselect_b32 s2, s11, s2
	s_cselect_b32 s3, s12, s3
	s_add_i32 s11, s2, 1
	s_cmp_ge_u32 s3, s20
	s_cselect_b32 s16, s11, s2
.LBB12_3:
	s_waitcnt lgkmcnt(0)
	s_add_i32 s11, s13, 1
	s_mov_b32 s2, 0
	s_mul_hi_i32 s3, s7, s11
	s_mul_i32 s11, s7, s11
	s_cmp_lg_u64 s[2:3], 0
	s_cbranch_scc0 .LBB12_22
; %bb.4:
	v_cvt_f32_ubyte0_e32 v1, 0
	v_cvt_f32_u32_e32 v2, s20
	s_sub_u32 s18, 0, s20
	s_subb_u32 s19, 0, 0
	s_delay_alu instid0(VALU_DEP_1) | instskip(NEXT) | instid1(VALU_DEP_1)
	v_fmamk_f32 v1, v1, 0x4f800000, v2
	v_rcp_f32_e32 v1, v1
	s_waitcnt_depctr 0xfff
	v_mul_f32_e32 v1, 0x5f7ffffc, v1
	s_delay_alu instid0(VALU_DEP_1) | instskip(NEXT) | instid1(VALU_DEP_1)
	v_mul_f32_e32 v2, 0x2f800000, v1
	v_trunc_f32_e32 v2, v2
	s_delay_alu instid0(VALU_DEP_1) | instskip(SKIP_1) | instid1(VALU_DEP_2)
	v_fmamk_f32 v1, v2, 0xcf800000, v1
	v_cvt_u32_f32_e32 v2, v2
	v_cvt_u32_f32_e32 v1, v1
	s_delay_alu instid0(VALU_DEP_2) | instskip(NEXT) | instid1(VALU_DEP_2)
	v_readfirstlane_b32 s12, v2
	v_readfirstlane_b32 s17, v1
	s_delay_alu instid0(VALU_DEP_2) | instskip(NEXT) | instid1(VALU_DEP_1)
	s_mul_i32 s21, s18, s12
	s_mul_hi_u32 s23, s18, s17
	s_mul_i32 s22, s19, s17
	s_add_i32 s21, s23, s21
	s_mul_i32 s24, s18, s17
	s_add_i32 s21, s21, s22
	s_mul_hi_u32 s23, s17, s24
	s_mul_hi_u32 s25, s12, s24
	s_mul_i32 s22, s12, s24
	s_mul_hi_u32 s24, s17, s21
	s_mul_i32 s17, s17, s21
	s_mul_hi_u32 s26, s12, s21
	s_add_u32 s17, s23, s17
	s_addc_u32 s23, 0, s24
	s_add_u32 s17, s17, s22
	s_mul_i32 s21, s12, s21
	s_addc_u32 s17, s23, s25
	s_addc_u32 s22, s26, 0
	s_add_u32 s17, s17, s21
	s_addc_u32 s21, 0, s22
	v_add_co_u32 v1, s17, v1, s17
	s_delay_alu instid0(VALU_DEP_1) | instskip(SKIP_1) | instid1(VALU_DEP_1)
	s_cmp_lg_u32 s17, 0
	s_addc_u32 s12, s12, s21
	v_readfirstlane_b32 s17, v1
	s_mul_i32 s21, s18, s12
	s_delay_alu instid0(VALU_DEP_1)
	s_mul_hi_u32 s22, s18, s17
	s_mul_i32 s19, s19, s17
	s_add_i32 s21, s22, s21
	s_mul_i32 s18, s18, s17
	s_add_i32 s21, s21, s19
	s_mul_hi_u32 s22, s12, s18
	s_mul_i32 s23, s12, s18
	s_mul_hi_u32 s18, s17, s18
	s_mul_hi_u32 s24, s17, s21
	s_mul_i32 s17, s17, s21
	s_mul_hi_u32 s19, s12, s21
	s_add_u32 s17, s18, s17
	s_addc_u32 s18, 0, s24
	s_add_u32 s17, s17, s23
	s_mul_i32 s21, s12, s21
	s_addc_u32 s17, s18, s22
	s_addc_u32 s18, s19, 0
	s_add_u32 s17, s17, s21
	s_addc_u32 s18, 0, s18
	v_add_co_u32 v1, s17, v1, s17
	s_delay_alu instid0(VALU_DEP_1) | instskip(SKIP_2) | instid1(SALU_CYCLE_1)
	s_cmp_lg_u32 s17, 0
	s_addc_u32 s12, s12, s18
	s_ashr_i32 s18, s3, 31
	s_add_u32 s22, s11, s18
	s_addc_u32 s23, s3, s18
	v_readfirstlane_b32 s3, v1
	s_mov_b32 s19, s18
	s_delay_alu instid0(SALU_CYCLE_1) | instskip(NEXT) | instid1(SALU_CYCLE_1)
	s_xor_b64 s[22:23], s[22:23], s[18:19]
	s_mul_i32 s21, s22, s12
	s_delay_alu instid0(VALU_DEP_1)
	s_mul_hi_u32 s24, s22, s3
	s_mul_hi_u32 s17, s22, s12
	;; [unrolled: 1-line block ×3, first 2 shown]
	s_mul_i32 s3, s23, s3
	s_add_u32 s21, s24, s21
	s_addc_u32 s17, 0, s17
	s_mul_hi_u32 s25, s23, s12
	s_add_u32 s3, s21, s3
	s_mul_i32 s12, s23, s12
	s_addc_u32 s3, s17, s26
	s_addc_u32 s17, s25, 0
	s_add_u32 s3, s3, s12
	s_addc_u32 s12, 0, s17
	s_mul_i32 s21, s20, s3
	s_add_u32 s17, s3, 1
	v_sub_co_u32 v1, s21, s22, s21
	s_mul_hi_u32 s22, s20, s3
	s_addc_u32 s24, s12, 0
	s_mul_i32 s25, s20, s12
	s_delay_alu instid0(VALU_DEP_1)
	v_sub_co_u32 v2, s26, v1, s20
	s_add_u32 s27, s3, 2
	s_addc_u32 s28, s12, 0
	s_add_i32 s22, s22, s25
	s_cmp_lg_u32 s21, 0
	v_readfirstlane_b32 s21, v2
	s_subb_u32 s22, s23, s22
	s_cmp_lg_u32 s26, 0
	s_subb_u32 s23, s22, 0
	s_delay_alu instid0(VALU_DEP_1) | instskip(SKIP_4) | instid1(SALU_CYCLE_1)
	s_cmp_ge_u32 s21, s20
	s_cselect_b32 s21, -1, 0
	s_cmp_eq_u32 s23, 0
	v_readfirstlane_b32 s23, v1
	s_cselect_b32 s21, s21, -1
	s_cmp_lg_u32 s21, 0
	s_cselect_b32 s17, s27, s17
	s_cselect_b32 s21, s28, s24
	s_cmp_ge_u32 s23, s20
	s_cselect_b32 s23, -1, 0
	s_cmp_eq_u32 s22, 0
	s_cselect_b32 s22, s23, -1
	s_delay_alu instid0(SALU_CYCLE_1) | instskip(SKIP_2) | instid1(SALU_CYCLE_1)
	s_cmp_lg_u32 s22, 0
	s_cselect_b32 s23, s21, s12
	s_cselect_b32 s22, s17, s3
	s_xor_b64 s[22:23], s[22:23], s[18:19]
	s_delay_alu instid0(SALU_CYCLE_1)
	s_sub_u32 s18, s22, s18
	s_and_not1_b32 vcc_lo, exec_lo, s2
	s_cbranch_vccnz .LBB12_6
.LBB12_5:
	v_cvt_f32_u32_e32 v1, s20
	s_sub_i32 s3, 0, s20
	s_delay_alu instid0(VALU_DEP_1) | instskip(SKIP_2) | instid1(VALU_DEP_1)
	v_rcp_iflag_f32_e32 v1, v1
	s_waitcnt_depctr 0xfff
	v_mul_f32_e32 v1, 0x4f7ffffe, v1
	v_cvt_u32_f32_e32 v1, v1
	s_delay_alu instid0(VALU_DEP_1) | instskip(NEXT) | instid1(VALU_DEP_1)
	v_readfirstlane_b32 s2, v1
	s_mul_i32 s3, s3, s2
	s_delay_alu instid0(SALU_CYCLE_1) | instskip(NEXT) | instid1(SALU_CYCLE_1)
	s_mul_hi_u32 s3, s2, s3
	s_add_i32 s2, s2, s3
	s_delay_alu instid0(SALU_CYCLE_1) | instskip(NEXT) | instid1(SALU_CYCLE_1)
	s_mul_hi_u32 s2, s11, s2
	s_mul_i32 s3, s2, s20
	s_delay_alu instid0(SALU_CYCLE_1)
	s_sub_i32 s3, s11, s3
	s_add_i32 s11, s2, 1
	s_sub_i32 s12, s3, s20
	s_cmp_ge_u32 s3, s20
	s_cselect_b32 s2, s11, s2
	s_cselect_b32 s3, s12, s3
	s_add_i32 s11, s2, 1
	s_cmp_ge_u32 s3, s20
	s_cselect_b32 s18, s11, s2
.LBB12_6:
	s_delay_alu instid0(SALU_CYCLE_1) | instskip(SKIP_3) | instid1(SALU_CYCLE_1)
	s_cmp_eq_u32 s16, s18
	s_mul_hi_u32 s2, s16, s8
	s_cselect_b32 s3, -1, 0
	s_add_i32 s2, s2, s16
	s_lshr_b32 s11, s2, s9
	s_delay_alu instid0(SALU_CYCLE_1) | instskip(NEXT) | instid1(SALU_CYCLE_1)
	s_mul_i32 s2, s11, s10
	s_cmp_eq_u32 s2, s16
	s_mul_hi_u32 s2, s18, s8
	s_cselect_b32 s12, -1, 0
	s_add_i32 s2, s2, s18
	s_delay_alu instid0(SALU_CYCLE_1) | instskip(NEXT) | instid1(SALU_CYCLE_1)
	s_lshr_b32 s2, s2, s9
	s_cmp_eq_u32 s11, s2
	s_mul_i32 s2, s2, s10
	s_cselect_b32 s17, -1, 0
	s_cmp_lg_u32 s2, s18
	s_cselect_b32 s2, -1, 0
	s_or_b32 s3, s3, s12
	s_and_b32 s2, s17, s2
	s_delay_alu instid0(SALU_CYCLE_1) | instskip(NEXT) | instid1(SALU_CYCLE_1)
	s_or_b32 s2, s3, s2
	s_and_b32 vcc_lo, exec_lo, s2
	s_cbranch_vccnz .LBB12_24
; %bb.7:
	s_load_b256 s[24:31], s[0:1], 0x20
	s_waitcnt lgkmcnt(0)
	s_mul_hi_u32 s2, s16, s24
	s_delay_alu instid0(SALU_CYCLE_1) | instskip(NEXT) | instid1(SALU_CYCLE_1)
	s_add_i32 s2, s2, s16
	s_lshr_b32 s18, s2, s25
	s_load_b32 s2, s[0:1], 0x40
	s_mul_i32 s3, s18, s26
	s_delay_alu instid0(SALU_CYCLE_1) | instskip(NEXT) | instid1(SALU_CYCLE_1)
	s_sub_i32 s3, s16, s3
	s_mul_hi_u32 s12, s3, s27
	s_delay_alu instid0(SALU_CYCLE_1) | instskip(NEXT) | instid1(SALU_CYCLE_1)
	s_add_i32 s12, s3, s12
	s_lshr_b32 s21, s12, s28
	s_delay_alu instid0(SALU_CYCLE_1) | instskip(NEXT) | instid1(SALU_CYCLE_1)
	s_mul_i32 s12, s21, s29
	s_sub_i32 s3, s3, s12
	s_delay_alu instid0(SALU_CYCLE_1) | instskip(NEXT) | instid1(SALU_CYCLE_1)
	s_mul_hi_u32 s12, s3, s30
	s_add_i32 s12, s3, s12
	s_delay_alu instid0(SALU_CYCLE_1) | instskip(SKIP_3) | instid1(SALU_CYCLE_1)
	s_lshr_b32 s22, s12, s31
	s_mov_b32 s12, 0
	s_waitcnt lgkmcnt(0)
	s_mul_i32 s2, s22, s2
	s_sub_i32 s2, s3, s2
	s_delay_alu instid0(SALU_CYCLE_1) | instskip(NEXT) | instid1(SALU_CYCLE_1)
	s_mul_hi_u32 s3, s2, s8
	s_add_i32 s2, s2, s3
	s_delay_alu instid0(SALU_CYCLE_1) | instskip(NEXT) | instid1(SALU_CYCLE_1)
	s_lshr_b32 s23, s2, s9
	s_lshl_b32 s2, s23, 1
	s_delay_alu instid0(SALU_CYCLE_1) | instskip(NEXT) | instid1(SALU_CYCLE_1)
	s_add_i32 s2, s2, s14
	s_cmp_lt_i32 s2, s4
	s_cselect_b32 s2, -1, 0
	s_add_i32 s3, s22, s15
	s_delay_alu instid0(SALU_CYCLE_1) | instskip(SKIP_1) | instid1(SALU_CYCLE_1)
	s_cmp_lt_i32 s3, s6
	s_cselect_b32 s3, -1, 0
	s_and_b32 s2, s2, s3
	s_delay_alu instid0(SALU_CYCLE_1)
	s_and_not1_b32 vcc_lo, exec_lo, s2
	s_cbranch_vccnz .LBB12_24
; %bb.8:
	s_load_b128 s[0:3], s[0:1], 0x0
	s_lshl_b32 s24, s20, 3
	s_mov_b32 s25, s12
	s_add_i32 s17, s14, s15
	s_lshl_b64 s[24:25], s[24:25], 2
	s_mul_i32 s4, s18, s4
	s_mul_i32 s21, s21, s6
	v_cvt_f32_ubyte0_e32 v4, 0
	v_cvt_f32_u32_e32 v5, s20
	s_waitcnt lgkmcnt(0)
	s_add_u32 s18, s2, s24
	s_addc_u32 s19, s3, s25
	s_add_i32 s4, s4, s14
	s_delay_alu instid0(SALU_CYCLE_1) | instskip(SKIP_4) | instid1(SALU_CYCLE_1)
	s_mul_i32 s4, s4, s5
	s_mul_i32 s5, s5, s23
	s_add_i32 s4, s4, s15
	s_lshl_b32 s5, s5, 7
	s_add_i32 s4, s4, s21
	s_add_i32 s4, s4, s22
	s_delay_alu instid0(SALU_CYCLE_1) | instskip(NEXT) | instid1(SALU_CYCLE_1)
	s_lshl_b32 s4, s4, 6
	s_add_i32 s5, s5, s4
	s_delay_alu instid0(SALU_CYCLE_1) | instskip(SKIP_1) | instid1(VALU_DEP_2)
	v_or_b32_e32 v1, s5, v0
	v_lshl_or_b32 v0, s17, 6, v0
	v_ashrrev_i32_e32 v2, 31, v1
	s_delay_alu instid0(VALU_DEP_1) | instskip(NEXT) | instid1(VALU_DEP_1)
	v_lshlrev_b64 v[1:2], 2, v[1:2]
	v_add_co_u32 v1, vcc_lo, s0, v1
	s_delay_alu instid0(VALU_DEP_2) | instskip(SKIP_1) | instid1(SALU_CYCLE_1)
	v_add_co_ci_u32_e32 v2, vcc_lo, s1, v2, vcc_lo
	s_lshl_b32 s0, s13, 1
	s_add_i32 s0, s0, s17
	global_load_b32 v3, v[1:2], off
	s_ashr_i32 s1, s0, 31
	s_delay_alu instid0(SALU_CYCLE_1) | instskip(NEXT) | instid1(SALU_CYCLE_1)
	s_lshl_b64 s[0:1], s[0:1], 3
	s_add_u32 s0, s2, s0
	s_addc_u32 s1, s3, s1
	s_add_i32 s14, s13, -1
	s_load_b64 s[0:1], s[0:1], 0x0
	v_fmac_f32_e32 v5, 0x4f800000, v4
	s_sub_i32 s6, 0, s20
	s_waitcnt lgkmcnt(0)
	v_mov_b32_e32 v8, s0
	s_delay_alu instid0(VALU_DEP_2) | instskip(SKIP_2) | instid1(VALU_DEP_2)
	v_rcp_f32_e32 v4, v5
	v_cvt_f32_u32_e32 v5, s20
	v_mov_b32_e32 v7, s1
	v_rcp_iflag_f32_e32 v5, v5
	s_waitcnt_depctr 0xfff
	v_mul_f32_e32 v4, 0x5f7ffffc, v4
	s_delay_alu instid0(VALU_DEP_1) | instskip(SKIP_1) | instid1(VALU_DEP_2)
	v_mul_f32_e32 v6, 0x2f800000, v4
	v_mul_f32_e32 v9, 0x4f7ffffe, v5
	v_trunc_f32_e32 v6, v6
	s_delay_alu instid0(VALU_DEP_1) | instskip(SKIP_1) | instid1(VALU_DEP_4)
	v_fmac_f32_e32 v4, 0xcf800000, v6
	v_cvt_u32_f32_e32 v5, v6
	v_cvt_u32_f32_e32 v6, v9
	s_delay_alu instid0(VALU_DEP_3)
	v_cvt_u32_f32_e32 v4, v4
.LBB12_9:                               ; =>This Inner Loop Header: Depth=1
	s_mul_hi_i32 s13, s14, s7
	s_mul_i32 s4, s14, s7
	s_cmp_lg_u64 s[12:13], 0
	s_mov_b32 s5, -1
                                        ; implicit-def: $sgpr0_sgpr1
	s_cbranch_scc0 .LBB12_11
; %bb.10:                               ;   in Loop: Header=BB12_9 Depth=1
	v_readfirstlane_b32 s0, v4
	v_readfirstlane_b32 s1, v5
	s_sub_u32 s5, 0, s20
	s_subb_u32 s15, 0, 0
	s_delay_alu instid0(VALU_DEP_2) | instskip(NEXT) | instid1(VALU_DEP_1)
	s_mul_hi_u32 s21, s5, s0
	s_mul_i32 s22, s5, s1
	s_mul_i32 s23, s15, s0
	s_add_i32 s21, s21, s22
	s_mul_i32 s22, s5, s0
	s_add_i32 s21, s21, s23
	s_mul_hi_u32 s23, s0, s22
	s_mul_i32 s24, s0, s21
	s_mul_hi_u32 s0, s0, s21
	s_add_u32 s23, s23, s24
	s_mul_i32 s25, s1, s22
	s_addc_u32 s0, 0, s0
	s_mul_hi_u32 s22, s1, s22
	s_mul_hi_u32 s24, s1, s21
	s_add_u32 s23, s23, s25
	s_addc_u32 s0, s0, s22
	s_mul_i32 s21, s1, s21
	s_addc_u32 s22, s24, 0
	s_add_u32 s0, s0, s21
	s_addc_u32 s21, 0, s22
	v_add_co_u32 v9, s0, v4, s0
	s_delay_alu instid0(VALU_DEP_1) | instskip(SKIP_1) | instid1(VALU_DEP_1)
	s_cmp_lg_u32 s0, 0
	s_addc_u32 s1, s1, s21
	v_readfirstlane_b32 s0, v9
	s_mul_i32 s21, s5, s1
	s_delay_alu instid0(VALU_DEP_1)
	s_mul_hi_u32 s22, s5, s0
	s_mul_i32 s15, s15, s0
	s_add_i32 s21, s22, s21
	s_mul_i32 s5, s5, s0
	s_add_i32 s21, s21, s15
	s_mul_hi_u32 s15, s1, s5
	s_mul_i32 s23, s1, s5
	s_mul_i32 s24, s0, s21
	s_mul_hi_u32 s5, s0, s5
	s_mul_hi_u32 s0, s0, s21
	s_add_u32 s5, s5, s24
	s_addc_u32 s0, 0, s0
	s_mul_hi_u32 s22, s1, s21
	s_add_u32 s5, s5, s23
	s_addc_u32 s0, s0, s15
	s_mul_i32 s5, s1, s21
	s_addc_u32 s15, s22, 0
	s_add_u32 s0, s0, s5
	s_addc_u32 s5, 0, s15
	v_add_co_u32 v9, s0, v9, s0
	s_delay_alu instid0(VALU_DEP_1) | instskip(SKIP_2) | instid1(SALU_CYCLE_1)
	s_cmp_lg_u32 s0, 0
	s_addc_u32 s5, s1, s5
	s_ashr_i32 s0, s13, 31
	s_add_u32 s22, s4, s0
	s_addc_u32 s23, s13, s0
	v_readfirstlane_b32 s13, v9
	s_mov_b32 s1, s0
	s_delay_alu instid0(SALU_CYCLE_1) | instskip(NEXT) | instid1(SALU_CYCLE_1)
	s_xor_b64 s[22:23], s[22:23], s[0:1]
	s_mul_i32 s15, s22, s5
	s_delay_alu instid0(VALU_DEP_1)
	s_mul_hi_u32 s21, s22, s13
	s_mul_hi_u32 s24, s22, s5
	s_add_u32 s15, s21, s15
	s_mul_i32 s25, s23, s13
	s_addc_u32 s21, 0, s24
	s_mul_hi_u32 s13, s23, s13
	s_mul_hi_u32 s24, s23, s5
	s_add_u32 s15, s15, s25
	s_addc_u32 s13, s21, s13
	s_mul_i32 s5, s23, s5
	s_addc_u32 s15, s24, 0
	s_add_u32 s5, s13, s5
	s_addc_u32 s13, 0, s15
	s_mul_i32 s21, s20, s5
	s_add_u32 s15, s5, 1
	v_sub_co_u32 v9, s21, s22, s21
	s_addc_u32 s22, s13, 0
	s_mul_i32 s25, s20, s13
	s_mul_hi_u32 s27, s20, s5
	s_delay_alu instid0(VALU_DEP_1)
	v_sub_co_u32 v10, s26, v9, s20
	s_add_u32 s24, s5, 2
	s_addc_u32 s28, s13, 0
	s_add_i32 s27, s27, s25
	s_cmp_lg_u32 s21, 0
	v_readfirstlane_b32 s21, v10
	s_subb_u32 s23, s23, s27
	s_cmp_lg_u32 s26, 0
	s_subb_u32 s25, s23, 0
	s_delay_alu instid0(VALU_DEP_1) | instskip(SKIP_4) | instid1(SALU_CYCLE_1)
	s_cmp_ge_u32 s21, s20
	s_cselect_b32 s21, -1, 0
	s_cmp_eq_u32 s25, 0
	v_readfirstlane_b32 s25, v9
	s_cselect_b32 s21, s21, -1
	s_cmp_lg_u32 s21, 0
	s_cselect_b32 s15, s24, s15
	s_cselect_b32 s21, s28, s22
	s_cmp_ge_u32 s25, s20
	s_cselect_b32 s22, -1, 0
	s_cmp_eq_u32 s23, 0
	s_cselect_b32 s22, s22, -1
	s_delay_alu instid0(SALU_CYCLE_1) | instskip(SKIP_4) | instid1(SALU_CYCLE_1)
	s_cmp_lg_u32 s22, 0
	s_cselect_b32 s23, s21, s13
	s_cselect_b32 s22, s15, s5
	s_mov_b32 s5, 0
	s_xor_b64 s[22:23], s[22:23], s[0:1]
	s_sub_u32 s0, s22, s0
.LBB12_11:                              ;   in Loop: Header=BB12_9 Depth=1
	s_and_not1_b32 vcc_lo, exec_lo, s5
	s_cbranch_vccnz .LBB12_13
; %bb.12:                               ;   in Loop: Header=BB12_9 Depth=1
	v_readfirstlane_b32 s0, v6
	s_delay_alu instid0(VALU_DEP_1) | instskip(NEXT) | instid1(SALU_CYCLE_1)
	s_mul_i32 s1, s6, s0
	s_mul_hi_u32 s1, s0, s1
	s_delay_alu instid0(SALU_CYCLE_1) | instskip(NEXT) | instid1(SALU_CYCLE_1)
	s_add_i32 s0, s0, s1
	s_mul_hi_u32 s0, s4, s0
	s_delay_alu instid0(SALU_CYCLE_1) | instskip(NEXT) | instid1(SALU_CYCLE_1)
	s_mul_i32 s1, s0, s20
	s_sub_i32 s1, s4, s1
	s_add_i32 s4, s0, 1
	s_sub_i32 s5, s1, s20
	s_cmp_ge_u32 s1, s20
	s_cselect_b32 s0, s4, s0
	s_cselect_b32 s1, s5, s1
	s_add_i32 s4, s0, 1
	s_cmp_ge_u32 s1, s20
	s_cselect_b32 s0, s4, s0
.LBB12_13:                              ;   in Loop: Header=BB12_9 Depth=1
	s_delay_alu instid0(SALU_CYCLE_1)
	s_cmp_lg_u32 s16, s0
	s_cbranch_scc0 .LBB12_17
; %bb.14:                               ;   in Loop: Header=BB12_9 Depth=1
	s_add_i32 s1, s14, s20
	s_mov_b32 s5, s12
	s_lshl_b32 s1, s1, 1
	s_mov_b32 s15, s16
	s_add_i32 s4, s1, s17
	s_mul_hi_u32 s1, s0, s8
	s_lshl_b64 s[4:5], s[4:5], 3
	s_delay_alu instid0(SALU_CYCLE_1) | instskip(SKIP_2) | instid1(SALU_CYCLE_1)
	s_add_u32 s4, s2, s4
	s_addc_u32 s5, s3, s5
	s_add_i32 s1, s1, s0
	s_lshr_b32 s1, s1, s9
	s_delay_alu instid0(SALU_CYCLE_1) | instskip(NEXT) | instid1(SALU_CYCLE_1)
	s_mul_i32 s13, s1, s10
	s_cmp_eq_u32 s13, s0
	s_cselect_b32 s13, -1, 0
	s_cmp_lt_u32 s1, s11
	s_cselect_b32 s1, -1, 0
	s_delay_alu instid0(SALU_CYCLE_1)
	s_or_b32 s1, s1, s13
	s_mov_b32 s13, -1
	s_and_b32 vcc_lo, exec_lo, s1
	s_mov_b32 s1, s14
	s_cbranch_vccnz .LBB12_16
; %bb.15:                               ;   in Loop: Header=BB12_9 Depth=1
	s_add_i32 s1, s14, -1
	s_mov_b32 s13, 0
	s_mov_b32 s15, s0
.LBB12_16:                              ;   in Loop: Header=BB12_9 Depth=1
	v_lshl_add_u32 v9, s14, 7, v0
	s_load_b64 s[4:5], s[4:5], 0x0
	s_delay_alu instid0(VALU_DEP_1) | instskip(NEXT) | instid1(VALU_DEP_1)
	v_ashrrev_i32_e32 v10, 31, v9
	v_lshlrev_b64 v[9:10], 2, v[9:10]
	s_delay_alu instid0(VALU_DEP_1) | instskip(NEXT) | instid1(VALU_DEP_2)
	v_add_co_u32 v9, vcc_lo, s18, v9
	v_add_co_ci_u32_e32 v10, vcc_lo, s19, v10, vcc_lo
	s_waitcnt lgkmcnt(0)
	v_max_f32_e64 v11, s4, s4
	global_load_b32 v10, v[9:10], off
	v_max_f32_e32 v9, v8, v8
	s_delay_alu instid0(VALU_DEP_1) | instskip(NEXT) | instid1(VALU_DEP_1)
	v_max_f32_e32 v9, v9, v11
	v_sub_f32_e32 v12, v8, v9
	s_delay_alu instid0(VALU_DEP_1) | instskip(NEXT) | instid1(VALU_DEP_1)
	v_dual_mul_f32 v14, 0x3fb8aa3b, v12 :: v_dual_sub_f32 v11, s4, v9
	v_rndne_f32_e32 v18, v14
	s_delay_alu instid0(VALU_DEP_2) | instskip(SKIP_2) | instid1(VALU_DEP_4)
	v_mul_f32_e32 v13, 0x3fb8aa3b, v11
	v_fma_f32 v17, 0x3fb8aa3b, v12, -v14
	v_cmp_ngt_f32_e32 vcc_lo, 0xc2ce8ed0, v11
	v_sub_f32_e32 v14, v14, v18
	s_delay_alu instid0(VALU_DEP_4) | instskip(SKIP_2) | instid1(VALU_DEP_3)
	v_fma_f32 v15, 0x3fb8aa3b, v11, -v13
	v_rndne_f32_e32 v16, v13
	v_fmac_f32_e32 v17, 0x32a5705f, v12
	v_fmac_f32_e32 v15, 0x32a5705f, v11
	s_delay_alu instid0(VALU_DEP_2) | instskip(NEXT) | instid1(VALU_DEP_1)
	v_dual_sub_f32 v13, v13, v16 :: v_dual_add_f32 v14, v14, v17
	v_add_f32_e32 v13, v13, v15
	s_delay_alu instid0(VALU_DEP_2) | instskip(SKIP_2) | instid1(VALU_DEP_3)
	v_exp_f32_e32 v14, v14
	v_cvt_i32_f32_e32 v15, v16
	v_cvt_i32_f32_e32 v16, v18
	v_exp_f32_e32 v13, v13
	s_waitcnt_depctr 0xfff
	v_ldexp_f32 v14, v14, v16
	v_ldexp_f32 v13, v13, v15
	s_delay_alu instid0(VALU_DEP_1) | instskip(SKIP_1) | instid1(VALU_DEP_4)
	v_cndmask_b32_e32 v13, 0, v13, vcc_lo
	v_cmp_ngt_f32_e32 vcc_lo, 0xc2ce8ed0, v12
	v_cndmask_b32_e32 v14, 0, v14, vcc_lo
	v_cmp_nlt_f32_e32 vcc_lo, 0x42b17218, v11
	s_delay_alu instid0(VALU_DEP_4) | instskip(SKIP_1) | instid1(VALU_DEP_4)
	v_cndmask_b32_e32 v13, 0x7f800000, v13, vcc_lo
	v_cmp_nlt_f32_e32 vcc_lo, 0x42b17218, v12
	v_cndmask_b32_e32 v14, 0x7f800000, v14, vcc_lo
	v_cmp_le_f32_e32 vcc_lo, 0xc1a00000, v11
	s_delay_alu instid0(VALU_DEP_4) | instskip(SKIP_1) | instid1(VALU_DEP_4)
	v_cndmask_b32_e32 v11, 0, v13, vcc_lo
	v_cmp_le_f32_e32 vcc_lo, 0xc1a00000, v12
	v_cndmask_b32_e32 v12, 0, v14, vcc_lo
	s_waitcnt vmcnt(0)
	s_delay_alu instid0(VALU_DEP_3) | instskip(NEXT) | instid1(VALU_DEP_1)
	v_mul_f32_e32 v10, v10, v11
	v_dual_mul_f32 v11, s5, v11 :: v_dual_fmac_f32 v10, v3, v12
	s_delay_alu instid0(VALU_DEP_1)
	v_fmac_f32_e32 v11, v7, v12
	s_cbranch_execz .LBB12_18
	s_branch .LBB12_19
.LBB12_17:                              ;   in Loop: Header=BB12_9 Depth=1
                                        ; implicit-def: $sgpr13
                                        ; implicit-def: $vgpr10
                                        ; implicit-def: $vgpr9
                                        ; implicit-def: $vgpr11
                                        ; implicit-def: $sgpr1
                                        ; implicit-def: $sgpr15
.LBB12_18:                              ;   in Loop: Header=BB12_9 Depth=1
	v_mov_b32_e32 v11, v7
	s_waitcnt vmcnt(0)
	v_dual_mov_b32 v9, v8 :: v_dual_mov_b32 v10, v3
	s_add_i32 s1, s14, -1
	s_mov_b32 s13, 0
	s_mov_b32 s15, s16
.LBB12_19:                              ;   in Loop: Header=BB12_9 Depth=1
	s_and_not1_b32 vcc_lo, exec_lo, s13
	s_cbranch_vccz .LBB12_23
; %bb.20:                               ;   in Loop: Header=BB12_9 Depth=1
	v_dual_mov_b32 v7, v11 :: v_dual_mov_b32 v8, v9
	s_waitcnt vmcnt(0)
	v_mov_b32_e32 v3, v10
	s_mov_b32 s16, s15
	s_mov_b32 s14, s1
	s_branch .LBB12_9
.LBB12_21:
                                        ; implicit-def: $sgpr16_sgpr17
	s_load_b128 s[8:11], s[0:1], 0x44
	s_branch .LBB12_2
.LBB12_22:
                                        ; implicit-def: $sgpr18_sgpr19
	s_branch .LBB12_5
.LBB12_23:
	v_div_scale_f32 v0, null, v11, v11, v10
	s_waitcnt vmcnt(0)
	s_delay_alu instid0(VALU_DEP_1) | instskip(SKIP_2) | instid1(VALU_DEP_1)
	v_rcp_f32_e32 v3, v0
	s_waitcnt_depctr 0xfff
	v_fma_f32 v4, -v0, v3, 1.0
	v_fmac_f32_e32 v3, v4, v3
	v_div_scale_f32 v4, vcc_lo, v10, v11, v10
	s_delay_alu instid0(VALU_DEP_1) | instskip(NEXT) | instid1(VALU_DEP_1)
	v_mul_f32_e32 v5, v4, v3
	v_fma_f32 v6, -v0, v5, v4
	s_delay_alu instid0(VALU_DEP_1) | instskip(NEXT) | instid1(VALU_DEP_1)
	v_fmac_f32_e32 v5, v6, v3
	v_fma_f32 v0, -v0, v5, v4
	s_delay_alu instid0(VALU_DEP_1) | instskip(NEXT) | instid1(VALU_DEP_1)
	v_div_fmas_f32 v0, v0, v3, v5
	v_div_fixup_f32 v0, v0, v11, v10
	global_store_b32 v[1:2], v0, off
.LBB12_24:
	s_nop 0
	s_sendmsg sendmsg(MSG_DEALLOC_VGPRS)
	s_endpgm
	.section	.rodata,"a",@progbits
	.p2align	6, 0x0
	.amdhsa_kernel _ZL33flash_attn_stream_k_fixup_generalILi64ELi2ELi1EEvPfPK15HIP_vector_typeIfLj2EEiiiiS1_IjLj3EES5_S5_S5_
		.amdhsa_group_segment_fixed_size 0
		.amdhsa_private_segment_fixed_size 0
		.amdhsa_kernarg_size 336
		.amdhsa_user_sgpr_count 13
		.amdhsa_user_sgpr_dispatch_ptr 0
		.amdhsa_user_sgpr_queue_ptr 0
		.amdhsa_user_sgpr_kernarg_segment_ptr 1
		.amdhsa_user_sgpr_dispatch_id 0
		.amdhsa_user_sgpr_private_segment_size 0
		.amdhsa_wavefront_size32 1
		.amdhsa_uses_dynamic_stack 0
		.amdhsa_enable_private_segment 0
		.amdhsa_system_sgpr_workgroup_id_x 1
		.amdhsa_system_sgpr_workgroup_id_y 1
		.amdhsa_system_sgpr_workgroup_id_z 1
		.amdhsa_system_sgpr_workgroup_info 0
		.amdhsa_system_vgpr_workitem_id 0
		.amdhsa_next_free_vgpr 19
		.amdhsa_next_free_sgpr 32
		.amdhsa_reserve_vcc 1
		.amdhsa_float_round_mode_32 0
		.amdhsa_float_round_mode_16_64 0
		.amdhsa_float_denorm_mode_32 3
		.amdhsa_float_denorm_mode_16_64 3
		.amdhsa_dx10_clamp 1
		.amdhsa_ieee_mode 1
		.amdhsa_fp16_overflow 0
		.amdhsa_workgroup_processor_mode 1
		.amdhsa_memory_ordered 1
		.amdhsa_forward_progress 0
		.amdhsa_shared_vgpr_count 0
		.amdhsa_exception_fp_ieee_invalid_op 0
		.amdhsa_exception_fp_denorm_src 0
		.amdhsa_exception_fp_ieee_div_zero 0
		.amdhsa_exception_fp_ieee_overflow 0
		.amdhsa_exception_fp_ieee_underflow 0
		.amdhsa_exception_fp_ieee_inexact 0
		.amdhsa_exception_int_div_zero 0
	.end_amdhsa_kernel
	.section	.text._ZL33flash_attn_stream_k_fixup_generalILi64ELi2ELi1EEvPfPK15HIP_vector_typeIfLj2EEiiiiS1_IjLj3EES5_S5_S5_,"axG",@progbits,_ZL33flash_attn_stream_k_fixup_generalILi64ELi2ELi1EEvPfPK15HIP_vector_typeIfLj2EEiiiiS1_IjLj3EES5_S5_S5_,comdat
.Lfunc_end12:
	.size	_ZL33flash_attn_stream_k_fixup_generalILi64ELi2ELi1EEvPfPK15HIP_vector_typeIfLj2EEiiiiS1_IjLj3EES5_S5_S5_, .Lfunc_end12-_ZL33flash_attn_stream_k_fixup_generalILi64ELi2ELi1EEvPfPK15HIP_vector_typeIfLj2EEiiiiS1_IjLj3EES5_S5_S5_
                                        ; -- End function
	.section	.AMDGPU.csdata,"",@progbits
; Kernel info:
; codeLenInByte = 3220
; NumSgprs: 34
; NumVgprs: 19
; ScratchSize: 0
; MemoryBound: 0
; FloatMode: 240
; IeeeMode: 1
; LDSByteSize: 0 bytes/workgroup (compile time only)
; SGPRBlocks: 4
; VGPRBlocks: 2
; NumSGPRsForWavesPerEU: 34
; NumVGPRsForWavesPerEU: 19
; Occupancy: 16
; WaveLimiterHint : 0
; COMPUTE_PGM_RSRC2:SCRATCH_EN: 0
; COMPUTE_PGM_RSRC2:USER_SGPR: 13
; COMPUTE_PGM_RSRC2:TRAP_HANDLER: 0
; COMPUTE_PGM_RSRC2:TGID_X_EN: 1
; COMPUTE_PGM_RSRC2:TGID_Y_EN: 1
; COMPUTE_PGM_RSRC2:TGID_Z_EN: 1
; COMPUTE_PGM_RSRC2:TIDIG_COMP_CNT: 0
	.section	.text._ZL18flash_attn_ext_vecILi64ELi2EL9ggml_type6ELS0_3ELb1EEvPKcS2_S2_S2_S2_PKiPfP15HIP_vector_typeIfLj2EEffffjfiS6_IjLj3EEiiiiiiiiiiiliiliiiiil,"axG",@progbits,_ZL18flash_attn_ext_vecILi64ELi2EL9ggml_type6ELS0_3ELb1EEvPKcS2_S2_S2_S2_PKiPfP15HIP_vector_typeIfLj2EEffffjfiS6_IjLj3EEiiiiiiiiiiiliiliiiiil,comdat
	.globl	_ZL18flash_attn_ext_vecILi64ELi2EL9ggml_type6ELS0_3ELb1EEvPKcS2_S2_S2_S2_PKiPfP15HIP_vector_typeIfLj2EEffffjfiS6_IjLj3EEiiiiiiiiiiiliiliiiiil ; -- Begin function _ZL18flash_attn_ext_vecILi64ELi2EL9ggml_type6ELS0_3ELb1EEvPKcS2_S2_S2_S2_PKiPfP15HIP_vector_typeIfLj2EEffffjfiS6_IjLj3EEiiiiiiiiiiiliiliiiiil
	.p2align	8
	.type	_ZL18flash_attn_ext_vecILi64ELi2EL9ggml_type6ELS0_3ELb1EEvPKcS2_S2_S2_S2_PKiPfP15HIP_vector_typeIfLj2EEffffjfiS6_IjLj3EEiiiiiiiiiiiliiliiiiil,@function
_ZL18flash_attn_ext_vecILi64ELi2EL9ggml_type6ELS0_3ELb1EEvPKcS2_S2_S2_S2_PKiPfP15HIP_vector_typeIfLj2EEffffjfiS6_IjLj3EEiiiiiiiiiiiliiliiiiil: ; @_ZL18flash_attn_ext_vecILi64ELi2EL9ggml_type6ELS0_3ELb1EEvPKcS2_S2_S2_S2_PKiPfP15HIP_vector_typeIfLj2EEffffjfiS6_IjLj3EEiiiiiiiiiiiliiliiiiil
; %bb.0:
	s_add_u32 s8, s0, 0xd0
	s_addc_u32 s9, s1, 0
	s_mov_b32 s32, 0
	s_getpc_b64 s[0:1]
	s_add_u32 s0, s0, _ZL14no_device_codePKciS0_iS0_@rel32@lo+4
	s_addc_u32 s1, s1, _ZL14no_device_codePKciS0_iS0_@rel32@hi+12
	s_delay_alu instid0(SALU_CYCLE_1)
	s_swappc_b64 s[30:31], s[0:1]
	.section	.rodata,"a",@progbits
	.p2align	6, 0x0
	.amdhsa_kernel _ZL18flash_attn_ext_vecILi64ELi2EL9ggml_type6ELS0_3ELb1EEvPKcS2_S2_S2_S2_PKiPfP15HIP_vector_typeIfLj2EEffffjfiS6_IjLj3EEiiiiiiiiiiiliiliiiiil
		.amdhsa_group_segment_fixed_size 0
		.amdhsa_private_segment_fixed_size 16
		.amdhsa_kernarg_size 464
		.amdhsa_user_sgpr_count 15
		.amdhsa_user_sgpr_dispatch_ptr 0
		.amdhsa_user_sgpr_queue_ptr 0
		.amdhsa_user_sgpr_kernarg_segment_ptr 1
		.amdhsa_user_sgpr_dispatch_id 0
		.amdhsa_user_sgpr_private_segment_size 0
		.amdhsa_wavefront_size32 1
		.amdhsa_uses_dynamic_stack 0
		.amdhsa_enable_private_segment 1
		.amdhsa_system_sgpr_workgroup_id_x 1
		.amdhsa_system_sgpr_workgroup_id_y 0
		.amdhsa_system_sgpr_workgroup_id_z 0
		.amdhsa_system_sgpr_workgroup_info 0
		.amdhsa_system_vgpr_workitem_id 0
		.amdhsa_next_free_vgpr 37
		.amdhsa_next_free_sgpr 34
		.amdhsa_reserve_vcc 1
		.amdhsa_float_round_mode_32 0
		.amdhsa_float_round_mode_16_64 0
		.amdhsa_float_denorm_mode_32 3
		.amdhsa_float_denorm_mode_16_64 3
		.amdhsa_dx10_clamp 1
		.amdhsa_ieee_mode 1
		.amdhsa_fp16_overflow 0
		.amdhsa_workgroup_processor_mode 1
		.amdhsa_memory_ordered 1
		.amdhsa_forward_progress 0
		.amdhsa_shared_vgpr_count 0
		.amdhsa_exception_fp_ieee_invalid_op 0
		.amdhsa_exception_fp_denorm_src 0
		.amdhsa_exception_fp_ieee_div_zero 0
		.amdhsa_exception_fp_ieee_overflow 0
		.amdhsa_exception_fp_ieee_underflow 0
		.amdhsa_exception_fp_ieee_inexact 0
		.amdhsa_exception_int_div_zero 0
	.end_amdhsa_kernel
	.section	.text._ZL18flash_attn_ext_vecILi64ELi2EL9ggml_type6ELS0_3ELb1EEvPKcS2_S2_S2_S2_PKiPfP15HIP_vector_typeIfLj2EEffffjfiS6_IjLj3EEiiiiiiiiiiiliiliiiiil,"axG",@progbits,_ZL18flash_attn_ext_vecILi64ELi2EL9ggml_type6ELS0_3ELb1EEvPKcS2_S2_S2_S2_PKiPfP15HIP_vector_typeIfLj2EEffffjfiS6_IjLj3EEiiiiiiiiiiiliiliiiiil,comdat
.Lfunc_end13:
	.size	_ZL18flash_attn_ext_vecILi64ELi2EL9ggml_type6ELS0_3ELb1EEvPKcS2_S2_S2_S2_PKiPfP15HIP_vector_typeIfLj2EEffffjfiS6_IjLj3EEiiiiiiiiiiiliiliiiiil, .Lfunc_end13-_ZL18flash_attn_ext_vecILi64ELi2EL9ggml_type6ELS0_3ELb1EEvPKcS2_S2_S2_S2_PKiPfP15HIP_vector_typeIfLj2EEffffjfiS6_IjLj3EEiiiiiiiiiiiliiliiiiil
                                        ; -- End function
	.section	.AMDGPU.csdata,"",@progbits
; Kernel info:
; codeLenInByte = 44
; NumSgprs: 36
; NumVgprs: 37
; ScratchSize: 16
; MemoryBound: 0
; FloatMode: 240
; IeeeMode: 1
; LDSByteSize: 0 bytes/workgroup (compile time only)
; SGPRBlocks: 4
; VGPRBlocks: 4
; NumSGPRsForWavesPerEU: 36
; NumVGPRsForWavesPerEU: 37
; Occupancy: 16
; WaveLimiterHint : 1
; COMPUTE_PGM_RSRC2:SCRATCH_EN: 1
; COMPUTE_PGM_RSRC2:USER_SGPR: 15
; COMPUTE_PGM_RSRC2:TRAP_HANDLER: 0
; COMPUTE_PGM_RSRC2:TGID_X_EN: 1
; COMPUTE_PGM_RSRC2:TGID_Y_EN: 0
; COMPUTE_PGM_RSRC2:TGID_Z_EN: 0
; COMPUTE_PGM_RSRC2:TIDIG_COMP_CNT: 0
	.section	.text._ZL18flash_attn_ext_vecILi128ELi1EL9ggml_type6ELS0_3ELb0EEvPKcS2_S2_S2_S2_PKiPfP15HIP_vector_typeIfLj2EEffffjfiS6_IjLj3EEiiiiiiiiiiiliiliiiiil,"axG",@progbits,_ZL18flash_attn_ext_vecILi128ELi1EL9ggml_type6ELS0_3ELb0EEvPKcS2_S2_S2_S2_PKiPfP15HIP_vector_typeIfLj2EEffffjfiS6_IjLj3EEiiiiiiiiiiiliiliiiiil,comdat
	.globl	_ZL18flash_attn_ext_vecILi128ELi1EL9ggml_type6ELS0_3ELb0EEvPKcS2_S2_S2_S2_PKiPfP15HIP_vector_typeIfLj2EEffffjfiS6_IjLj3EEiiiiiiiiiiiliiliiiiil ; -- Begin function _ZL18flash_attn_ext_vecILi128ELi1EL9ggml_type6ELS0_3ELb0EEvPKcS2_S2_S2_S2_PKiPfP15HIP_vector_typeIfLj2EEffffjfiS6_IjLj3EEiiiiiiiiiiiliiliiiiil
	.p2align	8
	.type	_ZL18flash_attn_ext_vecILi128ELi1EL9ggml_type6ELS0_3ELb0EEvPKcS2_S2_S2_S2_PKiPfP15HIP_vector_typeIfLj2EEffffjfiS6_IjLj3EEiiiiiiiiiiiliiliiiiil,@function
_ZL18flash_attn_ext_vecILi128ELi1EL9ggml_type6ELS0_3ELb0EEvPKcS2_S2_S2_S2_PKiPfP15HIP_vector_typeIfLj2EEffffjfiS6_IjLj3EEiiiiiiiiiiiliiliiiiil: ; @_ZL18flash_attn_ext_vecILi128ELi1EL9ggml_type6ELS0_3ELb0EEvPKcS2_S2_S2_S2_PKiPfP15HIP_vector_typeIfLj2EEffffjfiS6_IjLj3EEiiiiiiiiiiiliiliiiiil
; %bb.0:
	s_clause 0x3
	s_load_b64 s[34:35], s[0:1], 0x64
	s_load_b64 s[38:39], s[0:1], 0x80
	;; [unrolled: 1-line block ×3, first 2 shown]
	s_load_b128 s[8:11], s[0:1], 0x40
	v_mov_b32_e32 v44, 1.0
	s_waitcnt lgkmcnt(0)
	v_cvt_f32_u32_e32 v1, s35
	s_sub_i32 s3, 0, s35
	s_delay_alu instid0(VALU_DEP_1) | instskip(SKIP_2) | instid1(VALU_DEP_1)
	v_rcp_iflag_f32_e32 v1, v1
	s_waitcnt_depctr 0xfff
	v_mul_f32_e32 v1, 0x4f7ffffe, v1
	v_cvt_u32_f32_e32 v1, v1
	s_delay_alu instid0(VALU_DEP_1) | instskip(NEXT) | instid1(VALU_DEP_1)
	v_readfirstlane_b32 s2, v1
	s_mul_i32 s3, s3, s2
	s_delay_alu instid0(SALU_CYCLE_1) | instskip(NEXT) | instid1(SALU_CYCLE_1)
	s_mul_hi_u32 s3, s2, s3
	s_add_i32 s2, s2, s3
	s_delay_alu instid0(SALU_CYCLE_1) | instskip(NEXT) | instid1(SALU_CYCLE_1)
	s_mul_hi_u32 s2, s15, s2
	s_mul_i32 s3, s2, s35
	s_add_i32 s4, s2, 1
	s_sub_i32 s3, s15, s3
	s_delay_alu instid0(SALU_CYCLE_1)
	s_sub_i32 s5, s3, s35
	s_cmp_ge_u32 s3, s35
	s_cselect_b32 s2, s4, s2
	s_cselect_b32 s3, s5, s3
	s_add_i32 s4, s2, 1
	s_cmp_ge_u32 s3, s35
	s_cselect_b32 s12, s4, s2
	s_abs_i32 s2, s39
	s_abs_i32 s6, s35
	v_cvt_f32_u32_e32 v1, s2
	s_sub_i32 s4, 0, s2
	s_xor_b32 s5, s35, s39
	s_delay_alu instid0(SALU_CYCLE_1) | instskip(NEXT) | instid1(VALU_DEP_1)
	s_ashr_i32 s5, s5, 31
	v_rcp_iflag_f32_e32 v1, v1
	s_waitcnt_depctr 0xfff
	v_mul_f32_e32 v1, 0x4f7ffffe, v1
	s_delay_alu instid0(VALU_DEP_1) | instskip(NEXT) | instid1(VALU_DEP_1)
	v_cvt_u32_f32_e32 v1, v1
	v_readfirstlane_b32 s3, v1
	s_delay_alu instid0(VALU_DEP_1) | instskip(NEXT) | instid1(SALU_CYCLE_1)
	s_mul_i32 s4, s4, s3
	s_mul_hi_u32 s4, s3, s4
	s_delay_alu instid0(SALU_CYCLE_1) | instskip(SKIP_4) | instid1(SALU_CYCLE_1)
	s_add_i32 s3, s3, s4
	s_mul_i32 s4, s12, s35
	s_mul_hi_u32 s3, s6, s3
	s_sub_i32 s36, s15, s4
	s_mul_i32 s7, s3, s2
	s_sub_i32 s4, s6, s7
	s_add_i32 s6, s3, 1
	s_sub_i32 s7, s4, s2
	s_cmp_ge_u32 s4, s2
	s_cselect_b32 s3, s6, s3
	s_cselect_b32 s4, s7, s4
	s_add_i32 s6, s3, 1
	s_cmp_ge_u32 s4, s2
	s_cselect_b32 s2, s6, s3
	s_abs_i32 s15, s40
	s_xor_b32 s2, s2, s5
	v_cvt_f32_u32_e32 v1, s15
	s_sub_i32 s6, s2, s5
	s_load_b32 s2, s[0:1], 0x50
	s_abs_i32 s40, s6
	v_cmp_le_f32_e64 s3, s9, 0
	v_cvt_f32_u32_e32 v2, s40
	v_rcp_iflag_f32_e32 v1, v1
	s_sub_i32 s4, 0, s40
	s_abs_i32 s33, s36
	s_and_b32 vcc_lo, exec_lo, s3
	v_rcp_iflag_f32_e32 v2, v2
	s_sub_i32 s3, 0, s15
	s_abs_i32 s42, s12
	s_waitcnt_depctr 0xfff
	v_dual_mul_f32 v1, 0x4f7ffffe, v1 :: v_dual_mul_f32 v2, 0x4f7ffffe, v2
	s_delay_alu instid0(VALU_DEP_1) | instskip(NEXT) | instid1(VALU_DEP_2)
	v_cvt_u32_f32_e32 v1, v1
	v_cvt_u32_f32_e32 v2, v2
	s_delay_alu instid0(VALU_DEP_2) | instskip(NEXT) | instid1(VALU_DEP_2)
	v_readfirstlane_b32 s5, v1
	v_readfirstlane_b32 s7, v2
	s_delay_alu instid0(VALU_DEP_2) | instskip(NEXT) | instid1(SALU_CYCLE_1)
	s_mul_i32 s3, s3, s5
	s_mul_hi_u32 s3, s5, s3
	s_delay_alu instid0(VALU_DEP_1) | instskip(SKIP_2) | instid1(SALU_CYCLE_1)
	s_mul_i32 s4, s4, s7
	s_add_i32 s5, s5, s3
	s_mul_hi_u32 s4, s7, s4
	s_add_i32 s7, s7, s4
	s_cbranch_vccnz .LBB14_2
; %bb.1:
	s_waitcnt lgkmcnt(0)
	s_sub_i32 s3, s36, s2
	s_add_i32 s4, s36, 1
	s_lshl_b32 s3, s3, 1
	v_mov_b32_e32 v1, s10
	s_or_b32 s3, s3, 1
	s_cmp_lt_u32 s36, s2
	s_cselect_b32 vcc_lo, -1, 0
	s_delay_alu instid0(VALU_DEP_1)
	v_cndmask_b32_e32 v3, s11, v1, vcc_lo
	s_and_b32 s2, vcc_lo, exec_lo
	s_cselect_b32 s2, s4, s3
	s_mov_b32 s3, 0x3e76c4e1
	v_cvt_f32_i32_e32 v1, s2
	v_cmp_neq_f32_e32 vcc_lo, 1.0, v3
	s_delay_alu instid0(VALU_DEP_2) | instskip(NEXT) | instid1(VALU_DEP_1)
	v_cndmask_b32_e32 v4, 1.0, v1, vcc_lo
	v_cmp_eq_f32_e32 vcc_lo, 0, v4
	v_cndmask_b32_e64 v5, |v3|, 1.0, vcc_lo
	s_delay_alu instid0(VALU_DEP_1) | instskip(NEXT) | instid1(VALU_DEP_1)
	v_frexp_mant_f32_e32 v1, v5
	v_cmp_gt_f32_e64 s2, 0x3f2aaaab, v1
	s_delay_alu instid0(VALU_DEP_1) | instskip(NEXT) | instid1(VALU_DEP_1)
	v_cndmask_b32_e64 v2, 1.0, 2.0, s2
	v_mul_f32_e32 v1, v1, v2
	s_delay_alu instid0(VALU_DEP_1) | instskip(SKIP_1) | instid1(VALU_DEP_2)
	v_add_f32_e32 v2, 1.0, v1
	v_add_f32_e32 v7, -1.0, v1
	v_rcp_f32_e32 v6, v2
	s_waitcnt_depctr 0xfff
	v_mul_f32_e32 v8, v7, v6
	s_delay_alu instid0(VALU_DEP_1) | instskip(NEXT) | instid1(VALU_DEP_1)
	v_dual_add_f32 v9, -1.0, v2 :: v_dual_mul_f32 v10, v2, v8
	v_sub_f32_e32 v1, v1, v9
	v_cndmask_b32_e64 v3, v3, 1.0, vcc_lo
	s_delay_alu instid0(VALU_DEP_3) | instskip(NEXT) | instid1(VALU_DEP_2)
	v_fma_f32 v2, v8, v2, -v10
	v_cmp_eq_f32_e64 s4, 0, v3
	s_delay_alu instid0(VALU_DEP_2) | instskip(NEXT) | instid1(VALU_DEP_1)
	v_fmac_f32_e32 v2, v8, v1
	v_add_f32_e32 v1, v10, v2
	s_delay_alu instid0(VALU_DEP_1) | instskip(NEXT) | instid1(VALU_DEP_1)
	v_dual_sub_f32 v10, v1, v10 :: v_dual_sub_f32 v9, v7, v1
	v_dual_sub_f32 v2, v10, v2 :: v_dual_sub_f32 v7, v7, v9
	s_delay_alu instid0(VALU_DEP_1) | instskip(NEXT) | instid1(VALU_DEP_1)
	v_sub_f32_e32 v1, v7, v1
	v_add_f32_e32 v1, v2, v1
	s_delay_alu instid0(VALU_DEP_1) | instskip(NEXT) | instid1(VALU_DEP_1)
	v_add_f32_e32 v1, v9, v1
	v_mul_f32_e32 v1, v6, v1
	s_delay_alu instid0(VALU_DEP_1) | instskip(NEXT) | instid1(VALU_DEP_1)
	v_add_f32_e32 v6, v8, v1
	v_sub_f32_e32 v2, v6, v8
	v_mul_f32_e32 v7, v6, v6
	s_delay_alu instid0(VALU_DEP_2) | instskip(NEXT) | instid1(VALU_DEP_2)
	v_sub_f32_e32 v8, v1, v2
	v_fma_f32 v9, v6, v6, -v7
	s_delay_alu instid0(VALU_DEP_2) | instskip(NEXT) | instid1(VALU_DEP_1)
	v_add_f32_e32 v1, v8, v8
	v_fmac_f32_e32 v9, v6, v1
	v_cvt_f64_f32_e32 v[1:2], v5
	s_delay_alu instid0(VALU_DEP_2) | instskip(NEXT) | instid1(VALU_DEP_1)
	v_add_f32_e32 v10, v7, v9
	v_fmaak_f32 v11, s3, v10, 0x3e91f4c4
	v_sub_f32_e32 v7, v10, v7
	v_mul_f32_e32 v14, v6, v10
	s_delay_alu instid0(VALU_DEP_3) | instskip(NEXT) | instid1(VALU_DEP_3)
	v_fmaak_f32 v11, v10, v11, 0x3ecccdef
	v_sub_f32_e32 v7, v9, v7
	s_delay_alu instid0(VALU_DEP_2) | instskip(NEXT) | instid1(VALU_DEP_1)
	v_mul_f32_e32 v12, v10, v11
	v_fma_f32 v9, v10, v11, -v12
	s_delay_alu instid0(VALU_DEP_1) | instskip(NEXT) | instid1(VALU_DEP_1)
	v_fmac_f32_e32 v9, v7, v11
	v_add_f32_e32 v11, v12, v9
	v_frexp_exp_i32_f64_e32 v1, v[1:2]
	s_delay_alu instid0(VALU_DEP_2) | instskip(NEXT) | instid1(VALU_DEP_1)
	v_sub_f32_e32 v12, v11, v12
	v_sub_f32_e32 v2, v9, v12
	v_fma_f32 v12, v10, v6, -v14
	s_delay_alu instid0(VALU_DEP_2) | instskip(NEXT) | instid1(VALU_DEP_2)
	v_add_f32_e32 v2, 0x31739010, v2
	v_dual_add_f32 v13, 0x3f2aaaaa, v11 :: v_dual_fmac_f32 v12, v10, v8
	v_ldexp_f32 v8, v8, 1
	s_delay_alu instid0(VALU_DEP_2) | instskip(NEXT) | instid1(VALU_DEP_1)
	v_dual_add_f32 v9, 0xbf2aaaaa, v13 :: v_dual_fmac_f32 v12, v7, v6
	v_sub_f32_e32 v9, v11, v9
	s_delay_alu instid0(VALU_DEP_1) | instskip(NEXT) | instid1(VALU_DEP_3)
	v_add_f32_e32 v2, v2, v9
	v_add_f32_e32 v9, v14, v12
	s_delay_alu instid0(VALU_DEP_2) | instskip(NEXT) | instid1(VALU_DEP_1)
	v_add_f32_e32 v7, v13, v2
	v_sub_f32_e32 v10, v13, v7
	s_delay_alu instid0(VALU_DEP_3) | instskip(SKIP_2) | instid1(VALU_DEP_4)
	v_mul_f32_e32 v11, v9, v7
	v_sub_f32_e32 v13, v9, v14
	v_subrev_co_ci_u32_e64 v1, s2, 0, v1, s2
	v_add_f32_e32 v2, v2, v10
	s_delay_alu instid0(VALU_DEP_4) | instskip(NEXT) | instid1(VALU_DEP_4)
	v_fma_f32 v10, v9, v7, -v11
	v_sub_f32_e32 v12, v12, v13
	s_delay_alu instid0(VALU_DEP_4) | instskip(NEXT) | instid1(VALU_DEP_3)
	v_cvt_f32_i32_e32 v1, v1
	v_fmac_f32_e32 v10, v9, v2
	v_ldexp_f32 v2, v6, 1
	s_delay_alu instid0(VALU_DEP_2) | instskip(NEXT) | instid1(VALU_DEP_1)
	v_fmac_f32_e32 v10, v12, v7
	v_add_f32_e32 v6, v11, v10
	s_delay_alu instid0(VALU_DEP_1) | instskip(NEXT) | instid1(VALU_DEP_1)
	v_add_f32_e32 v7, v2, v6
	v_dual_sub_f32 v2, v7, v2 :: v_dual_sub_f32 v9, v6, v11
	s_delay_alu instid0(VALU_DEP_1) | instskip(NEXT) | instid1(VALU_DEP_2)
	v_sub_f32_e32 v2, v6, v2
	v_sub_f32_e32 v9, v10, v9
	s_delay_alu instid0(VALU_DEP_1) | instskip(NEXT) | instid1(VALU_DEP_1)
	v_add_f32_e32 v6, v8, v9
	v_dual_mul_f32 v11, 0x3f317218, v1 :: v_dual_add_f32 v2, v6, v2
	s_delay_alu instid0(VALU_DEP_1) | instskip(NEXT) | instid1(VALU_DEP_2)
	v_fma_f32 v10, 0x3f317218, v1, -v11
	v_add_f32_e32 v8, v7, v2
	s_delay_alu instid0(VALU_DEP_1) | instskip(NEXT) | instid1(VALU_DEP_1)
	v_sub_f32_e32 v7, v8, v7
	v_dual_fmamk_f32 v1, v1, 0xb102e308, v10 :: v_dual_sub_f32 v2, v2, v7
	s_delay_alu instid0(VALU_DEP_1) | instskip(NEXT) | instid1(VALU_DEP_1)
	v_add_f32_e32 v6, v11, v1
	v_add_f32_e32 v9, v6, v8
	s_delay_alu instid0(VALU_DEP_1) | instskip(NEXT) | instid1(VALU_DEP_1)
	v_dual_sub_f32 v11, v6, v11 :: v_dual_sub_f32 v10, v9, v6
	v_sub_f32_e32 v12, v9, v10
	s_delay_alu instid0(VALU_DEP_2) | instskip(NEXT) | instid1(VALU_DEP_2)
	v_sub_f32_e32 v1, v1, v11
	v_dual_sub_f32 v7, v8, v10 :: v_dual_sub_f32 v6, v6, v12
	s_delay_alu instid0(VALU_DEP_2) | instskip(NEXT) | instid1(VALU_DEP_2)
	v_add_f32_e32 v8, v1, v2
	v_add_f32_e32 v6, v7, v6
	s_delay_alu instid0(VALU_DEP_1) | instskip(NEXT) | instid1(VALU_DEP_1)
	v_add_f32_e32 v6, v8, v6
	v_dual_sub_f32 v7, v8, v1 :: v_dual_add_f32 v10, v9, v6
	s_delay_alu instid0(VALU_DEP_1) | instskip(SKIP_1) | instid1(VALU_DEP_3)
	v_sub_f32_e32 v8, v8, v7
	v_sub_f32_e32 v2, v2, v7
	;; [unrolled: 1-line block ×3, first 2 shown]
	s_delay_alu instid0(VALU_DEP_3) | instskip(NEXT) | instid1(VALU_DEP_1)
	v_sub_f32_e32 v1, v1, v8
	v_add_f32_e32 v1, v2, v1
	s_delay_alu instid0(VALU_DEP_3) | instskip(NEXT) | instid1(VALU_DEP_1)
	v_sub_f32_e32 v2, v6, v7
	v_add_f32_e32 v1, v1, v2
	s_delay_alu instid0(VALU_DEP_1) | instskip(NEXT) | instid1(VALU_DEP_1)
	v_add_f32_e32 v2, v10, v1
	v_mul_f32_e32 v7, v4, v2
	v_sub_f32_e32 v6, v2, v10
	s_delay_alu instid0(VALU_DEP_2) | instskip(NEXT) | instid1(VALU_DEP_2)
	v_fma_f32 v2, v4, v2, -v7
	v_sub_f32_e32 v1, v1, v6
	v_cmp_class_f32_e64 s2, v7, 0x204
	s_delay_alu instid0(VALU_DEP_2) | instskip(NEXT) | instid1(VALU_DEP_1)
	v_fmac_f32_e32 v2, v4, v1
	v_add_f32_e32 v1, v7, v2
	s_delay_alu instid0(VALU_DEP_1) | instskip(NEXT) | instid1(VALU_DEP_1)
	v_cndmask_b32_e64 v6, v1, v7, s2
	v_cmp_eq_f32_e64 s2, 0x42b17218, v6
	s_delay_alu instid0(VALU_DEP_1) | instskip(SKIP_1) | instid1(VALU_DEP_2)
	v_cndmask_b32_e64 v8, 0, 0x37000000, s2
	v_cmp_neq_f32_e64 s2, 0x7f800000, |v6|
	v_sub_f32_e32 v9, v6, v8
	v_trunc_f32_e32 v6, v4
	s_delay_alu instid0(VALU_DEP_2) | instskip(NEXT) | instid1(VALU_DEP_1)
	v_mul_f32_e32 v10, 0x3fb8aa3b, v9
	v_fma_f32 v11, 0x3fb8aa3b, v9, -v10
	v_rndne_f32_e32 v12, v10
	s_delay_alu instid0(VALU_DEP_1) | instskip(NEXT) | instid1(VALU_DEP_1)
	v_dual_fmamk_f32 v11, v9, 0x32a5705f, v11 :: v_dual_sub_f32 v10, v10, v12
	v_add_f32_e32 v10, v10, v11
	v_sub_f32_e32 v1, v1, v7
	v_cvt_i32_f32_e32 v7, v12
	s_delay_alu instid0(VALU_DEP_3) | instskip(NEXT) | instid1(VALU_DEP_2)
	v_exp_f32_e32 v10, v10
	v_sub_f32_e32 v1, v2, v1
	s_delay_alu instid0(VALU_DEP_1)
	v_cndmask_b32_e64 v1, 0, v1, s2
	v_cmp_ngt_f32_e64 s2, 0xc2ce8ed0, v9
	s_waitcnt_depctr 0xfff
	v_ldexp_f32 v2, v10, v7
	v_mul_f32_e32 v7, 0.5, v4
	v_add_f32_e32 v1, v8, v1
	s_delay_alu instid0(VALU_DEP_3) | instskip(NEXT) | instid1(VALU_DEP_3)
	v_cndmask_b32_e64 v2, 0, v2, s2
	v_trunc_f32_e32 v10, v7
	v_cmp_nlt_f32_e64 s2, 0x42b17218, v9
	s_delay_alu instid0(VALU_DEP_2) | instskip(NEXT) | instid1(VALU_DEP_2)
	v_cmp_neq_f32_e64 s3, v10, v7
	v_cndmask_b32_e64 v2, 0x7f800000, v2, s2
	v_cmp_eq_f32_e64 s2, v6, v4
	s_delay_alu instid0(VALU_DEP_2) | instskip(NEXT) | instid1(VALU_DEP_2)
	v_fma_f32 v1, v2, v1, v2
	s_and_b32 vcc_lo, s2, s3
	v_cmp_class_f32_e64 s3, v2, 0x204
	v_cndmask_b32_e32 v6, 1.0, v3, vcc_lo
	s_delay_alu instid0(VALU_DEP_2) | instskip(SKIP_1) | instid1(VALU_DEP_2)
	v_cndmask_b32_e64 v1, v1, v2, s3
	v_cmp_gt_f32_e64 s3, 0, v4
	v_bfi_b32 v1, 0x7fffffff, v1, v6
	s_delay_alu instid0(VALU_DEP_2)
	s_xor_b32 s3, s3, s4
	v_cndmask_b32_e32 v6, 0, v3, vcc_lo
	v_cndmask_b32_e64 v2, 0x7f800000, 0, s3
	v_cmp_eq_f32_e32 vcc_lo, 0x7f800000, v5
	v_cndmask_b32_e64 v4, 0x7fc00000, v1, s2
	v_cmp_gt_f32_e64 s2, 0, v3
	s_delay_alu instid0(VALU_DEP_4) | instskip(SKIP_1) | instid1(VALU_DEP_2)
	v_bfi_b32 v2, 0x7fffffff, v2, v6
	s_or_b32 vcc_lo, vcc_lo, s4
	v_cndmask_b32_e64 v1, v1, v4, s2
	s_delay_alu instid0(VALU_DEP_1) | instskip(SKIP_1) | instid1(VALU_DEP_2)
	v_cndmask_b32_e32 v1, v1, v2, vcc_lo
	v_cmp_o_f32_e32 vcc_lo, v3, v3
	v_cndmask_b32_e32 v44, 0x7fc00000, v1, vcc_lo
.LBB14_2:
	s_load_b512 s[16:31], s[0:1], 0x0
	v_bfe_u32 v41, v0, 10, 10
	v_and_b32_e32 v42, 0x3ff, v0
	v_mbcnt_lo_u32_b32 v43, -1, 0
	s_mul_hi_u32 s43, s33, s7
	s_mul_hi_u32 s10, s42, s5
	s_waitcnt lgkmcnt(0)
	v_cmp_eq_u32_e64 s2, 0, v41
	s_delay_alu instid0(VALU_DEP_1)
	s_and_saveexec_b32 s7, s2
	s_cbranch_execz .LBB14_7
; %bb.3:
	s_load_b128 s[44:47], s[0:1], 0x70
	v_lshlrev_b32_e32 v0, 4, v42
	v_xor_b32_e32 v10, 2, v43
	v_xor_b32_e32 v11, 1, v43
	s_waitcnt lgkmcnt(0)
	s_mul_i32 s3, s12, s46
	s_mul_i32 s4, s13, s44
	;; [unrolled: 1-line block ×3, first 2 shown]
	s_add_i32 s3, s3, s4
	s_delay_alu instid0(SALU_CYCLE_1) | instskip(NEXT) | instid1(SALU_CYCLE_1)
	s_add_i32 s3, s3, s5
	s_ashr_i32 s5, s3, 31
	s_add_u32 s4, s16, s3
	s_addc_u32 s5, s17, s5
	global_load_b128 v[6:9], v0, s[4:5]
	v_xor_b32_e32 v0, 4, v43
	s_delay_alu instid0(VALU_DEP_1) | instskip(SKIP_4) | instid1(VALU_DEP_4)
	v_cmp_gt_i32_e32 vcc_lo, 32, v0
	v_cndmask_b32_e32 v0, v43, v0, vcc_lo
	v_cmp_gt_i32_e32 vcc_lo, 32, v10
	v_cndmask_b32_e32 v10, v43, v10, vcc_lo
	v_cmp_gt_i32_e32 vcc_lo, 32, v11
	v_dual_cndmask_b32 v11, v43, v11 :: v_dual_lshlrev_b32 v0, 2, v0
	s_delay_alu instid0(VALU_DEP_1) | instskip(SKIP_4) | instid1(VALU_DEP_3)
	v_lshlrev_b32_e32 v11, 2, v11
	s_waitcnt vmcnt(0)
	v_mul_f32_e32 v1, s8, v6
	v_dual_mul_f32 v3, s8, v7 :: v_dual_mul_f32 v6, s8, v8
	v_mul_f32_e32 v5, s8, v9
	v_max_f32_e64 v2, |v1|, |v1|
	v_fma_f32 v7, s8, v7, v1
	v_lshlrev_b32_e32 v10, 2, v10
	s_delay_alu instid0(VALU_DEP_3) | instskip(NEXT) | instid1(VALU_DEP_3)
	v_max_f32_e64 v2, v2, |v3|
	v_fmac_f32_e32 v7, s8, v8
	s_delay_alu instid0(VALU_DEP_2) | instskip(NEXT) | instid1(VALU_DEP_2)
	v_max3_f32 v2, v2, |v6|, |v5|
	v_fmac_f32_e32 v7, s8, v9
	s_mov_b32 s8, exec_lo
	ds_bpermute_b32 v4, v0, v2
	ds_bpermute_b32 v0, v0, v7
	s_waitcnt lgkmcnt(1)
	v_max_f32_e32 v4, v4, v4
	s_waitcnt lgkmcnt(0)
	v_add_f32_e32 v0, v7, v0
	s_delay_alu instid0(VALU_DEP_2) | instskip(SKIP_4) | instid1(VALU_DEP_1)
	v_max_f32_e32 v2, v2, v4
	ds_bpermute_b32 v7, v10, v0
	ds_bpermute_b32 v4, v10, v2
	s_waitcnt lgkmcnt(0)
	v_max_f32_e32 v4, v4, v4
	v_max_f32_e32 v2, v2, v4
	ds_bpermute_b32 v4, v11, v2
	s_waitcnt lgkmcnt(0)
	v_max_f32_e32 v4, v4, v4
	s_delay_alu instid0(VALU_DEP_1) | instskip(NEXT) | instid1(VALU_DEP_1)
	v_max_f32_e32 v8, v2, v4
	v_div_scale_f32 v4, null, 0x42fe0000, 0x42fe0000, v8
	v_div_scale_f32 v10, vcc_lo, v8, 0x42fe0000, v8
	s_delay_alu instid0(VALU_DEP_2) | instskip(SKIP_2) | instid1(VALU_DEP_1)
	v_rcp_f32_e32 v9, v4
	s_waitcnt_depctr 0xfff
	v_fma_f32 v2, -v4, v9, 1.0
	v_fmac_f32_e32 v9, v2, v9
	s_delay_alu instid0(VALU_DEP_1) | instskip(NEXT) | instid1(VALU_DEP_1)
	v_mul_f32_e32 v12, v10, v9
	v_fma_f32 v2, -v4, v12, v10
	s_delay_alu instid0(VALU_DEP_1) | instskip(SKIP_1) | instid1(VALU_DEP_2)
	v_fmac_f32_e32 v12, v2, v9
	v_dual_add_f32 v2, v0, v7 :: v_dual_mov_b32 v7, 0
	v_fma_f32 v0, -v4, v12, v10
	ds_bpermute_b32 v4, v11, v2
	v_div_fmas_f32 v0, v0, v9, v12
	s_delay_alu instid0(VALU_DEP_1) | instskip(NEXT) | instid1(VALU_DEP_1)
	v_div_fixup_f32 v0, v0, 0x42fe0000, v8
	v_cmpx_neq_f32_e32 0, v0
	s_cbranch_execz .LBB14_5
; %bb.4:
	v_div_scale_f32 v7, null, v0, v0, v1
	v_div_scale_f32 v8, null, v0, v0, v3
	;; [unrolled: 1-line block ×3, first 2 shown]
	s_delay_alu instid0(VALU_DEP_3) | instskip(SKIP_1) | instid1(VALU_DEP_3)
	v_rcp_f32_e32 v9, v7
	v_div_scale_f32 v11, null, v0, v0, v5
	v_rcp_f32_e32 v12, v8
	s_delay_alu instid0(VALU_DEP_2) | instskip(SKIP_1) | instid1(VALU_DEP_2)
	v_rcp_f32_e32 v13, v10
	v_div_scale_f32 v17, vcc_lo, v1, v0, v1
	v_rcp_f32_e32 v14, v11
	v_fma_f32 v15, -v7, v9, 1.0
	s_delay_alu instid0(TRANS32_DEP_3)
	v_fma_f32 v16, -v8, v12, 1.0
	s_waitcnt_depctr 0xfff
	v_fma_f32 v18, -v10, v13, 1.0
	v_fmac_f32_e32 v9, v15, v9
	v_div_scale_f32 v15, s3, v3, v0, v3
	v_fmac_f32_e32 v12, v16, v12
	v_fma_f32 v19, -v11, v14, 1.0
	v_fmac_f32_e32 v13, v18, v13
	v_div_scale_f32 v16, s4, v6, v0, v6
	s_delay_alu instid0(VALU_DEP_4) | instskip(NEXT) | instid1(VALU_DEP_4)
	v_mul_f32_e32 v20, v15, v12
	v_dual_fmac_f32 v14, v19, v14 :: v_dual_mul_f32 v19, v17, v9
	v_div_scale_f32 v18, s5, v5, v0, v5
	s_delay_alu instid0(VALU_DEP_4) | instskip(NEXT) | instid1(VALU_DEP_4)
	v_mul_f32_e32 v21, v16, v13
	v_fma_f32 v24, -v8, v20, v15
	s_delay_alu instid0(VALU_DEP_4) | instskip(NEXT) | instid1(VALU_DEP_4)
	v_fma_f32 v23, -v7, v19, v17
	v_mul_f32_e32 v22, v18, v14
	s_delay_alu instid0(VALU_DEP_4) | instskip(NEXT) | instid1(VALU_DEP_3)
	v_fma_f32 v25, -v10, v21, v16
	v_dual_fmac_f32 v20, v24, v12 :: v_dual_fmac_f32 v19, v23, v9
	s_delay_alu instid0(VALU_DEP_3) | instskip(NEXT) | instid1(VALU_DEP_3)
	v_fma_f32 v26, -v11, v22, v18
	v_fmac_f32_e32 v21, v25, v13
	s_delay_alu instid0(VALU_DEP_3) | instskip(NEXT) | instid1(VALU_DEP_4)
	v_fma_f32 v8, -v8, v20, v15
	v_fma_f32 v7, -v7, v19, v17
	s_delay_alu instid0(VALU_DEP_4) | instskip(NEXT) | instid1(VALU_DEP_4)
	v_fmac_f32_e32 v22, v26, v14
	v_fma_f32 v10, -v10, v21, v16
	s_delay_alu instid0(VALU_DEP_3) | instskip(SKIP_3) | instid1(VALU_DEP_2)
	v_div_fmas_f32 v7, v7, v9, v19
	s_mov_b32 vcc_lo, s3
	v_div_fmas_f32 v8, v8, v12, v20
	s_mov_b32 vcc_lo, s4
	v_div_fixup_f32 v1, v7, v0, v1
	v_div_fmas_f32 v9, v10, v13, v21
	v_fma_f32 v10, -v11, v22, v18
	s_mov_b32 vcc_lo, s5
	v_div_fixup_f32 v3, v8, v0, v3
	v_trunc_f32_e32 v12, v1
	v_div_fixup_f32 v6, v9, v0, v6
	v_div_fmas_f32 v9, v10, v14, v22
	s_delay_alu instid0(VALU_DEP_2) | instskip(NEXT) | instid1(VALU_DEP_2)
	v_trunc_f32_e32 v8, v6
	v_div_fixup_f32 v5, v9, v0, v5
	v_trunc_f32_e32 v9, v3
	s_delay_alu instid0(VALU_DEP_3) | instskip(NEXT) | instid1(VALU_DEP_3)
	v_sub_f32_e32 v10, v6, v8
	v_trunc_f32_e32 v7, v5
	s_delay_alu instid0(VALU_DEP_3) | instskip(NEXT) | instid1(VALU_DEP_3)
	v_sub_f32_e32 v11, v3, v9
	v_cmp_ge_f32_e64 s3, |v10|, 0.5
	s_delay_alu instid0(VALU_DEP_1) | instskip(NEXT) | instid1(VALU_DEP_3)
	v_cndmask_b32_e64 v10, 0, 1.0, s3
	v_cmp_ge_f32_e64 s3, |v11|, 0.5
	s_delay_alu instid0(VALU_DEP_2) | instskip(SKIP_1) | instid1(VALU_DEP_3)
	v_bfi_b32 v6, 0x7fffffff, v10, v6
	v_sub_f32_e32 v13, v5, v7
	v_cndmask_b32_e64 v11, 0, 1.0, s3
	s_delay_alu instid0(VALU_DEP_3) | instskip(NEXT) | instid1(VALU_DEP_3)
	v_add_f32_e32 v6, v8, v6
	v_cmp_ge_f32_e64 s3, |v13|, 0.5
	s_delay_alu instid0(VALU_DEP_3) | instskip(NEXT) | instid1(VALU_DEP_3)
	v_bfi_b32 v3, 0x7fffffff, v11, v3
	v_cvt_i32_f32_e32 v6, v6
	s_delay_alu instid0(VALU_DEP_3) | instskip(NEXT) | instid1(VALU_DEP_2)
	v_cndmask_b32_e64 v13, 0, 1.0, s3
	v_dual_add_f32 v3, v9, v3 :: v_dual_and_b32 v6, 0xff, v6
	s_delay_alu instid0(VALU_DEP_2) | instskip(SKIP_1) | instid1(VALU_DEP_3)
	v_bfi_b32 v5, 0x7fffffff, v13, v5
	v_sub_f32_e32 v10, v1, v12
	v_cvt_i32_f32_e32 v3, v3
	s_delay_alu instid0(VALU_DEP_3) | instskip(NEXT) | instid1(VALU_DEP_3)
	v_dual_add_f32 v5, v7, v5 :: v_dual_lshlrev_b32 v6, 16, v6
	v_cmp_ge_f32_e64 s3, |v10|, 0.5
	s_delay_alu instid0(VALU_DEP_3) | instskip(NEXT) | instid1(VALU_DEP_3)
	v_and_b32_e32 v3, 0xff, v3
	v_cvt_i32_f32_e32 v5, v5
	s_delay_alu instid0(VALU_DEP_3) | instskip(NEXT) | instid1(VALU_DEP_3)
	v_cndmask_b32_e64 v8, 0, 1.0, s3
	v_lshlrev_b32_e32 v3, 8, v3
	s_delay_alu instid0(VALU_DEP_3) | instskip(NEXT) | instid1(VALU_DEP_3)
	v_lshl_or_b32 v5, v5, 24, v6
	v_bfi_b32 v1, 0x7fffffff, v8, v1
	s_delay_alu instid0(VALU_DEP_1) | instskip(NEXT) | instid1(VALU_DEP_1)
	v_add_f32_e32 v1, v12, v1
	v_cvt_i32_f32_e32 v1, v1
	s_delay_alu instid0(VALU_DEP_1) | instskip(NEXT) | instid1(VALU_DEP_1)
	v_and_b32_e32 v1, 0xff, v1
	v_or3_b32 v7, v5, v3, v1
.LBB14_5:
	s_or_b32 exec_lo, exec_lo, s8
	v_and_b32_e32 v1, 7, v42
	v_lshlrev_b32_e32 v3, 2, v42
	s_delay_alu instid0(VALU_DEP_2)
	v_cmp_eq_u32_e32 vcc_lo, 0, v1
	ds_store_b32 v3, v7
	s_and_b32 exec_lo, exec_lo, vcc_lo
	s_cbranch_execz .LBB14_7
; %bb.6:
	s_waitcnt lgkmcnt(1)
	v_add_f32_e32 v1, v2, v4
	ds_store_b64 v42, v[0:1] offset:128
.LBB14_7:
	s_or_b32 exec_lo, exec_lo, s7
	v_and_b32_e32 v9, 1, v42
	s_waitcnt lgkmcnt(0)
	s_barrier
	buffer_gl0_inv
	s_ashr_i32 s37, s36, 31
	v_dual_mov_b32 v197, 0 :: v_dual_lshlrev_b32 v48, 2, v9
	s_ashr_i32 s3, s6, 31
	s_ashr_i32 s44, s12, 31
	s_cmp_eq_u64 s[26:27], 0
	ds_load_2addr_b32 v[23:24], v48 offset1:2
	ds_load_2addr_b32 v[25:26], v48 offset0:4 offset1:6
	ds_load_2addr_b32 v[27:28], v48 offset0:8 offset1:10
	;; [unrolled: 1-line block ×3, first 2 shown]
	ds_load_b128 v[0:3], v197 offset:128
	ds_load_b128 v[4:7], v197 offset:144
	ds_load_2addr_b32 v[31:32], v48 offset0:16 offset1:18
	ds_load_2addr_b32 v[33:34], v48 offset0:20 offset1:22
	;; [unrolled: 1-line block ×4, first 2 shown]
	s_waitcnt lgkmcnt(0)
	s_barrier
	buffer_gl0_inv
	s_cbranch_scc1 .LBB14_9
; %bb.8:
	s_load_b32 s4, s[0:1], 0xd0
	s_mov_b32 s5, 0
	s_waitcnt lgkmcnt(0)
	s_mul_i32 s4, s4, s12
	s_delay_alu instid0(SALU_CYCLE_1) | instskip(NEXT) | instid1(SALU_CYCLE_1)
	s_add_i32 s4, s4, s13
	s_lshl_b64 s[4:5], s[4:5], 2
	s_delay_alu instid0(SALU_CYCLE_1)
	s_add_u32 s4, s26, s4
	s_addc_u32 s5, s27, s5
	s_load_b32 s38, s[4:5], 0x0
.LBB14_9:
	v_dual_mov_b32 v199, 0 :: v_dual_lshlrev_b32 v8, 5, v41
	v_dual_mov_b32 v198, 0 :: v_dual_lshlrev_b32 v47, 2, v42
	s_lshl_b32 s8, s14, 7
	s_delay_alu instid0(VALU_DEP_2) | instskip(SKIP_3) | instid1(VALU_DEP_1)
	v_dual_mov_b32 v200, 0xfeffffff :: v_dual_add_nc_u32 v45, v8, v42
	s_waitcnt lgkmcnt(0)
	s_cmp_ge_i32 s8, s38
	s_mov_b32 s9, 0
	v_lshlrev_b32_e32 v46, 1, v45
	s_cbranch_scc1 .LBB14_17
; %bb.10:
	s_clause 0x2
	s_load_b128 s[4:7], s[0:1], 0x98
	s_load_b64 s[16:17], s[0:1], 0x8c
	s_load_b64 s[26:27], s[0:1], 0xa8
	s_mul_i32 s39, s43, s40
	s_xor_b32 s45, s37, s3
	s_sub_i32 s49, s33, s39
	s_add_i32 s46, s43, 1
	s_sub_i32 s50, s49, s40
	v_and_b32_e32 v10, 0x7e, v42
	v_bfe_u32 v12, v42, 3, 27
	s_mul_i32 s47, s10, s15
	s_mul_i32 s48, s13, s41
	s_clause 0x1
	s_load_b64 s[10:11], s[0:1], 0xc8
	s_load_b32 s41, s[0:1], 0xd4
	v_cmp_eq_u32_e64 s3, 0, v9
	v_add_nc_u32_e32 v9, v8, v10
	v_mul_hi_u32_u24_e32 v11, 20, v12
	v_mul_u32_u24_e32 v10, 20, v12
	v_and_b32_e32 v13, 12, v47
	v_add_nc_u32_e32 v69, 30, v8
	v_lshlrev_b32_e32 v18, 1, v9
	s_waitcnt lgkmcnt(0)
	s_mul_i32 s5, s12, s5
	s_mul_hi_u32 s39, s12, s4
	s_mul_i32 s51, s44, s4
	s_add_i32 s39, s39, s5
	s_mul_i32 s33, s12, s4
	s_add_i32 s39, s39, s51
	s_cmp_ge_u32 s49, s40
	s_mul_i32 s5, s12, s27
	s_cselect_b32 s4, s46, s43
	s_cselect_b32 s27, s50, s49
	s_add_i32 s43, s4, 1
	s_cmp_ge_u32 s27, s40
	v_mad_u64_u32 v[15:16], null, s12, s26, v[10:11]
	s_cselect_b32 s4, s43, s4
	s_sub_i32 s42, s42, s47
	s_xor_b32 s4, s4, s45
	s_mul_i32 s46, s44, s26
	s_sub_i32 s27, s4, s45
	s_sub_i32 s4, s42, s15
	s_mul_i32 s17, s27, s17
	s_mul_i32 s27, s27, s7
	s_ashr_i32 s26, s17, 31
	s_ashr_i32 s40, s27, 31
	s_cmp_ge_u32 s42, s15
	v_mul_lo_u32 v14, v8, s6
	s_cselect_b32 s4, s4, s42
	v_add3_u32 v16, s5, s46, v16
	s_sub_i32 s7, s4, s15
	s_cmp_ge_u32 s4, s15
	v_mul_lo_u32 v73, s6, v69
	s_cselect_b32 s4, s7, s4
	s_ashr_i32 s15, s48, 31
	s_xor_b32 s4, s4, s44
	v_ashrrev_i32_e32 v51, 31, v14
	s_sub_i32 s4, s4, s44
	v_add_nc_u32_e32 v19, s6, v14
	s_ashr_i32 s7, s4, 31
	s_mul_i32 s11, s4, s11
	s_mul_hi_u32 s42, s4, s10
	s_mul_i32 s7, s7, s10
	s_add_i32 s11, s42, s11
	s_mul_i32 s43, s4, s10
	s_add_i32 s47, s11, s7
	s_cmp_lg_u64 s[22:23], 0
	v_ashrrev_i32_e32 v66, 31, v19
	s_cselect_b32 s7, -1, 0
	s_lshl_b32 s4, s41, 7
	s_add_u32 s10, s18, s17
	s_addc_u32 s11, s19, s26
	s_add_u32 s41, s10, s33
	s_addc_u32 s42, s11, s39
	s_lshl_b64 s[44:45], s[8:9], 1
	v_add_nc_u32_e32 v65, s6, v19
	s_add_u32 s43, s43, s44
	s_addc_u32 s44, s47, s45
	s_add_u32 s22, s22, s48
	s_addc_u32 s15, s23, s15
	;; [unrolled: 2-line block ×3, first 2 shown]
	v_add_co_u32 v10, s22, s22, v18
	s_delay_alu instid0(VALU_DEP_1) | instskip(SKIP_1) | instid1(VALU_DEP_3)
	v_add_co_ci_u32_e64 v11, null, s15, 0, s22
	v_ashrrev_i32_e32 v70, 31, v65
	v_add_co_u32 v39, vcc_lo, v10, 2
	s_delay_alu instid0(VALU_DEP_3) | instskip(SKIP_4) | instid1(VALU_DEP_4)
	v_add_co_ci_u32_e32 v40, vcc_lo, 0, v11, vcc_lo
	v_add_co_u32 v18, vcc_lo, v15, v13
	v_add_co_ci_u32_e32 v55, vcc_lo, 0, v16, vcc_lo
	v_add_co_u32 v10, vcc_lo, v15, v14
	;; [unrolled: 2-line block ×3, first 2 shown]
	s_delay_alu instid0(VALU_DEP_4) | instskip(SKIP_4) | instid1(VALU_DEP_4)
	v_add_co_ci_u32_e32 v14, vcc_lo, v55, v51, vcc_lo
	v_add_co_u32 v51, vcc_lo, v15, s27
	v_add_co_ci_u32_e32 v52, vcc_lo, s40, v16, vcc_lo
	v_add_co_u32 v54, vcc_lo, v18, s27
	;; [unrolled: 2-line block ×3, first 2 shown]
	s_delay_alu instid0(VALU_DEP_4) | instskip(NEXT) | instid1(VALU_DEP_4)
	v_add_co_ci_u32_e32 v16, vcc_lo, v52, v66, vcc_lo
	v_add_co_u32 v18, vcc_lo, v54, v19
	v_dual_add_f32 v3, v3, v3 :: v_dual_add_nc_u32 v56, s6, v65
	v_add_co_ci_u32_e32 v19, vcc_lo, v55, v66, vcc_lo
	v_add_co_u32 v67, vcc_lo, v51, v65
	v_add_co_ci_u32_e32 v68, vcc_lo, v52, v70, vcc_lo
	v_add_co_u32 v69, vcc_lo, v54, v65
	v_ashrrev_i32_e32 v108, 31, v56
	v_add_nc_u32_e32 v57, s6, v56
	v_add_co_ci_u32_e32 v70, vcc_lo, v55, v70, vcc_lo
	v_add_co_u32 v110, vcc_lo, v51, v56
	s_delay_alu instid0(VALU_DEP_4) | instskip(NEXT) | instid1(VALU_DEP_4)
	v_add_co_ci_u32_e32 v111, vcc_lo, v52, v108, vcc_lo
	v_ashrrev_i32_e32 v62, 31, v57
	v_add_co_u32 v112, vcc_lo, v54, v56
	v_add_nc_u32_e32 v58, s6, v57
	v_add_co_ci_u32_e32 v108, vcc_lo, v55, v108, vcc_lo
	v_add_co_u32 v113, vcc_lo, v51, v57
	v_add_co_ci_u32_e32 v114, vcc_lo, v52, v62, vcc_lo
	s_delay_alu instid0(VALU_DEP_4)
	v_ashrrev_i32_e32 v61, 31, v58
	v_add_co_u32 v115, vcc_lo, v54, v57
	v_add_nc_u32_e32 v59, s6, v58
	v_add_co_ci_u32_e32 v116, vcc_lo, v55, v62, vcc_lo
	v_add_co_u32 v117, vcc_lo, v51, v58
	v_dual_add_f32 v5, v5, v5 :: v_dual_add_nc_u32 v66, 31, v8
	v_add_co_ci_u32_e32 v118, vcc_lo, v52, v61, vcc_lo
	v_ashrrev_i32_e32 v63, 31, v59
	v_add_co_u32 v119, vcc_lo, v54, v58
	v_add_nc_u32_e32 v60, s6, v59
	v_add_co_ci_u32_e32 v120, vcc_lo, v55, v61, vcc_lo
	v_add_co_u32 v121, vcc_lo, v51, v59
	v_mul_lo_u32 v66, s6, v66
	v_add_co_ci_u32_e32 v122, vcc_lo, v52, v63, vcc_lo
	v_ashrrev_i32_e32 v64, 31, v60
	v_add_co_u32 v123, vcc_lo, v54, v59
	v_add_co_ci_u32_e32 v124, vcc_lo, v55, v63, vcc_lo
	v_add_co_u32 v125, vcc_lo, v51, v60
	v_add_nc_u32_e32 v71, 29, v8
	v_add_co_ci_u32_e32 v126, vcc_lo, v52, v64, vcc_lo
	v_ashrrev_i32_e32 v65, 31, v66
	v_add_co_u32 v127, vcc_lo, v54, v60
	v_add_co_ci_u32_e32 v128, vcc_lo, v55, v64, vcc_lo
	v_add_co_u32 v129, vcc_lo, v54, v66
	v_mul_lo_u32 v71, s6, v71
	v_add_nc_u32_e32 v72, 28, v8
	v_add_co_ci_u32_e32 v130, vcc_lo, v55, v65, vcc_lo
	v_ashrrev_i32_e32 v76, 31, v73
	v_add_co_u32 v131, vcc_lo, v51, v66
	v_add_co_ci_u32_e32 v132, vcc_lo, v52, v65, vcc_lo
	v_add_co_u32 v133, vcc_lo, v54, v73
	v_mul_lo_u32 v72, s6, v72
	v_add_nc_u32_e32 v74, 27, v8
	v_add_co_ci_u32_e32 v134, vcc_lo, v55, v76, vcc_lo
	v_ashrrev_i32_e32 v77, 31, v71
	v_add_co_u32 v135, vcc_lo, v51, v73
	v_add_co_ci_u32_e32 v136, vcc_lo, v52, v76, vcc_lo
	v_add_co_u32 v137, vcc_lo, v54, v71
	v_mul_lo_u32 v74, s6, v74
	v_add_nc_u32_e32 v75, 26, v8
	v_add_co_ci_u32_e32 v138, vcc_lo, v55, v77, vcc_lo
	v_ashrrev_i32_e32 v79, 31, v72
	v_add_co_u32 v139, vcc_lo, v51, v71
	v_add_co_ci_u32_e32 v140, vcc_lo, v52, v77, vcc_lo
	v_add_co_u32 v141, vcc_lo, v54, v72
	v_mul_lo_u32 v75, s6, v75
	v_dual_add_f32 v1, v1, v1 :: v_dual_add_nc_u32 v12, s6, v60
	v_add_nc_u32_e32 v78, 25, v8
	v_add_co_ci_u32_e32 v142, vcc_lo, v55, v79, vcc_lo
	v_ashrrev_i32_e32 v82, 31, v74
	v_add_co_u32 v143, vcc_lo, v51, v72
	v_add_co_ci_u32_e32 v144, vcc_lo, v52, v79, vcc_lo
	v_add_co_u32 v145, vcc_lo, v54, v74
	v_add_nc_u32_e32 v17, s6, v12
	v_mul_lo_u32 v78, s6, v78
	v_add_nc_u32_e32 v80, 24, v8
	v_add_co_ci_u32_e32 v146, vcc_lo, v55, v82, vcc_lo
	v_ashrrev_i32_e32 v83, 31, v75
	v_add_co_u32 v147, vcc_lo, v51, v74
	v_add_co_ci_u32_e32 v148, vcc_lo, v52, v82, vcc_lo
	v_add_nc_u32_e32 v20, s6, v17
	v_add_co_u32 v149, vcc_lo, v54, v75
	v_mul_lo_u32 v80, s6, v80
	v_add_nc_u32_e32 v81, 23, v8
	v_add_co_ci_u32_e32 v150, vcc_lo, v55, v83, vcc_lo
	v_ashrrev_i32_e32 v90, 31, v78
	v_add_co_u32 v151, vcc_lo, v51, v75
	v_add_nc_u32_e32 v21, s6, v20
	v_add_co_ci_u32_e32 v152, vcc_lo, v52, v83, vcc_lo
	v_add_co_u32 v153, vcc_lo, v54, v78
	v_mul_lo_u32 v81, s6, v81
	v_add_nc_u32_e32 v84, 22, v8
	v_add_co_ci_u32_e32 v154, vcc_lo, v55, v90, vcc_lo
	v_ashrrev_i32_e32 v91, 31, v80
	v_add_co_u32 v155, vcc_lo, v51, v78
	v_add_nc_u32_e32 v22, s6, v21
	v_add_co_ci_u32_e32 v156, vcc_lo, v52, v90, vcc_lo
	v_add_co_u32 v157, vcc_lo, v54, v80
	v_mul_lo_u32 v84, s6, v84
	v_add_nc_u32_e32 v85, 21, v8
	v_add_co_ci_u32_e32 v158, vcc_lo, v55, v91, vcc_lo
	v_add_nc_u32_e32 v49, s6, v22
	v_ashrrev_i32_e32 v92, 31, v81
	v_add_co_u32 v159, vcc_lo, v51, v80
	v_add_co_ci_u32_e32 v160, vcc_lo, v52, v91, vcc_lo
	v_add_co_u32 v161, vcc_lo, v54, v81
	v_mul_lo_u32 v85, s6, v85
	v_add_nc_u32_e32 v50, s6, v49
	v_add_nc_u32_e32 v86, 20, v8
	v_add_co_ci_u32_e32 v162, vcc_lo, v55, v92, vcc_lo
	v_ashrrev_i32_e32 v94, 31, v84
	v_add_co_u32 v163, vcc_lo, v51, v81
	v_add_co_ci_u32_e32 v164, vcc_lo, v52, v92, vcc_lo
	v_add_co_u32 v165, vcc_lo, v54, v84
	v_add_nc_u32_e32 v53, s6, v50
	v_mul_lo_u32 v86, s6, v86
	v_add_nc_u32_e32 v88, 19, v8
	v_add_co_ci_u32_e32 v166, vcc_lo, v55, v94, vcc_lo
	v_ashrrev_i32_e32 v95, 31, v85
	v_add_co_u32 v167, vcc_lo, v51, v84
	v_add_co_ci_u32_e32 v168, vcc_lo, v52, v94, vcc_lo
	v_add_nc_u32_e32 v87, s6, v53
	v_add_co_u32 v169, vcc_lo, v54, v85
	v_mul_lo_u32 v88, s6, v88
	v_add_co_ci_u32_e32 v170, vcc_lo, v55, v95, vcc_lo
	v_ashrrev_i32_e32 v96, 31, v86
	v_add_co_u32 v171, vcc_lo, v51, v85
	v_add_nc_u32_e32 v89, s6, v87
	v_add_co_ci_u32_e32 v172, vcc_lo, v52, v95, vcc_lo
	v_add_co_u32 v173, vcc_lo, v54, v86
	v_add_co_ci_u32_e32 v174, vcc_lo, v55, v96, vcc_lo
	v_ashrrev_i32_e32 v97, 31, v88
	v_add_co_u32 v175, vcc_lo, v51, v86
	v_add_nc_u32_e32 v93, s6, v89
	v_add_co_ci_u32_e32 v176, vcc_lo, v52, v96, vcc_lo
	v_add_co_u32 v177, vcc_lo, v54, v88
	v_add_co_ci_u32_e32 v178, vcc_lo, v55, v97, vcc_lo
	s_delay_alu instid0(VALU_DEP_4) | instskip(SKIP_3) | instid1(VALU_DEP_4)
	v_ashrrev_i32_e32 v98, 31, v93
	v_add_co_u32 v179, vcc_lo, v51, v88
	v_add_co_ci_u32_e32 v180, vcc_lo, v52, v97, vcc_lo
	v_add_co_u32 v181, vcc_lo, v54, v93
	v_add_co_ci_u32_e32 v182, vcc_lo, v55, v98, vcc_lo
	v_ashrrev_i32_e32 v99, 31, v89
	v_add_co_u32 v183, vcc_lo, v51, v93
	v_add_co_ci_u32_e32 v184, vcc_lo, v52, v98, vcc_lo
	v_add_co_u32 v185, vcc_lo, v54, v89
	s_delay_alu instid0(VALU_DEP_4) | instskip(SKIP_4) | instid1(VALU_DEP_4)
	v_add_co_ci_u32_e32 v186, vcc_lo, v55, v99, vcc_lo
	v_ashrrev_i32_e32 v100, 31, v87
	v_add_co_u32 v187, vcc_lo, v51, v89
	v_add_co_ci_u32_e32 v188, vcc_lo, v52, v99, vcc_lo
	v_add_co_u32 v189, vcc_lo, v54, v87
	v_add_co_ci_u32_e32 v190, vcc_lo, v55, v100, vcc_lo
	v_ashrrev_i32_e32 v101, 31, v53
	v_add_co_u32 v191, vcc_lo, v51, v87
	v_add_co_ci_u32_e32 v192, vcc_lo, v52, v100, vcc_lo
	v_add_co_u32 v193, vcc_lo, v54, v53
	s_delay_alu instid0(VALU_DEP_4) | instskip(SKIP_4) | instid1(VALU_DEP_4)
	v_add_co_ci_u32_e32 v194, vcc_lo, v55, v101, vcc_lo
	;; [unrolled: 11-line block ×4, first 2 shown]
	v_ashrrev_i32_e32 v106, 31, v20
	v_add_co_u32 v21, vcc_lo, v51, v21
	v_add_co_ci_u32_e32 v210, vcc_lo, v52, v105, vcc_lo
	v_add_co_u32 v211, vcc_lo, v54, v20
	v_add_co_ci_u32_e32 v212, vcc_lo, v55, v106, vcc_lo
	v_ashrrev_i32_e32 v107, 31, v17
	v_add_co_u32 v20, vcc_lo, v51, v20
	v_add_co_ci_u32_e32 v213, vcc_lo, v52, v106, vcc_lo
	v_and_b32_e32 v49, 30, v43
	v_add_co_u32 v214, vcc_lo, v54, v17
	v_add_co_ci_u32_e32 v215, vcc_lo, v55, v107, vcc_lo
	v_ashrrev_i32_e32 v109, 31, v12
	v_add_co_u32 v17, vcc_lo, v51, v17
	v_add_nc_u32_e32 v49, 2, v49
	v_xor_b32_e32 v50, 1, v43
	v_add_co_ci_u32_e32 v216, vcc_lo, v52, v107, vcc_lo
	v_add_co_u32 v217, vcc_lo, v54, v12
	v_add_co_ci_u32_e32 v218, vcc_lo, v55, v109, vcc_lo
	s_delay_alu instid0(VALU_DEP_4)
	v_cmp_lt_i32_e32 vcc_lo, v50, v49
	v_xor_b32_e32 v53, 16, v43
	s_mov_b32 s5, s9
	v_add_co_u32 v73, s9, s33, v48
	v_cndmask_b32_e32 v49, v43, v50, vcc_lo
	v_xor_b32_e32 v50, 2, v43
	v_add_co_u32 v12, vcc_lo, v51, v12
	v_add_co_ci_u32_e32 v219, vcc_lo, v52, v109, vcc_lo
	v_xor_b32_e32 v51, 4, v43
	s_delay_alu instid0(VALU_DEP_4)
	v_cmp_gt_i32_e32 vcc_lo, 32, v50
	v_xor_b32_e32 v52, 8, v43
	v_add_co_ci_u32_e64 v74, null, s39, 0, s9
	v_lshlrev_b32_e32 v54, 1, v8
	v_cndmask_b32_e32 v50, v43, v50, vcc_lo
	v_cmp_gt_i32_e32 vcc_lo, 32, v51
	v_lshlrev_b32_e32 v49, 2, v49
	s_mul_i32 s15, s8, s6
	s_mul_i32 s6, s4, s6
	v_dual_cndmask_b32 v51, v43, v51 :: v_dual_lshlrev_b32 v50, 2, v50
	v_cmp_gt_i32_e32 vcc_lo, 32, v52
	s_delay_alu instid0(VALU_DEP_2) | instskip(SKIP_2) | instid1(VALU_DEP_3)
	v_dual_cndmask_b32 v52, v43, v52 :: v_dual_lshlrev_b32 v51, 2, v51
	v_mul_lo_u32 v9, v9, s16
	v_cmp_gt_i32_e32 vcc_lo, 32, v53
	v_dual_cndmask_b32 v53, v43, v53 :: v_dual_lshlrev_b32 v52, 2, v52
	s_delay_alu instid0(VALU_DEP_3) | instskip(NEXT) | instid1(VALU_DEP_2)
	v_add_nc_u32_e32 v57, s16, v9
	v_lshlrev_b32_e32 v53, 2, v53
	s_delay_alu instid0(VALU_DEP_2) | instskip(SKIP_1) | instid1(VALU_DEP_2)
	v_ashrrev_i32_e32 v58, 31, v57
	v_add_co_u32 v55, vcc_lo, v73, v57
	v_add_co_ci_u32_e32 v56, vcc_lo, v74, v58, vcc_lo
	s_delay_alu instid0(VALU_DEP_2) | instskip(NEXT) | instid1(VALU_DEP_2)
	v_add_co_u32 v55, vcc_lo, s10, v55
	v_add_co_ci_u32_e32 v56, vcc_lo, s11, v56, vcc_lo
	v_add_co_u32 v57, vcc_lo, s41, v57
	s_lshl_b64 s[10:11], s[4:5], 1
	s_add_u32 s5, s20, s27
	v_add_co_ci_u32_e32 v58, vcc_lo, s42, v58, vcc_lo
	s_addc_u32 s9, s21, s40
	v_add_co_u32 v8, vcc_lo, s5, v13
	v_add_co_ci_u32_e32 v13, vcc_lo, s9, v14, vcc_lo
	v_add_co_u32 v59, vcc_lo, s5, v10
	v_add_co_ci_u32_e32 v60, vcc_lo, s9, v11, vcc_lo
	s_delay_alu instid0(VALU_DEP_4) | instskip(NEXT) | instid1(VALU_DEP_4)
	v_add_co_u32 v61, vcc_lo, v8, 4
	v_add_co_ci_u32_e32 v62, vcc_lo, 0, v13, vcc_lo
	v_add_co_u32 v8, vcc_lo, v18, s20
	v_add_co_ci_u32_e32 v10, vcc_lo, s21, v19, vcc_lo
	v_add_co_u32 v63, vcc_lo, s20, v15
	v_add_co_ci_u32_e32 v64, vcc_lo, s21, v16, vcc_lo
	s_delay_alu instid0(VALU_DEP_4) | instskip(NEXT) | instid1(VALU_DEP_4)
	v_add_co_u32 v65, vcc_lo, v8, 4
	v_add_co_ci_u32_e32 v66, vcc_lo, 0, v10, vcc_lo
	;; [unrolled: 7-line block ×3, first 2 shown]
	v_add_co_u32 v71, vcc_lo, s20, v110
	v_add_co_ci_u32_e32 v72, vcc_lo, s21, v111, vcc_lo
	v_add_co_u32 v8, vcc_lo, v73, s17
	v_add_co_ci_u32_e32 v10, vcc_lo, s26, v74, vcc_lo
	v_ashrrev_i32_e32 v11, 31, v9
	v_add_co_u32 v13, vcc_lo, v112, s20
	v_add_co_ci_u32_e32 v14, vcc_lo, s21, v108, vcc_lo
	v_add_co_u32 v8, vcc_lo, v8, v9
	s_delay_alu instid0(VALU_DEP_4) | instskip(NEXT) | instid1(VALU_DEP_4)
	v_add_co_ci_u32_e32 v10, vcc_lo, v10, v11, vcc_lo
	v_add_co_u32 v73, vcc_lo, v13, 4
	s_delay_alu instid0(VALU_DEP_4) | instskip(NEXT) | instid1(VALU_DEP_4)
	v_add_co_ci_u32_e32 v74, vcc_lo, 0, v14, vcc_lo
	v_add_co_u32 v75, vcc_lo, s18, v8
	s_delay_alu instid0(VALU_DEP_4) | instskip(SKIP_4) | instid1(VALU_DEP_4)
	v_add_co_ci_u32_e32 v76, vcc_lo, s19, v10, vcc_lo
	v_add_co_u32 v8, vcc_lo, v115, s20
	v_add_co_ci_u32_e32 v10, vcc_lo, s21, v116, vcc_lo
	v_add_co_u32 v77, vcc_lo, s20, v113
	;; [unrolled: 2-line block ×3, first 2 shown]
	s_delay_alu instid0(VALU_DEP_4) | instskip(SKIP_4) | instid1(VALU_DEP_4)
	v_add_co_ci_u32_e32 v80, vcc_lo, 0, v10, vcc_lo
	v_add_co_u32 v8, vcc_lo, v119, s20
	v_add_co_ci_u32_e32 v10, vcc_lo, s21, v120, vcc_lo
	v_add_co_u32 v81, vcc_lo, s20, v117
	;; [unrolled: 2-line block ×3, first 2 shown]
	s_delay_alu instid0(VALU_DEP_4)
	v_add_co_ci_u32_e32 v84, vcc_lo, 0, v10, vcc_lo
	v_add_co_u32 v85, vcc_lo, s20, v121
	v_add_co_ci_u32_e32 v86, vcc_lo, s21, v122, vcc_lo
	s_add_u32 s5, s33, s17
	s_addc_u32 s9, s39, s26
	v_add_co_u32 v8, vcc_lo, v123, s20
	s_add_u32 s5, s18, s5
	v_add_co_ci_u32_e32 v10, vcc_lo, s21, v124, vcc_lo
	s_addc_u32 s9, s19, s9
	v_add_co_u32 v87, vcc_lo, s5, v9
	v_add_co_ci_u32_e32 v88, vcc_lo, s9, v11, vcc_lo
	v_add_co_u32 v89, vcc_lo, v8, 4
	v_add_co_ci_u32_e32 v90, vcc_lo, 0, v10, vcc_lo
	;; [unrolled: 2-line block ×5, first 2 shown]
	s_delay_alu instid0(VALU_DEP_4) | instskip(NEXT) | instid1(VALU_DEP_4)
	v_add_co_u32 v93, vcc_lo, v8, 4
	v_add_co_ci_u32_e32 v94, vcc_lo, 0, v9, vcc_lo
	s_delay_alu instid0(VALU_DEP_4) | instskip(NEXT) | instid1(VALU_DEP_4)
	v_add_co_u32 v95, vcc_lo, v10, 4
	v_add_co_ci_u32_e32 v96, vcc_lo, 0, v11, vcc_lo
	v_add_co_u32 v8, vcc_lo, v133, s20
	v_add_co_ci_u32_e32 v9, vcc_lo, s21, v134, vcc_lo
	v_add_co_u32 v97, vcc_lo, s20, v131
	v_add_co_ci_u32_e32 v98, vcc_lo, s21, v132, vcc_lo
	s_delay_alu instid0(VALU_DEP_4) | instskip(NEXT) | instid1(VALU_DEP_4)
	v_add_co_u32 v99, vcc_lo, v8, 4
	v_add_co_ci_u32_e32 v100, vcc_lo, 0, v9, vcc_lo
	v_add_co_u32 v8, vcc_lo, v137, s20
	v_add_co_ci_u32_e32 v9, vcc_lo, s21, v138, vcc_lo
	;; [unrolled: 7-line block ×18, first 2 shown]
	v_add_co_u32 v165, vcc_lo, s20, v199
	v_mov_b32_e32 v199, 0
	v_add_co_ci_u32_e32 v166, vcc_lo, s21, v200, vcc_lo
	v_add_co_u32 v167, vcc_lo, v8, 4
	v_add_co_ci_u32_e32 v168, vcc_lo, 0, v9, vcc_lo
	v_add_co_u32 v8, vcc_lo, v205, s20
	v_add_co_ci_u32_e32 v9, vcc_lo, s21, v206, vcc_lo
	v_add_co_u32 v169, vcc_lo, s20, v203
	v_add_co_ci_u32_e32 v170, vcc_lo, s21, v204, vcc_lo
	s_delay_alu instid0(VALU_DEP_4) | instskip(NEXT) | instid1(VALU_DEP_4)
	v_add_co_u32 v171, vcc_lo, v8, 4
	v_add_co_ci_u32_e32 v172, vcc_lo, 0, v9, vcc_lo
	v_add_co_u32 v8, vcc_lo, v208, s20
	v_add_co_ci_u32_e32 v9, vcc_lo, s21, v209, vcc_lo
	v_add_co_u32 v173, vcc_lo, s20, v22
	v_add_co_ci_u32_e32 v174, vcc_lo, s21, v207, vcc_lo
	s_delay_alu instid0(VALU_DEP_4) | instskip(NEXT) | instid1(VALU_DEP_4)
	v_add_co_u32 v175, vcc_lo, v8, 4
	v_add_co_ci_u32_e32 v176, vcc_lo, 0, v9, vcc_lo
	v_add_co_u32 v8, vcc_lo, v211, s20
	v_add_co_ci_u32_e32 v9, vcc_lo, s21, v212, vcc_lo
	v_add_co_u32 v177, vcc_lo, s20, v21
	;; [unrolled: 7-line block ×4, first 2 shown]
	v_add_co_ci_u32_e32 v186, vcc_lo, s21, v216, vcc_lo
	s_delay_alu instid0(VALU_DEP_4) | instskip(NEXT) | instid1(VALU_DEP_4)
	v_add_co_u32 v187, vcc_lo, v8, 4
	v_add_co_ci_u32_e32 v188, vcc_lo, 0, v9, vcc_lo
	v_add_co_u32 v189, vcc_lo, s20, v12
	v_add_co_ci_u32_e32 v190, vcc_lo, s21, v219, vcc_lo
	v_or_b32_e32 v191, 8, v48
	v_or_b32_e32 v192, 16, v48
	;; [unrolled: 1-line block ×3, first 2 shown]
	v_dual_add_f32 v194, v7, v7 :: v_dual_and_b32 v195, 4, v42
	v_dual_mov_b32 v198, 0 :: v_dual_mov_b32 v11, 0xfeffffff
	v_mov_b32_e32 v196, 0
	s_mul_i32 s5, s8, s16
	s_mul_i32 s9, s4, s16
.LBB14_11:                              ; =>This Inner Loop Header: Depth=1
	v_add_co_u32 v9, vcc_lo, v87, s5
	v_add_co_ci_u32_e32 v10, vcc_lo, 0, v88, vcc_lo
	v_add_co_u32 v7, vcc_lo, v75, s5
	v_add_co_ci_u32_e32 v8, vcc_lo, 0, v76, vcc_lo
	s_and_b32 vcc_lo, exec_lo, s7
	global_load_b32 v12, v[7:8], off offset:6
	s_clause 0x1
	global_load_b32 v13, v[9:10], off
	global_load_u16 v14, v[9:10], off offset:4
	s_waitcnt vmcnt(2)
	v_and_b32_e32 v17, 0xf0f0f0f, v12
	v_lshrrev_b32_e32 v12, 4, v12
	s_waitcnt vmcnt(0)
	v_perm_b32 v14, v13, v14, 0x1000706
	s_delay_alu instid0(VALU_DEP_2) | instskip(NEXT) | instid1(VALU_DEP_2)
	v_and_b32_e32 v12, 0xf0f0f0f, v12
	v_ashrrev_i32_e32 v15, v48, v14
	s_delay_alu instid0(VALU_DEP_1) | instskip(SKIP_3) | instid1(VALU_DEP_4)
	v_lshlrev_b32_e32 v16, 4, v15
	v_lshlrev_b32_e32 v18, 11, v15
	;; [unrolled: 1-line block ×4, first 2 shown]
	v_and_b32_e32 v16, 16, v16
	s_delay_alu instid0(VALU_DEP_4) | instskip(NEXT) | instid1(VALU_DEP_4)
	v_and_b32_e32 v18, 0x1000, v18
	v_and_b32_e32 v19, 0x100000, v19
	s_delay_alu instid0(VALU_DEP_4) | instskip(NEXT) | instid1(VALU_DEP_1)
	v_and_b32_e32 v15, 0x10000000, v15
	v_or3_b32 v15, v15, v17, v19
	v_ashrrev_i32_e32 v17, v191, v14
	s_delay_alu instid0(VALU_DEP_2)
	v_or3_b32 v15, v15, v16, v18
	global_load_b32 v16, v[7:8], off offset:14
	v_lshlrev_b32_e32 v18, 4, v17
	v_lshlrev_b32_e32 v20, 11, v17
	;; [unrolled: 1-line block ×4, first 2 shown]
	v_dot4_i32_iu8 v15, v15, v23, 0 neg_lo:[1,1,0]
	v_and_b32_e32 v18, 16, v18
	v_and_b32_e32 v20, 0x1000, v20
	;; [unrolled: 1-line block ×4, first 2 shown]
	v_cvt_f32_i32_e32 v15, v15
	s_delay_alu instid0(VALU_DEP_1) | instskip(NEXT) | instid1(VALU_DEP_1)
	v_fma_f32 v15, v0, v15, -v1
	v_fma_mix_f32 v15, v15, v13, 0 op_sel_hi:[0,1,0]
	s_waitcnt vmcnt(0)
	v_and_b32_e32 v19, 0xf0f0f0f, v16
	s_delay_alu instid0(VALU_DEP_1) | instskip(NEXT) | instid1(VALU_DEP_1)
	v_or3_b32 v17, v17, v19, v21
	v_or3_b32 v17, v17, v18, v20
	s_delay_alu instid0(VALU_DEP_1) | instskip(NEXT) | instid1(VALU_DEP_1)
	v_dot4_i32_iu8 v17, v17, v24, 0 neg_lo:[1,1,0]
	v_cvt_f32_i32_e32 v17, v17
	s_delay_alu instid0(VALU_DEP_1) | instskip(NEXT) | instid1(VALU_DEP_1)
	v_fma_f32 v17, v0, v17, -v1
	v_fma_mix_f32 v15, v17, v13, v15 op_sel_hi:[0,1,0]
	v_ashrrev_i32_e32 v17, v192, v14
	v_ashrrev_i32_e32 v14, v193, v14
	s_delay_alu instid0(VALU_DEP_2) | instskip(SKIP_3) | instid1(VALU_DEP_4)
	v_lshlrev_b32_e32 v18, 4, v17
	v_lshlrev_b32_e32 v19, 11, v17
	;; [unrolled: 1-line block ×4, first 2 shown]
	v_and_b32_e32 v18, 16, v18
	s_delay_alu instid0(VALU_DEP_4) | instskip(NEXT) | instid1(VALU_DEP_4)
	v_and_b32_e32 v19, 0x1000, v19
	v_and_b32_e32 v20, 0x100000, v20
	s_delay_alu instid0(VALU_DEP_4) | instskip(NEXT) | instid1(VALU_DEP_1)
	v_and_b32_e32 v17, 0x10000000, v17
	v_or3_b32 v12, v17, v12, v20
	v_lshlrev_b32_e32 v17, 11, v14
	s_delay_alu instid0(VALU_DEP_2) | instskip(SKIP_1) | instid1(VALU_DEP_3)
	v_or3_b32 v12, v12, v18, v19
	v_lshlrev_b32_e32 v18, 18, v14
	v_and_b32_e32 v17, 0x1000, v17
	s_delay_alu instid0(VALU_DEP_3) | instskip(NEXT) | instid1(VALU_DEP_3)
	v_dot4_i32_iu8 v12, v12, v25, 0 neg_lo:[1,1,0]
	v_and_b32_e32 v18, 0x100000, v18
	s_delay_alu instid0(VALU_DEP_2) | instskip(NEXT) | instid1(VALU_DEP_1)
	v_cvt_f32_i32_e32 v12, v12
	v_fma_f32 v12, v0, v12, -v1
	s_delay_alu instid0(VALU_DEP_1) | instskip(SKIP_3) | instid1(VALU_DEP_3)
	v_fma_mix_f32 v12, v12, v13, v15 op_sel_hi:[0,1,0]
	v_lshrrev_b32_e32 v15, 4, v16
	v_lshlrev_b32_e32 v16, 4, v14
	v_lshlrev_b32_e32 v14, 25, v14
	v_and_b32_e32 v15, 0xf0f0f0f, v15
	s_delay_alu instid0(VALU_DEP_3) | instskip(NEXT) | instid1(VALU_DEP_3)
	v_and_b32_e32 v16, 16, v16
	v_and_b32_e32 v14, 0x10000000, v14
	s_delay_alu instid0(VALU_DEP_1) | instskip(NEXT) | instid1(VALU_DEP_1)
	v_or3_b32 v14, v18, v14, v16
	v_or3_b32 v14, v14, v17, v15
	s_delay_alu instid0(VALU_DEP_1) | instskip(NEXT) | instid1(VALU_DEP_1)
	v_dot4_i32_iu8 v14, v14, v26, 0 neg_lo:[1,1,0]
	v_cvt_f32_i32_e32 v14, v14
	s_delay_alu instid0(VALU_DEP_1) | instskip(NEXT) | instid1(VALU_DEP_1)
	v_fma_f32 v14, v0, v14, -v1
	v_fma_mix_f32 v12, v14, v13, v12 op_sel_hi:[0,1,0]
	global_load_b32 v13, v[7:8], off offset:28
	s_clause 0x1
	global_load_b32 v14, v[9:10], off offset:22
	global_load_u16 v15, v[9:10], off offset:26
	s_waitcnt vmcnt(2)
	v_and_b32_e32 v18, 0xf0f0f0f, v13
	v_lshrrev_b32_e32 v13, 4, v13
	s_waitcnt vmcnt(0)
	v_perm_b32 v15, v14, v15, 0x1000706
	s_delay_alu instid0(VALU_DEP_2) | instskip(NEXT) | instid1(VALU_DEP_2)
	v_and_b32_e32 v13, 0xf0f0f0f, v13
	v_ashrrev_i32_e32 v16, v48, v15
	s_delay_alu instid0(VALU_DEP_1) | instskip(SKIP_3) | instid1(VALU_DEP_4)
	v_lshlrev_b32_e32 v17, 4, v16
	v_lshlrev_b32_e32 v19, 11, v16
	;; [unrolled: 1-line block ×4, first 2 shown]
	v_and_b32_e32 v17, 16, v17
	s_delay_alu instid0(VALU_DEP_4) | instskip(NEXT) | instid1(VALU_DEP_4)
	v_and_b32_e32 v19, 0x1000, v19
	v_and_b32_e32 v20, 0x100000, v20
	s_delay_alu instid0(VALU_DEP_4) | instskip(NEXT) | instid1(VALU_DEP_1)
	v_and_b32_e32 v16, 0x10000000, v16
	v_or3_b32 v16, v16, v18, v20
	s_delay_alu instid0(VALU_DEP_1) | instskip(SKIP_1) | instid1(VALU_DEP_2)
	v_or3_b32 v16, v16, v17, v19
	v_ashrrev_i32_e32 v17, v191, v15
	v_dot4_i32_iu8 v16, v16, v27, 0 neg_lo:[1,1,0]
	s_delay_alu instid0(VALU_DEP_2)
	v_lshlrev_b32_e32 v18, 4, v17
	v_lshlrev_b32_e32 v20, 11, v17
	;; [unrolled: 1-line block ×4, first 2 shown]
	v_cvt_f32_i32_e32 v16, v16
	v_and_b32_e32 v18, 16, v18
	v_and_b32_e32 v20, 0x1000, v20
	;; [unrolled: 1-line block ×4, first 2 shown]
	v_fma_f32 v16, v2, v16, -v3
	s_delay_alu instid0(VALU_DEP_1) | instskip(SKIP_3) | instid1(VALU_DEP_1)
	v_fma_mix_f32 v12, v16, v14, v12 op_sel_hi:[0,1,0]
	global_load_b32 v16, v[7:8], off offset:36
	s_waitcnt vmcnt(0)
	v_and_b32_e32 v19, 0xf0f0f0f, v16
	v_or3_b32 v17, v17, v19, v21
	s_delay_alu instid0(VALU_DEP_1) | instskip(NEXT) | instid1(VALU_DEP_1)
	v_or3_b32 v17, v17, v18, v20
	v_dot4_i32_iu8 v17, v17, v28, 0 neg_lo:[1,1,0]
	s_delay_alu instid0(VALU_DEP_1) | instskip(NEXT) | instid1(VALU_DEP_1)
	v_cvt_f32_i32_e32 v17, v17
	v_fma_f32 v17, v2, v17, -v3
	s_delay_alu instid0(VALU_DEP_1) | instskip(SKIP_2) | instid1(VALU_DEP_2)
	v_fma_mix_f32 v12, v17, v14, v12 op_sel_hi:[0,1,0]
	v_ashrrev_i32_e32 v17, v192, v15
	v_ashrrev_i32_e32 v15, v193, v15
	v_lshlrev_b32_e32 v18, 4, v17
	v_lshlrev_b32_e32 v19, 11, v17
	;; [unrolled: 1-line block ×4, first 2 shown]
	s_delay_alu instid0(VALU_DEP_4) | instskip(NEXT) | instid1(VALU_DEP_4)
	v_and_b32_e32 v18, 16, v18
	v_and_b32_e32 v19, 0x1000, v19
	s_delay_alu instid0(VALU_DEP_4) | instskip(NEXT) | instid1(VALU_DEP_4)
	v_and_b32_e32 v20, 0x100000, v20
	v_and_b32_e32 v17, 0x10000000, v17
	s_delay_alu instid0(VALU_DEP_1) | instskip(SKIP_1) | instid1(VALU_DEP_2)
	v_or3_b32 v13, v17, v13, v20
	v_lshlrev_b32_e32 v17, 11, v15
	v_or3_b32 v13, v13, v18, v19
	v_lshlrev_b32_e32 v18, 18, v15
	s_delay_alu instid0(VALU_DEP_3) | instskip(NEXT) | instid1(VALU_DEP_3)
	v_and_b32_e32 v17, 0x1000, v17
	v_dot4_i32_iu8 v13, v13, v29, 0 neg_lo:[1,1,0]
	s_delay_alu instid0(VALU_DEP_3) | instskip(NEXT) | instid1(VALU_DEP_2)
	v_and_b32_e32 v18, 0x100000, v18
	v_cvt_f32_i32_e32 v13, v13
	s_delay_alu instid0(VALU_DEP_1) | instskip(NEXT) | instid1(VALU_DEP_1)
	v_fma_f32 v13, v2, v13, -v3
	v_fma_mix_f32 v12, v13, v14, v12 op_sel_hi:[0,1,0]
	v_lshrrev_b32_e32 v13, 4, v16
	v_lshlrev_b32_e32 v16, 4, v15
	v_lshlrev_b32_e32 v15, 25, v15
	s_delay_alu instid0(VALU_DEP_3) | instskip(NEXT) | instid1(VALU_DEP_3)
	v_and_b32_e32 v13, 0xf0f0f0f, v13
	v_and_b32_e32 v16, 16, v16
	s_delay_alu instid0(VALU_DEP_3) | instskip(NEXT) | instid1(VALU_DEP_1)
	v_and_b32_e32 v15, 0x10000000, v15
	v_or3_b32 v15, v18, v15, v16
	s_delay_alu instid0(VALU_DEP_1) | instskip(NEXT) | instid1(VALU_DEP_1)
	v_or3_b32 v13, v15, v17, v13
	v_dot4_i32_iu8 v13, v13, v30, 0 neg_lo:[1,1,0]
	s_delay_alu instid0(VALU_DEP_1) | instskip(NEXT) | instid1(VALU_DEP_1)
	v_cvt_f32_i32_e32 v13, v13
	v_fma_f32 v13, v2, v13, -v3
	s_delay_alu instid0(VALU_DEP_1)
	v_fma_mix_f32 v12, v13, v14, v12 op_sel_hi:[0,1,0]
	global_load_b32 v13, v[7:8], off offset:50
	s_clause 0x1
	global_load_b32 v14, v[9:10], off offset:44
	global_load_u16 v15, v[9:10], off offset:48
	s_waitcnt vmcnt(2)
	v_and_b32_e32 v18, 0xf0f0f0f, v13
	v_lshrrev_b32_e32 v13, 4, v13
	s_waitcnt vmcnt(0)
	v_perm_b32 v15, v14, v15, 0x1000706
	s_delay_alu instid0(VALU_DEP_2) | instskip(NEXT) | instid1(VALU_DEP_2)
	v_and_b32_e32 v13, 0xf0f0f0f, v13
	v_ashrrev_i32_e32 v16, v48, v15
	s_delay_alu instid0(VALU_DEP_1) | instskip(SKIP_3) | instid1(VALU_DEP_4)
	v_lshlrev_b32_e32 v17, 4, v16
	v_lshlrev_b32_e32 v19, 11, v16
	;; [unrolled: 1-line block ×4, first 2 shown]
	v_and_b32_e32 v17, 16, v17
	s_delay_alu instid0(VALU_DEP_4) | instskip(NEXT) | instid1(VALU_DEP_4)
	v_and_b32_e32 v19, 0x1000, v19
	v_and_b32_e32 v20, 0x100000, v20
	s_delay_alu instid0(VALU_DEP_4) | instskip(NEXT) | instid1(VALU_DEP_1)
	v_and_b32_e32 v16, 0x10000000, v16
	v_or3_b32 v16, v16, v18, v20
	s_delay_alu instid0(VALU_DEP_1) | instskip(SKIP_1) | instid1(VALU_DEP_2)
	v_or3_b32 v16, v16, v17, v19
	v_ashrrev_i32_e32 v17, v191, v15
	v_dot4_i32_iu8 v16, v16, v31, 0 neg_lo:[1,1,0]
	s_delay_alu instid0(VALU_DEP_2)
	v_lshlrev_b32_e32 v18, 4, v17
	v_lshlrev_b32_e32 v20, 11, v17
	;; [unrolled: 1-line block ×4, first 2 shown]
	v_cvt_f32_i32_e32 v16, v16
	v_and_b32_e32 v18, 16, v18
	v_and_b32_e32 v20, 0x1000, v20
	;; [unrolled: 1-line block ×4, first 2 shown]
	v_fma_f32 v16, v4, v16, -v5
	s_delay_alu instid0(VALU_DEP_1) | instskip(SKIP_3) | instid1(VALU_DEP_1)
	v_fma_mix_f32 v12, v16, v14, v12 op_sel_hi:[0,1,0]
	global_load_b32 v16, v[7:8], off offset:58
	s_waitcnt vmcnt(0)
	v_and_b32_e32 v19, 0xf0f0f0f, v16
	v_or3_b32 v17, v17, v19, v21
	s_delay_alu instid0(VALU_DEP_1) | instskip(NEXT) | instid1(VALU_DEP_1)
	v_or3_b32 v17, v17, v18, v20
	v_dot4_i32_iu8 v17, v17, v32, 0 neg_lo:[1,1,0]
	s_delay_alu instid0(VALU_DEP_1) | instskip(NEXT) | instid1(VALU_DEP_1)
	v_cvt_f32_i32_e32 v17, v17
	v_fma_f32 v17, v4, v17, -v5
	s_delay_alu instid0(VALU_DEP_1) | instskip(SKIP_2) | instid1(VALU_DEP_2)
	v_fma_mix_f32 v12, v17, v14, v12 op_sel_hi:[0,1,0]
	v_ashrrev_i32_e32 v17, v192, v15
	v_ashrrev_i32_e32 v15, v193, v15
	v_lshlrev_b32_e32 v18, 4, v17
	v_lshlrev_b32_e32 v19, 11, v17
	;; [unrolled: 1-line block ×4, first 2 shown]
	s_delay_alu instid0(VALU_DEP_4) | instskip(NEXT) | instid1(VALU_DEP_4)
	v_and_b32_e32 v18, 16, v18
	v_and_b32_e32 v19, 0x1000, v19
	s_delay_alu instid0(VALU_DEP_4) | instskip(NEXT) | instid1(VALU_DEP_4)
	v_and_b32_e32 v20, 0x100000, v20
	v_and_b32_e32 v17, 0x10000000, v17
	s_delay_alu instid0(VALU_DEP_1) | instskip(SKIP_1) | instid1(VALU_DEP_2)
	v_or3_b32 v13, v17, v13, v20
	v_lshlrev_b32_e32 v17, 11, v15
	v_or3_b32 v13, v13, v18, v19
	v_lshlrev_b32_e32 v18, 18, v15
	s_delay_alu instid0(VALU_DEP_3) | instskip(NEXT) | instid1(VALU_DEP_3)
	v_and_b32_e32 v17, 0x1000, v17
	v_dot4_i32_iu8 v13, v13, v33, 0 neg_lo:[1,1,0]
	s_delay_alu instid0(VALU_DEP_3) | instskip(NEXT) | instid1(VALU_DEP_2)
	v_and_b32_e32 v18, 0x100000, v18
	v_cvt_f32_i32_e32 v13, v13
	s_delay_alu instid0(VALU_DEP_1) | instskip(NEXT) | instid1(VALU_DEP_1)
	v_fma_f32 v13, v4, v13, -v5
	v_fma_mix_f32 v12, v13, v14, v12 op_sel_hi:[0,1,0]
	v_lshrrev_b32_e32 v13, 4, v16
	v_lshlrev_b32_e32 v16, 4, v15
	v_lshlrev_b32_e32 v15, 25, v15
	s_delay_alu instid0(VALU_DEP_3) | instskip(NEXT) | instid1(VALU_DEP_3)
	v_and_b32_e32 v13, 0xf0f0f0f, v13
	v_and_b32_e32 v16, 16, v16
	s_delay_alu instid0(VALU_DEP_3) | instskip(NEXT) | instid1(VALU_DEP_1)
	v_and_b32_e32 v15, 0x10000000, v15
	v_or3_b32 v15, v18, v15, v16
	s_delay_alu instid0(VALU_DEP_1) | instskip(NEXT) | instid1(VALU_DEP_1)
	v_or3_b32 v13, v15, v17, v13
	v_dot4_i32_iu8 v13, v13, v34, 0 neg_lo:[1,1,0]
	s_delay_alu instid0(VALU_DEP_1) | instskip(NEXT) | instid1(VALU_DEP_1)
	v_cvt_f32_i32_e32 v13, v13
	v_fma_f32 v13, v4, v13, -v5
	s_delay_alu instid0(VALU_DEP_1)
	v_fma_mix_f32 v13, v13, v14, v12 op_sel_hi:[0,1,0]
	global_load_b32 v14, v[7:8], off offset:72
	s_clause 0x1
	global_load_b32 v12, v[9:10], off offset:66
	global_load_u16 v9, v[9:10], off offset:70
	global_load_b32 v8, v[7:8], off offset:80
	s_waitcnt vmcnt(3)
	v_and_b32_e32 v16, 0xf0f0f0f, v14
	s_waitcnt vmcnt(1)
	v_perm_b32 v9, v12, v9, 0x1000706
	s_delay_alu instid0(VALU_DEP_1) | instskip(SKIP_1) | instid1(VALU_DEP_2)
	v_ashrrev_i32_e32 v10, v48, v9
	v_ashrrev_i32_e32 v7, v191, v9
	v_lshlrev_b32_e32 v15, 4, v10
	v_lshlrev_b32_e32 v17, 11, v10
	;; [unrolled: 1-line block ×4, first 2 shown]
	s_delay_alu instid0(VALU_DEP_4) | instskip(NEXT) | instid1(VALU_DEP_4)
	v_and_b32_e32 v15, 16, v15
	v_and_b32_e32 v17, 0x1000, v17
	s_delay_alu instid0(VALU_DEP_4) | instskip(NEXT) | instid1(VALU_DEP_4)
	v_and_b32_e32 v18, 0x100000, v18
	v_and_b32_e32 v10, 0x10000000, v10
	s_delay_alu instid0(VALU_DEP_1) | instskip(SKIP_1) | instid1(VALU_DEP_2)
	v_or3_b32 v10, v10, v16, v18
	v_lshlrev_b32_e32 v16, 11, v7
	v_or3_b32 v10, v10, v15, v17
	v_lshlrev_b32_e32 v17, 18, v7
	s_waitcnt vmcnt(0)
	v_and_b32_e32 v15, 0xf0f0f0f, v8
	v_and_b32_e32 v16, 0x1000, v16
	v_lshrrev_b32_e32 v8, 4, v8
	v_dot4_i32_iu8 v10, v10, v35, 0 neg_lo:[1,1,0]
	v_and_b32_e32 v17, 0x100000, v17
	s_delay_alu instid0(VALU_DEP_3) | instskip(NEXT) | instid1(VALU_DEP_3)
	v_and_b32_e32 v8, 0xf0f0f0f, v8
	v_cvt_f32_i32_e32 v10, v10
	s_delay_alu instid0(VALU_DEP_1) | instskip(NEXT) | instid1(VALU_DEP_1)
	v_fma_f32 v10, v6, v10, -v194
	v_fma_mix_f32 v10, v10, v12, v13 op_sel_hi:[0,1,0]
	v_lshlrev_b32_e32 v13, 4, v7
	v_lshlrev_b32_e32 v7, 25, v7
	s_delay_alu instid0(VALU_DEP_2) | instskip(NEXT) | instid1(VALU_DEP_2)
	v_and_b32_e32 v13, 16, v13
	v_and_b32_e32 v7, 0x10000000, v7
	s_delay_alu instid0(VALU_DEP_1) | instskip(NEXT) | instid1(VALU_DEP_1)
	v_or3_b32 v7, v7, v15, v17
	v_or3_b32 v7, v7, v13, v16
	v_ashrrev_i32_e32 v13, v192, v9
	v_ashrrev_i32_e32 v9, v193, v9
	s_delay_alu instid0(VALU_DEP_3) | instskip(NEXT) | instid1(VALU_DEP_3)
	v_dot4_i32_iu8 v7, v7, v36, 0 neg_lo:[1,1,0]
	v_lshlrev_b32_e32 v15, 11, v13
	v_lshlrev_b32_e32 v16, 18, v13
	s_delay_alu instid0(VALU_DEP_3) | instskip(NEXT) | instid1(VALU_DEP_3)
	v_cvt_f32_i32_e32 v7, v7
	v_and_b32_e32 v15, 0x1000, v15
	s_delay_alu instid0(VALU_DEP_3) | instskip(NEXT) | instid1(VALU_DEP_3)
	v_and_b32_e32 v16, 0x100000, v16
	v_fma_f32 v7, v6, v7, -v194
	s_delay_alu instid0(VALU_DEP_1) | instskip(SKIP_3) | instid1(VALU_DEP_3)
	v_fma_mix_f32 v7, v7, v12, v10 op_sel_hi:[0,1,0]
	v_lshrrev_b32_e32 v10, 4, v14
	v_lshlrev_b32_e32 v14, 4, v13
	v_lshlrev_b32_e32 v13, 25, v13
	v_and_b32_e32 v10, 0xf0f0f0f, v10
	s_delay_alu instid0(VALU_DEP_3) | instskip(NEXT) | instid1(VALU_DEP_3)
	v_and_b32_e32 v14, 16, v14
	v_and_b32_e32 v13, 0x10000000, v13
	s_delay_alu instid0(VALU_DEP_1) | instskip(SKIP_1) | instid1(VALU_DEP_2)
	v_or3_b32 v10, v13, v10, v16
	v_lshlrev_b32_e32 v13, 11, v9
	v_or3_b32 v10, v10, v14, v15
	v_lshlrev_b32_e32 v14, 18, v9
	s_delay_alu instid0(VALU_DEP_3) | instskip(NEXT) | instid1(VALU_DEP_3)
	v_and_b32_e32 v13, 0x1000, v13
	v_dot4_i32_iu8 v10, v10, v37, 0 neg_lo:[1,1,0]
	s_delay_alu instid0(VALU_DEP_3) | instskip(NEXT) | instid1(VALU_DEP_2)
	v_and_b32_e32 v14, 0x100000, v14
	v_cvt_f32_i32_e32 v10, v10
	s_delay_alu instid0(VALU_DEP_1) | instskip(NEXT) | instid1(VALU_DEP_1)
	v_fma_f32 v10, v6, v10, -v194
	v_fma_mix_f32 v7, v10, v12, v7 op_sel_hi:[0,1,0]
	v_lshlrev_b32_e32 v10, 4, v9
	v_lshlrev_b32_e32 v9, 25, v9
	s_delay_alu instid0(VALU_DEP_2) | instskip(NEXT) | instid1(VALU_DEP_2)
	v_and_b32_e32 v10, 16, v10
	v_and_b32_e32 v9, 0x10000000, v9
	s_delay_alu instid0(VALU_DEP_1) | instskip(NEXT) | instid1(VALU_DEP_1)
	v_or3_b32 v9, v14, v9, v10
	v_or3_b32 v8, v9, v13, v8
	s_delay_alu instid0(VALU_DEP_1) | instskip(NEXT) | instid1(VALU_DEP_1)
	v_dot4_i32_iu8 v8, v8, v38, 0 neg_lo:[1,1,0]
	v_cvt_f32_i32_e32 v8, v8
	s_delay_alu instid0(VALU_DEP_1) | instskip(NEXT) | instid1(VALU_DEP_1)
	v_fma_f32 v8, v6, v8, -v194
	v_fma_mix_f32 v7, v8, v12, v7 op_sel_hi:[0,1,0]
	ds_bpermute_b32 v8, v49, v7
	s_waitcnt lgkmcnt(0)
	v_add_f32_e32 v12, v7, v8
	s_cbranch_vccz .LBB14_13
; %bb.12:                               ;   in Loop: Header=BB14_11 Depth=1
	global_load_u16 v7, v[39:40], off offset:-2
	s_waitcnt vmcnt(0)
	v_fma_mix_f32 v12, v44, v7, v12 op_sel_hi:[0,1,0]
.LBB14_13:                              ;   in Loop: Header=BB14_11 Depth=1
	v_add_co_u32 v9, vcc_lo, v57, s5
	v_add_co_ci_u32_e32 v10, vcc_lo, 0, v58, vcc_lo
	v_add_co_u32 v7, vcc_lo, v55, s5
	v_add_co_ci_u32_e32 v8, vcc_lo, 0, v56, vcc_lo
	s_and_not1_b32 vcc_lo, exec_lo, s7
	global_load_b32 v13, v[7:8], off offset:6
	s_clause 0x1
	global_load_b32 v14, v[9:10], off
	global_load_u16 v15, v[9:10], off offset:4
	s_waitcnt vmcnt(2)
	v_and_b32_e32 v18, 0xf0f0f0f, v13
	v_lshrrev_b32_e32 v13, 4, v13
	s_waitcnt vmcnt(0)
	v_perm_b32 v15, v14, v15, 0x1000706
	s_delay_alu instid0(VALU_DEP_2) | instskip(NEXT) | instid1(VALU_DEP_2)
	v_and_b32_e32 v13, 0xf0f0f0f, v13
	v_ashrrev_i32_e32 v16, v48, v15
	s_delay_alu instid0(VALU_DEP_1) | instskip(SKIP_3) | instid1(VALU_DEP_4)
	v_lshlrev_b32_e32 v17, 4, v16
	v_lshlrev_b32_e32 v19, 11, v16
	;; [unrolled: 1-line block ×4, first 2 shown]
	v_and_b32_e32 v17, 16, v17
	s_delay_alu instid0(VALU_DEP_4) | instskip(NEXT) | instid1(VALU_DEP_4)
	v_and_b32_e32 v19, 0x1000, v19
	v_and_b32_e32 v20, 0x100000, v20
	s_delay_alu instid0(VALU_DEP_4) | instskip(NEXT) | instid1(VALU_DEP_1)
	v_and_b32_e32 v16, 0x10000000, v16
	v_or3_b32 v16, v16, v18, v20
	v_ashrrev_i32_e32 v18, v191, v15
	s_delay_alu instid0(VALU_DEP_2)
	v_or3_b32 v16, v16, v17, v19
	global_load_b32 v17, v[7:8], off offset:14
	v_lshlrev_b32_e32 v19, 4, v18
	v_lshlrev_b32_e32 v21, 11, v18
	;; [unrolled: 1-line block ×4, first 2 shown]
	v_dot4_i32_iu8 v16, v16, v23, 0 neg_lo:[1,1,0]
	v_and_b32_e32 v19, 16, v19
	v_and_b32_e32 v21, 0x1000, v21
	;; [unrolled: 1-line block ×4, first 2 shown]
	v_cvt_f32_i32_e32 v16, v16
	s_delay_alu instid0(VALU_DEP_1) | instskip(NEXT) | instid1(VALU_DEP_1)
	v_fma_f32 v16, v0, v16, -v1
	v_fma_mix_f32 v16, v16, v14, 0 op_sel_hi:[0,1,0]
	s_waitcnt vmcnt(0)
	v_and_b32_e32 v20, 0xf0f0f0f, v17
	s_delay_alu instid0(VALU_DEP_1) | instskip(NEXT) | instid1(VALU_DEP_1)
	v_or3_b32 v18, v18, v20, v22
	v_or3_b32 v18, v18, v19, v21
	s_delay_alu instid0(VALU_DEP_1) | instskip(NEXT) | instid1(VALU_DEP_1)
	v_dot4_i32_iu8 v18, v18, v24, 0 neg_lo:[1,1,0]
	v_cvt_f32_i32_e32 v18, v18
	s_delay_alu instid0(VALU_DEP_1) | instskip(NEXT) | instid1(VALU_DEP_1)
	v_fma_f32 v18, v0, v18, -v1
	v_fma_mix_f32 v16, v18, v14, v16 op_sel_hi:[0,1,0]
	v_ashrrev_i32_e32 v18, v192, v15
	v_ashrrev_i32_e32 v15, v193, v15
	s_delay_alu instid0(VALU_DEP_2) | instskip(SKIP_3) | instid1(VALU_DEP_4)
	v_lshlrev_b32_e32 v19, 4, v18
	v_lshlrev_b32_e32 v20, 11, v18
	;; [unrolled: 1-line block ×4, first 2 shown]
	v_and_b32_e32 v19, 16, v19
	s_delay_alu instid0(VALU_DEP_4) | instskip(NEXT) | instid1(VALU_DEP_4)
	v_and_b32_e32 v20, 0x1000, v20
	v_and_b32_e32 v21, 0x100000, v21
	s_delay_alu instid0(VALU_DEP_4) | instskip(NEXT) | instid1(VALU_DEP_1)
	v_and_b32_e32 v18, 0x10000000, v18
	v_or3_b32 v13, v18, v13, v21
	v_lshlrev_b32_e32 v18, 11, v15
	s_delay_alu instid0(VALU_DEP_2) | instskip(SKIP_1) | instid1(VALU_DEP_3)
	v_or3_b32 v13, v13, v19, v20
	v_lshlrev_b32_e32 v19, 18, v15
	v_and_b32_e32 v18, 0x1000, v18
	s_delay_alu instid0(VALU_DEP_3) | instskip(NEXT) | instid1(VALU_DEP_3)
	v_dot4_i32_iu8 v13, v13, v25, 0 neg_lo:[1,1,0]
	v_and_b32_e32 v19, 0x100000, v19
	s_delay_alu instid0(VALU_DEP_2) | instskip(NEXT) | instid1(VALU_DEP_1)
	v_cvt_f32_i32_e32 v13, v13
	v_fma_f32 v13, v0, v13, -v1
	s_delay_alu instid0(VALU_DEP_1) | instskip(SKIP_3) | instid1(VALU_DEP_3)
	v_fma_mix_f32 v13, v13, v14, v16 op_sel_hi:[0,1,0]
	v_lshrrev_b32_e32 v16, 4, v17
	v_lshlrev_b32_e32 v17, 4, v15
	v_lshlrev_b32_e32 v15, 25, v15
	v_and_b32_e32 v16, 0xf0f0f0f, v16
	s_delay_alu instid0(VALU_DEP_3) | instskip(NEXT) | instid1(VALU_DEP_3)
	v_and_b32_e32 v17, 16, v17
	v_and_b32_e32 v15, 0x10000000, v15
	s_delay_alu instid0(VALU_DEP_1) | instskip(NEXT) | instid1(VALU_DEP_1)
	v_or3_b32 v15, v19, v15, v17
	v_or3_b32 v15, v15, v18, v16
	s_delay_alu instid0(VALU_DEP_1) | instskip(NEXT) | instid1(VALU_DEP_1)
	v_dot4_i32_iu8 v15, v15, v26, 0 neg_lo:[1,1,0]
	v_cvt_f32_i32_e32 v15, v15
	s_delay_alu instid0(VALU_DEP_1) | instskip(NEXT) | instid1(VALU_DEP_1)
	v_fma_f32 v15, v0, v15, -v1
	v_fma_mix_f32 v13, v15, v14, v13 op_sel_hi:[0,1,0]
	global_load_b32 v14, v[7:8], off offset:28
	s_clause 0x1
	global_load_b32 v15, v[9:10], off offset:22
	global_load_u16 v16, v[9:10], off offset:26
	s_waitcnt vmcnt(2)
	v_and_b32_e32 v19, 0xf0f0f0f, v14
	v_lshrrev_b32_e32 v14, 4, v14
	s_waitcnt vmcnt(0)
	v_perm_b32 v16, v15, v16, 0x1000706
	s_delay_alu instid0(VALU_DEP_2) | instskip(NEXT) | instid1(VALU_DEP_2)
	v_and_b32_e32 v14, 0xf0f0f0f, v14
	v_ashrrev_i32_e32 v17, v48, v16
	s_delay_alu instid0(VALU_DEP_1) | instskip(SKIP_3) | instid1(VALU_DEP_4)
	v_lshlrev_b32_e32 v18, 4, v17
	v_lshlrev_b32_e32 v20, 11, v17
	;; [unrolled: 1-line block ×4, first 2 shown]
	v_and_b32_e32 v18, 16, v18
	s_delay_alu instid0(VALU_DEP_4) | instskip(NEXT) | instid1(VALU_DEP_4)
	v_and_b32_e32 v20, 0x1000, v20
	v_and_b32_e32 v21, 0x100000, v21
	s_delay_alu instid0(VALU_DEP_4) | instskip(NEXT) | instid1(VALU_DEP_1)
	v_and_b32_e32 v17, 0x10000000, v17
	v_or3_b32 v17, v17, v19, v21
	s_delay_alu instid0(VALU_DEP_1) | instskip(SKIP_1) | instid1(VALU_DEP_2)
	v_or3_b32 v17, v17, v18, v20
	v_ashrrev_i32_e32 v18, v191, v16
	v_dot4_i32_iu8 v17, v17, v27, 0 neg_lo:[1,1,0]
	s_delay_alu instid0(VALU_DEP_2)
	v_lshlrev_b32_e32 v19, 4, v18
	v_lshlrev_b32_e32 v21, 11, v18
	;; [unrolled: 1-line block ×4, first 2 shown]
	v_cvt_f32_i32_e32 v17, v17
	v_and_b32_e32 v19, 16, v19
	v_and_b32_e32 v21, 0x1000, v21
	;; [unrolled: 1-line block ×4, first 2 shown]
	v_fma_f32 v17, v2, v17, -v3
	s_delay_alu instid0(VALU_DEP_1) | instskip(SKIP_3) | instid1(VALU_DEP_1)
	v_fma_mix_f32 v13, v17, v15, v13 op_sel_hi:[0,1,0]
	global_load_b32 v17, v[7:8], off offset:36
	s_waitcnt vmcnt(0)
	v_and_b32_e32 v20, 0xf0f0f0f, v17
	v_or3_b32 v18, v18, v20, v22
	s_delay_alu instid0(VALU_DEP_1) | instskip(NEXT) | instid1(VALU_DEP_1)
	v_or3_b32 v18, v18, v19, v21
	v_dot4_i32_iu8 v18, v18, v28, 0 neg_lo:[1,1,0]
	s_delay_alu instid0(VALU_DEP_1) | instskip(NEXT) | instid1(VALU_DEP_1)
	v_cvt_f32_i32_e32 v18, v18
	v_fma_f32 v18, v2, v18, -v3
	s_delay_alu instid0(VALU_DEP_1) | instskip(SKIP_2) | instid1(VALU_DEP_2)
	v_fma_mix_f32 v13, v18, v15, v13 op_sel_hi:[0,1,0]
	v_ashrrev_i32_e32 v18, v192, v16
	v_ashrrev_i32_e32 v16, v193, v16
	v_lshlrev_b32_e32 v19, 4, v18
	v_lshlrev_b32_e32 v20, 11, v18
	;; [unrolled: 1-line block ×4, first 2 shown]
	s_delay_alu instid0(VALU_DEP_4) | instskip(NEXT) | instid1(VALU_DEP_4)
	v_and_b32_e32 v19, 16, v19
	v_and_b32_e32 v20, 0x1000, v20
	s_delay_alu instid0(VALU_DEP_4) | instskip(NEXT) | instid1(VALU_DEP_4)
	v_and_b32_e32 v21, 0x100000, v21
	v_and_b32_e32 v18, 0x10000000, v18
	s_delay_alu instid0(VALU_DEP_1) | instskip(SKIP_1) | instid1(VALU_DEP_2)
	v_or3_b32 v14, v18, v14, v21
	v_lshlrev_b32_e32 v18, 11, v16
	v_or3_b32 v14, v14, v19, v20
	v_lshlrev_b32_e32 v19, 18, v16
	s_delay_alu instid0(VALU_DEP_3) | instskip(NEXT) | instid1(VALU_DEP_3)
	v_and_b32_e32 v18, 0x1000, v18
	v_dot4_i32_iu8 v14, v14, v29, 0 neg_lo:[1,1,0]
	s_delay_alu instid0(VALU_DEP_3) | instskip(NEXT) | instid1(VALU_DEP_2)
	v_and_b32_e32 v19, 0x100000, v19
	v_cvt_f32_i32_e32 v14, v14
	s_delay_alu instid0(VALU_DEP_1) | instskip(NEXT) | instid1(VALU_DEP_1)
	v_fma_f32 v14, v2, v14, -v3
	v_fma_mix_f32 v13, v14, v15, v13 op_sel_hi:[0,1,0]
	v_lshrrev_b32_e32 v14, 4, v17
	v_lshlrev_b32_e32 v17, 4, v16
	v_lshlrev_b32_e32 v16, 25, v16
	s_delay_alu instid0(VALU_DEP_3) | instskip(NEXT) | instid1(VALU_DEP_3)
	v_and_b32_e32 v14, 0xf0f0f0f, v14
	v_and_b32_e32 v17, 16, v17
	s_delay_alu instid0(VALU_DEP_3) | instskip(NEXT) | instid1(VALU_DEP_1)
	v_and_b32_e32 v16, 0x10000000, v16
	v_or3_b32 v16, v19, v16, v17
	s_delay_alu instid0(VALU_DEP_1) | instskip(NEXT) | instid1(VALU_DEP_1)
	v_or3_b32 v14, v16, v18, v14
	v_dot4_i32_iu8 v14, v14, v30, 0 neg_lo:[1,1,0]
	s_delay_alu instid0(VALU_DEP_1) | instskip(NEXT) | instid1(VALU_DEP_1)
	v_cvt_f32_i32_e32 v14, v14
	v_fma_f32 v14, v2, v14, -v3
	s_delay_alu instid0(VALU_DEP_1)
	v_fma_mix_f32 v13, v14, v15, v13 op_sel_hi:[0,1,0]
	global_load_b32 v14, v[7:8], off offset:50
	s_clause 0x1
	global_load_b32 v15, v[9:10], off offset:44
	global_load_u16 v16, v[9:10], off offset:48
	s_waitcnt vmcnt(2)
	v_and_b32_e32 v19, 0xf0f0f0f, v14
	v_lshrrev_b32_e32 v14, 4, v14
	s_waitcnt vmcnt(0)
	v_perm_b32 v16, v15, v16, 0x1000706
	s_delay_alu instid0(VALU_DEP_2) | instskip(NEXT) | instid1(VALU_DEP_2)
	v_and_b32_e32 v14, 0xf0f0f0f, v14
	v_ashrrev_i32_e32 v17, v48, v16
	s_delay_alu instid0(VALU_DEP_1) | instskip(SKIP_3) | instid1(VALU_DEP_4)
	v_lshlrev_b32_e32 v18, 4, v17
	v_lshlrev_b32_e32 v20, 11, v17
	;; [unrolled: 1-line block ×4, first 2 shown]
	v_and_b32_e32 v18, 16, v18
	s_delay_alu instid0(VALU_DEP_4) | instskip(NEXT) | instid1(VALU_DEP_4)
	v_and_b32_e32 v20, 0x1000, v20
	v_and_b32_e32 v21, 0x100000, v21
	s_delay_alu instid0(VALU_DEP_4) | instskip(NEXT) | instid1(VALU_DEP_1)
	v_and_b32_e32 v17, 0x10000000, v17
	v_or3_b32 v17, v17, v19, v21
	s_delay_alu instid0(VALU_DEP_1) | instskip(SKIP_1) | instid1(VALU_DEP_2)
	v_or3_b32 v17, v17, v18, v20
	v_ashrrev_i32_e32 v18, v191, v16
	v_dot4_i32_iu8 v17, v17, v31, 0 neg_lo:[1,1,0]
	s_delay_alu instid0(VALU_DEP_2)
	v_lshlrev_b32_e32 v19, 4, v18
	v_lshlrev_b32_e32 v21, 11, v18
	v_lshlrev_b32_e32 v22, 18, v18
	v_lshlrev_b32_e32 v18, 25, v18
	v_cvt_f32_i32_e32 v17, v17
	v_and_b32_e32 v19, 16, v19
	v_and_b32_e32 v21, 0x1000, v21
	;; [unrolled: 1-line block ×4, first 2 shown]
	v_fma_f32 v17, v4, v17, -v5
	s_delay_alu instid0(VALU_DEP_1) | instskip(SKIP_3) | instid1(VALU_DEP_1)
	v_fma_mix_f32 v13, v17, v15, v13 op_sel_hi:[0,1,0]
	global_load_b32 v17, v[7:8], off offset:58
	s_waitcnt vmcnt(0)
	v_and_b32_e32 v20, 0xf0f0f0f, v17
	v_or3_b32 v18, v18, v20, v22
	s_delay_alu instid0(VALU_DEP_1) | instskip(NEXT) | instid1(VALU_DEP_1)
	v_or3_b32 v18, v18, v19, v21
	v_dot4_i32_iu8 v18, v18, v32, 0 neg_lo:[1,1,0]
	s_delay_alu instid0(VALU_DEP_1) | instskip(NEXT) | instid1(VALU_DEP_1)
	v_cvt_f32_i32_e32 v18, v18
	v_fma_f32 v18, v4, v18, -v5
	s_delay_alu instid0(VALU_DEP_1) | instskip(SKIP_2) | instid1(VALU_DEP_2)
	v_fma_mix_f32 v13, v18, v15, v13 op_sel_hi:[0,1,0]
	v_ashrrev_i32_e32 v18, v192, v16
	v_ashrrev_i32_e32 v16, v193, v16
	v_lshlrev_b32_e32 v19, 4, v18
	v_lshlrev_b32_e32 v20, 11, v18
	;; [unrolled: 1-line block ×4, first 2 shown]
	s_delay_alu instid0(VALU_DEP_4) | instskip(NEXT) | instid1(VALU_DEP_4)
	v_and_b32_e32 v19, 16, v19
	v_and_b32_e32 v20, 0x1000, v20
	s_delay_alu instid0(VALU_DEP_4) | instskip(NEXT) | instid1(VALU_DEP_4)
	v_and_b32_e32 v21, 0x100000, v21
	v_and_b32_e32 v18, 0x10000000, v18
	s_delay_alu instid0(VALU_DEP_1) | instskip(SKIP_1) | instid1(VALU_DEP_2)
	v_or3_b32 v14, v18, v14, v21
	v_lshlrev_b32_e32 v18, 11, v16
	v_or3_b32 v14, v14, v19, v20
	v_lshlrev_b32_e32 v19, 18, v16
	s_delay_alu instid0(VALU_DEP_3) | instskip(NEXT) | instid1(VALU_DEP_3)
	v_and_b32_e32 v18, 0x1000, v18
	v_dot4_i32_iu8 v14, v14, v33, 0 neg_lo:[1,1,0]
	s_delay_alu instid0(VALU_DEP_3) | instskip(NEXT) | instid1(VALU_DEP_2)
	v_and_b32_e32 v19, 0x100000, v19
	v_cvt_f32_i32_e32 v14, v14
	s_delay_alu instid0(VALU_DEP_1) | instskip(NEXT) | instid1(VALU_DEP_1)
	v_fma_f32 v14, v4, v14, -v5
	v_fma_mix_f32 v13, v14, v15, v13 op_sel_hi:[0,1,0]
	v_lshrrev_b32_e32 v14, 4, v17
	v_lshlrev_b32_e32 v17, 4, v16
	v_lshlrev_b32_e32 v16, 25, v16
	s_delay_alu instid0(VALU_DEP_3) | instskip(NEXT) | instid1(VALU_DEP_3)
	v_and_b32_e32 v14, 0xf0f0f0f, v14
	v_and_b32_e32 v17, 16, v17
	s_delay_alu instid0(VALU_DEP_3) | instskip(NEXT) | instid1(VALU_DEP_1)
	v_and_b32_e32 v16, 0x10000000, v16
	v_or3_b32 v16, v19, v16, v17
	s_delay_alu instid0(VALU_DEP_1) | instskip(NEXT) | instid1(VALU_DEP_1)
	v_or3_b32 v14, v16, v18, v14
	v_dot4_i32_iu8 v14, v14, v34, 0 neg_lo:[1,1,0]
	s_delay_alu instid0(VALU_DEP_1) | instskip(NEXT) | instid1(VALU_DEP_1)
	v_cvt_f32_i32_e32 v14, v14
	v_fma_f32 v14, v4, v14, -v5
	s_delay_alu instid0(VALU_DEP_1)
	v_fma_mix_f32 v14, v14, v15, v13 op_sel_hi:[0,1,0]
	global_load_b32 v15, v[7:8], off offset:72
	s_clause 0x1
	global_load_b32 v13, v[9:10], off offset:66
	global_load_u16 v9, v[9:10], off offset:70
	global_load_b32 v8, v[7:8], off offset:80
	s_waitcnt vmcnt(3)
	v_and_b32_e32 v17, 0xf0f0f0f, v15
	s_waitcnt vmcnt(1)
	v_perm_b32 v9, v13, v9, 0x1000706
	s_delay_alu instid0(VALU_DEP_1) | instskip(SKIP_1) | instid1(VALU_DEP_2)
	v_ashrrev_i32_e32 v10, v48, v9
	v_ashrrev_i32_e32 v7, v191, v9
	v_lshlrev_b32_e32 v16, 4, v10
	v_lshlrev_b32_e32 v18, 11, v10
	;; [unrolled: 1-line block ×4, first 2 shown]
	s_delay_alu instid0(VALU_DEP_4) | instskip(NEXT) | instid1(VALU_DEP_4)
	v_and_b32_e32 v16, 16, v16
	v_and_b32_e32 v18, 0x1000, v18
	s_delay_alu instid0(VALU_DEP_4) | instskip(NEXT) | instid1(VALU_DEP_4)
	v_and_b32_e32 v19, 0x100000, v19
	v_and_b32_e32 v10, 0x10000000, v10
	s_delay_alu instid0(VALU_DEP_1) | instskip(SKIP_1) | instid1(VALU_DEP_2)
	v_or3_b32 v10, v10, v17, v19
	v_lshlrev_b32_e32 v17, 11, v7
	v_or3_b32 v10, v10, v16, v18
	v_lshlrev_b32_e32 v18, 18, v7
	s_waitcnt vmcnt(0)
	v_and_b32_e32 v16, 0xf0f0f0f, v8
	v_and_b32_e32 v17, 0x1000, v17
	v_lshrrev_b32_e32 v8, 4, v8
	v_dot4_i32_iu8 v10, v10, v35, 0 neg_lo:[1,1,0]
	v_and_b32_e32 v18, 0x100000, v18
	s_delay_alu instid0(VALU_DEP_3) | instskip(NEXT) | instid1(VALU_DEP_3)
	v_and_b32_e32 v8, 0xf0f0f0f, v8
	v_cvt_f32_i32_e32 v10, v10
	s_delay_alu instid0(VALU_DEP_1) | instskip(NEXT) | instid1(VALU_DEP_1)
	v_fma_f32 v10, v6, v10, -v194
	v_fma_mix_f32 v10, v10, v13, v14 op_sel_hi:[0,1,0]
	v_lshlrev_b32_e32 v14, 4, v7
	v_lshlrev_b32_e32 v7, 25, v7
	s_delay_alu instid0(VALU_DEP_2) | instskip(NEXT) | instid1(VALU_DEP_2)
	v_and_b32_e32 v14, 16, v14
	v_and_b32_e32 v7, 0x10000000, v7
	s_delay_alu instid0(VALU_DEP_1) | instskip(NEXT) | instid1(VALU_DEP_1)
	v_or3_b32 v7, v7, v16, v18
	v_or3_b32 v7, v7, v14, v17
	v_ashrrev_i32_e32 v14, v192, v9
	v_ashrrev_i32_e32 v9, v193, v9
	s_delay_alu instid0(VALU_DEP_3) | instskip(NEXT) | instid1(VALU_DEP_3)
	v_dot4_i32_iu8 v7, v7, v36, 0 neg_lo:[1,1,0]
	v_lshlrev_b32_e32 v16, 11, v14
	v_lshlrev_b32_e32 v17, 18, v14
	s_delay_alu instid0(VALU_DEP_3) | instskip(NEXT) | instid1(VALU_DEP_3)
	v_cvt_f32_i32_e32 v7, v7
	v_and_b32_e32 v16, 0x1000, v16
	s_delay_alu instid0(VALU_DEP_3) | instskip(NEXT) | instid1(VALU_DEP_3)
	v_and_b32_e32 v17, 0x100000, v17
	v_fma_f32 v7, v6, v7, -v194
	s_delay_alu instid0(VALU_DEP_1) | instskip(SKIP_3) | instid1(VALU_DEP_3)
	v_fma_mix_f32 v7, v7, v13, v10 op_sel_hi:[0,1,0]
	v_lshrrev_b32_e32 v10, 4, v15
	v_lshlrev_b32_e32 v15, 4, v14
	v_lshlrev_b32_e32 v14, 25, v14
	v_and_b32_e32 v10, 0xf0f0f0f, v10
	s_delay_alu instid0(VALU_DEP_3) | instskip(NEXT) | instid1(VALU_DEP_3)
	v_and_b32_e32 v15, 16, v15
	v_and_b32_e32 v14, 0x10000000, v14
	s_delay_alu instid0(VALU_DEP_1) | instskip(SKIP_1) | instid1(VALU_DEP_2)
	v_or3_b32 v10, v14, v10, v17
	v_lshlrev_b32_e32 v14, 11, v9
	v_or3_b32 v10, v10, v15, v16
	v_lshlrev_b32_e32 v15, 18, v9
	s_delay_alu instid0(VALU_DEP_3) | instskip(NEXT) | instid1(VALU_DEP_3)
	v_and_b32_e32 v14, 0x1000, v14
	v_dot4_i32_iu8 v10, v10, v37, 0 neg_lo:[1,1,0]
	s_delay_alu instid0(VALU_DEP_3) | instskip(NEXT) | instid1(VALU_DEP_2)
	v_and_b32_e32 v15, 0x100000, v15
	v_cvt_f32_i32_e32 v10, v10
	s_delay_alu instid0(VALU_DEP_1) | instskip(NEXT) | instid1(VALU_DEP_1)
	v_fma_f32 v10, v6, v10, -v194
	v_fma_mix_f32 v7, v10, v13, v7 op_sel_hi:[0,1,0]
	v_lshlrev_b32_e32 v10, 4, v9
	v_lshlrev_b32_e32 v9, 25, v9
	s_delay_alu instid0(VALU_DEP_2) | instskip(NEXT) | instid1(VALU_DEP_2)
	v_and_b32_e32 v10, 16, v10
	v_and_b32_e32 v9, 0x10000000, v9
	s_delay_alu instid0(VALU_DEP_1) | instskip(NEXT) | instid1(VALU_DEP_1)
	v_or3_b32 v9, v15, v9, v10
	v_or3_b32 v8, v9, v14, v8
	s_delay_alu instid0(VALU_DEP_1) | instskip(NEXT) | instid1(VALU_DEP_1)
	v_dot4_i32_iu8 v8, v8, v38, 0 neg_lo:[1,1,0]
	v_cvt_f32_i32_e32 v8, v8
	s_delay_alu instid0(VALU_DEP_1) | instskip(NEXT) | instid1(VALU_DEP_1)
	v_fma_f32 v8, v6, v8, -v194
	v_fma_mix_f32 v7, v8, v13, v7 op_sel_hi:[0,1,0]
	ds_bpermute_b32 v8, v49, v7
	s_waitcnt lgkmcnt(0)
	v_add_f32_e32 v7, v7, v8
	s_cbranch_vccnz .LBB14_15
; %bb.14:                               ;   in Loop: Header=BB14_11 Depth=1
	global_load_u16 v8, v[39:40], off
	s_waitcnt vmcnt(0)
	v_fma_mix_f32 v7, v44, v8, v7 op_sel_hi:[0,1,0]
.LBB14_15:                              ;   in Loop: Header=BB14_11 Depth=1
	s_delay_alu instid0(VALU_DEP_1) | instskip(SKIP_2) | instid1(SALU_CYCLE_1)
	v_dual_add_f32 v8, 0x40051340, v12 :: v_dual_add_f32 v9, 0x40051340, v7
	v_cndmask_b32_e64 v7, v7, v12, s3
	s_add_i32 s8, s8, s4
	s_cmp_ge_i32 s8, s38
	s_delay_alu instid0(VALU_DEP_2) | instskip(SKIP_3) | instid1(VALU_DEP_1)
	v_max3_f32 v8, v11, v8, v9
	ds_bpermute_b32 v9, v50, v8
	s_waitcnt lgkmcnt(0)
	v_max_f32_e32 v9, v9, v9
	v_max_f32_e32 v8, v8, v9
	ds_bpermute_b32 v9, v51, v8
	s_waitcnt lgkmcnt(0)
	v_max_f32_e32 v9, v9, v9
	s_delay_alu instid0(VALU_DEP_1) | instskip(SKIP_3) | instid1(VALU_DEP_1)
	v_max_f32_e32 v8, v8, v9
	ds_bpermute_b32 v9, v52, v8
	s_waitcnt lgkmcnt(0)
	v_max_f32_e32 v9, v9, v9
	v_max_f32_e32 v8, v8, v9
	ds_bpermute_b32 v9, v53, v8
	s_waitcnt lgkmcnt(0)
	v_max_f32_e32 v9, v9, v9
	s_delay_alu instid0(VALU_DEP_1) | instskip(NEXT) | instid1(VALU_DEP_1)
	v_max_f32_e32 v200, v8, v9
	v_sub_f32_e32 v8, v11, v200
	s_delay_alu instid0(VALU_DEP_1) | instskip(SKIP_2) | instid1(VALU_DEP_3)
	v_mul_f32_e32 v9, 0x3fb8aa3b, v8
	v_cmp_ngt_f32_e32 vcc_lo, 0xc2ce8ed0, v8
	v_sub_f32_e32 v7, v7, v200
	v_fma_f32 v10, 0x3fb8aa3b, v8, -v9
	v_rndne_f32_e32 v11, v9
	s_delay_alu instid0(VALU_DEP_1) | instskip(NEXT) | instid1(VALU_DEP_1)
	v_dual_fmac_f32 v10, 0x32a5705f, v8 :: v_dual_sub_f32 v9, v9, v11
	v_add_f32_e32 v9, v9, v10
	v_cvt_i32_f32_e32 v10, v11
	s_delay_alu instid0(VALU_DEP_2) | instskip(SKIP_2) | instid1(VALU_DEP_1)
	v_exp_f32_e32 v9, v9
	s_waitcnt_depctr 0xfff
	v_ldexp_f32 v9, v9, v10
	v_cndmask_b32_e32 v9, 0, v9, vcc_lo
	v_cmp_nlt_f32_e32 vcc_lo, 0x42b17218, v8
	v_mul_f32_e32 v8, 0x3fb8aa3b, v7
	s_delay_alu instid0(VALU_DEP_3) | instskip(NEXT) | instid1(VALU_DEP_2)
	v_cndmask_b32_e32 v201, 0x7f800000, v9, vcc_lo
	v_fma_f32 v9, 0x3fb8aa3b, v7, -v8
	v_rndne_f32_e32 v10, v8
	v_cmp_ngt_f32_e32 vcc_lo, 0xc2ce8ed0, v7
	s_delay_alu instid0(VALU_DEP_2) | instskip(NEXT) | instid1(VALU_DEP_1)
	v_dual_fmac_f32 v9, 0x32a5705f, v7 :: v_dual_sub_f32 v8, v8, v10
	v_add_f32_e32 v8, v8, v9
	v_cvt_i32_f32_e32 v9, v10
	s_delay_alu instid0(VALU_DEP_2) | instskip(SKIP_2) | instid1(VALU_DEP_1)
	v_exp_f32_e32 v8, v8
	s_waitcnt_depctr 0xfff
	v_ldexp_f32 v8, v8, v9
	v_cndmask_b32_e32 v8, 0, v8, vcc_lo
	v_cmp_nlt_f32_e32 vcc_lo, 0x42b17218, v7
	s_delay_alu instid0(VALU_DEP_2) | instskip(SKIP_3) | instid1(VALU_DEP_4)
	v_cndmask_b32_e32 v197, 0x7f800000, v8, vcc_lo
	v_add_co_u32 v202, vcc_lo, v59, s15
	v_add_co_ci_u32_e32 v203, vcc_lo, 0, v60, vcc_lo
	v_add_co_u32 v204, vcc_lo, v61, s15
	v_cvt_f16_f32_e64 v7, v197
	v_add_co_ci_u32_e32 v205, vcc_lo, 0, v62, vcc_lo
	ds_store_b16 v46, v7
	ds_load_b128 v[19:22], v54
	ds_load_b128 v[15:18], v54 offset:16
	ds_load_b128 v[11:14], v54 offset:32
	;; [unrolled: 1-line block ×3, first 2 shown]
	global_load_b32 v204, v[204:205], off
	global_load_b32 v202, v[202:203], off
	s_waitcnt vmcnt(1)
	v_ashrrev_i32_e32 v204, v195, v204
	s_delay_alu instid0(VALU_DEP_1) | instskip(SKIP_3) | instid1(VALU_DEP_4)
	v_lshrrev_b32_e32 v207, 8, v204
	v_and_b32_e32 v205, 15, v204
	v_lshrrev_b32_e32 v208, 16, v204
	v_bfe_u32 v204, v204, 24, 4
	v_and_b32_e32 v207, 15, v207
	s_delay_alu instid0(VALU_DEP_4) | instskip(NEXT) | instid1(VALU_DEP_4)
	v_cvt_f16_u16_e64 v203, v205
	v_and_b32_e32 v208, 15, v208
	s_delay_alu instid0(VALU_DEP_4) | instskip(SKIP_2) | instid1(VALU_DEP_1)
	v_cvt_f16_u16_e64 v204, v204
	v_cvt_f16_f32_e64 v206, v201
	v_cvt_f16_u16_e64 v205, v207
	v_pack_b32_f16 v203, v203, v205
	v_cvt_f16_u16_e64 v205, v208
	s_waitcnt vmcnt(0)
	s_delay_alu instid0(VALU_DEP_2) | instskip(NEXT) | instid1(VALU_DEP_2)
	v_pk_fma_f16 v203, v202, v203, v202 op_sel:[0,0,1] op_sel_hi:[0,1,1]
	v_pack_b32_f16 v204, v205, v204
	s_waitcnt lgkmcnt(3)
	s_delay_alu instid0(VALU_DEP_2) | instskip(NEXT) | instid1(VALU_DEP_2)
	v_pk_mul_f16 v203, v19, v203 op_sel_hi:[0,1]
	v_pk_fma_f16 v202, v202, v204, v202 op_sel:[0,0,1] op_sel_hi:[0,1,1]
	s_delay_alu instid0(VALU_DEP_2) | instskip(NEXT) | instid1(VALU_DEP_2)
	v_pk_fma_f16 v204, v206, v198, v203 op_sel_hi:[0,1,1]
	v_pk_mul_f16 v198, v19, v202 op_sel_hi:[0,1]
	s_delay_alu instid0(VALU_DEP_1)
	v_pk_fma_f16 v205, v206, v199, v198 op_sel_hi:[0,1,1]
	v_add_co_u32 v198, vcc_lo, v63, s15
	v_add_co_ci_u32_e32 v199, vcc_lo, 0, v64, vcc_lo
	v_add_co_u32 v202, vcc_lo, v65, s15
	v_add_co_ci_u32_e32 v203, vcc_lo, 0, v66, vcc_lo
	global_load_b32 v198, v[198:199], off
	global_load_b32 v202, v[202:203], off
	s_waitcnt vmcnt(0)
	v_ashrrev_i32_e32 v202, v195, v202
	s_delay_alu instid0(VALU_DEP_1) | instskip(SKIP_3) | instid1(VALU_DEP_4)
	v_lshrrev_b32_e32 v206, 8, v202
	v_and_b32_e32 v203, 15, v202
	v_lshrrev_b32_e32 v207, 16, v202
	v_bfe_u32 v202, v202, 24, 4
	v_and_b32_e32 v206, 15, v206
	s_delay_alu instid0(VALU_DEP_4) | instskip(NEXT) | instid1(VALU_DEP_4)
	v_cvt_f16_u16_e64 v199, v203
	v_and_b32_e32 v207, 15, v207
	s_delay_alu instid0(VALU_DEP_4) | instskip(NEXT) | instid1(VALU_DEP_4)
	v_cvt_f16_u16_e64 v202, v202
	v_cvt_f16_u16_e64 v203, v206
	s_delay_alu instid0(VALU_DEP_1) | instskip(NEXT) | instid1(VALU_DEP_4)
	v_pack_b32_f16 v199, v199, v203
	v_cvt_f16_u16_e64 v203, v207
	s_delay_alu instid0(VALU_DEP_2) | instskip(NEXT) | instid1(VALU_DEP_2)
	v_pk_fma_f16 v199, v198, v199, v198 op_sel:[0,0,1] op_sel_hi:[0,1,1]
	v_pack_b32_f16 v202, v203, v202
	s_delay_alu instid0(VALU_DEP_2) | instskip(NEXT) | instid1(VALU_DEP_2)
	v_pk_fma_f16 v204, v19, v199, v204 op_sel:[1,0,0]
	v_pk_fma_f16 v198, v198, v202, v198 op_sel:[0,0,1] op_sel_hi:[0,1,1]
	s_delay_alu instid0(VALU_DEP_1)
	v_pk_fma_f16 v19, v19, v198, v205 op_sel:[1,0,0]
	v_add_co_u32 v198, vcc_lo, v67, s15
	v_add_co_ci_u32_e32 v199, vcc_lo, 0, v68, vcc_lo
	v_add_co_u32 v202, vcc_lo, v69, s15
	v_add_co_ci_u32_e32 v203, vcc_lo, 0, v70, vcc_lo
	global_load_b32 v198, v[198:199], off
	global_load_b32 v202, v[202:203], off
	s_waitcnt vmcnt(0)
	v_ashrrev_i32_e32 v202, v195, v202
	s_delay_alu instid0(VALU_DEP_1) | instskip(SKIP_3) | instid1(VALU_DEP_4)
	v_lshrrev_b32_e32 v205, 8, v202
	v_and_b32_e32 v203, 15, v202
	v_lshrrev_b32_e32 v206, 16, v202
	v_bfe_u32 v202, v202, 24, 4
	v_and_b32_e32 v205, 15, v205
	s_delay_alu instid0(VALU_DEP_4) | instskip(NEXT) | instid1(VALU_DEP_4)
	v_cvt_f16_u16_e64 v199, v203
	v_and_b32_e32 v206, 15, v206
	s_delay_alu instid0(VALU_DEP_4) | instskip(SKIP_2) | instid1(VALU_DEP_1)
	v_cvt_f16_u16_e64 v202, v202
	v_fmac_f32_e32 v197, v196, v201
	v_cvt_f16_u16_e64 v203, v205
	v_pack_b32_f16 v199, v199, v203
	v_cvt_f16_u16_e64 v203, v206
	s_delay_alu instid0(VALU_DEP_2) | instskip(NEXT) | instid1(VALU_DEP_2)
	v_pk_fma_f16 v199, v198, v199, v198 op_sel:[0,0,1] op_sel_hi:[0,1,1]
	v_pack_b32_f16 v202, v203, v202
	s_delay_alu instid0(VALU_DEP_2) | instskip(NEXT) | instid1(VALU_DEP_2)
	v_pk_fma_f16 v204, v20, v199, v204 op_sel_hi:[0,1,1]
	v_pk_fma_f16 v198, v198, v202, v198 op_sel:[0,0,1] op_sel_hi:[0,1,1]
	s_delay_alu instid0(VALU_DEP_1)
	v_pk_fma_f16 v19, v20, v198, v19 op_sel_hi:[0,1,1]
	v_add_co_u32 v198, vcc_lo, v71, s15
	v_add_co_ci_u32_e32 v199, vcc_lo, 0, v72, vcc_lo
	v_add_co_u32 v202, vcc_lo, v73, s15
	v_add_co_ci_u32_e32 v203, vcc_lo, 0, v74, vcc_lo
	global_load_b32 v198, v[198:199], off
	global_load_b32 v202, v[202:203], off
	s_waitcnt vmcnt(0)
	v_ashrrev_i32_e32 v202, v195, v202
	s_delay_alu instid0(VALU_DEP_1) | instskip(SKIP_3) | instid1(VALU_DEP_4)
	v_lshrrev_b32_e32 v205, 8, v202
	v_and_b32_e32 v203, 15, v202
	v_lshrrev_b32_e32 v206, 16, v202
	v_bfe_u32 v202, v202, 24, 4
	v_and_b32_e32 v205, 15, v205
	s_delay_alu instid0(VALU_DEP_4) | instskip(NEXT) | instid1(VALU_DEP_4)
	v_cvt_f16_u16_e64 v199, v203
	v_and_b32_e32 v206, 15, v206
	s_delay_alu instid0(VALU_DEP_4) | instskip(NEXT) | instid1(VALU_DEP_4)
	v_cvt_f16_u16_e64 v202, v202
	v_cvt_f16_u16_e64 v203, v205
	s_delay_alu instid0(VALU_DEP_1) | instskip(NEXT) | instid1(VALU_DEP_4)
	v_pack_b32_f16 v199, v199, v203
	v_cvt_f16_u16_e64 v203, v206
	s_delay_alu instid0(VALU_DEP_2) | instskip(NEXT) | instid1(VALU_DEP_2)
	v_pk_fma_f16 v199, v198, v199, v198 op_sel:[0,0,1] op_sel_hi:[0,1,1]
	v_pack_b32_f16 v202, v203, v202
	s_delay_alu instid0(VALU_DEP_1) | instskip(NEXT) | instid1(VALU_DEP_3)
	v_pk_fma_f16 v198, v198, v202, v198 op_sel:[0,0,1] op_sel_hi:[0,1,1]
	v_pk_fma_f16 v202, v20, v199, v204 op_sel:[1,0,0]
	s_delay_alu instid0(VALU_DEP_2)
	v_pk_fma_f16 v203, v20, v198, v19 op_sel:[1,0,0]
	v_add_co_u32 v19, vcc_lo, v77, s15
	v_add_co_ci_u32_e32 v20, vcc_lo, 0, v78, vcc_lo
	v_add_co_u32 v198, vcc_lo, v79, s15
	v_add_co_ci_u32_e32 v199, vcc_lo, 0, v80, vcc_lo
	global_load_b32 v19, v[19:20], off
	global_load_b32 v198, v[198:199], off
	s_waitcnt vmcnt(0)
	v_ashrrev_i32_e32 v198, v195, v198
	s_delay_alu instid0(VALU_DEP_1) | instskip(SKIP_3) | instid1(VALU_DEP_4)
	v_lshrrev_b32_e32 v204, 8, v198
	v_and_b32_e32 v199, 15, v198
	v_lshrrev_b32_e32 v205, 16, v198
	v_bfe_u32 v198, v198, 24, 4
	v_and_b32_e32 v204, 15, v204
	s_delay_alu instid0(VALU_DEP_4) | instskip(NEXT) | instid1(VALU_DEP_4)
	v_cvt_f16_u16_e64 v20, v199
	v_and_b32_e32 v205, 15, v205
	s_delay_alu instid0(VALU_DEP_4) | instskip(NEXT) | instid1(VALU_DEP_4)
	v_cvt_f16_u16_e64 v198, v198
	v_cvt_f16_u16_e64 v199, v204
	s_delay_alu instid0(VALU_DEP_1) | instskip(NEXT) | instid1(VALU_DEP_4)
	v_pack_b32_f16 v20, v20, v199
	v_cvt_f16_u16_e64 v199, v205
	s_delay_alu instid0(VALU_DEP_2) | instskip(NEXT) | instid1(VALU_DEP_2)
	v_pk_fma_f16 v20, v19, v20, v19 op_sel:[0,0,1] op_sel_hi:[0,1,1]
	v_pack_b32_f16 v198, v199, v198
	s_delay_alu instid0(VALU_DEP_2) | instskip(NEXT) | instid1(VALU_DEP_2)
	v_pk_fma_f16 v202, v21, v20, v202 op_sel_hi:[0,1,1]
	v_pk_fma_f16 v19, v19, v198, v19 op_sel:[0,0,1] op_sel_hi:[0,1,1]
	s_delay_alu instid0(VALU_DEP_1)
	v_pk_fma_f16 v203, v21, v19, v203 op_sel_hi:[0,1,1]
	v_add_co_u32 v19, vcc_lo, v81, s15
	v_add_co_ci_u32_e32 v20, vcc_lo, 0, v82, vcc_lo
	v_add_co_u32 v198, vcc_lo, v83, s15
	v_add_co_ci_u32_e32 v199, vcc_lo, 0, v84, vcc_lo
	global_load_b32 v19, v[19:20], off
	global_load_b32 v198, v[198:199], off
	s_waitcnt vmcnt(0)
	v_ashrrev_i32_e32 v198, v195, v198
	s_delay_alu instid0(VALU_DEP_1) | instskip(SKIP_3) | instid1(VALU_DEP_4)
	v_lshrrev_b32_e32 v204, 8, v198
	v_and_b32_e32 v199, 15, v198
	v_lshrrev_b32_e32 v205, 16, v198
	v_bfe_u32 v198, v198, 24, 4
	v_and_b32_e32 v204, 15, v204
	s_delay_alu instid0(VALU_DEP_4) | instskip(NEXT) | instid1(VALU_DEP_4)
	v_cvt_f16_u16_e64 v20, v199
	v_and_b32_e32 v205, 15, v205
	s_delay_alu instid0(VALU_DEP_4) | instskip(NEXT) | instid1(VALU_DEP_4)
	v_cvt_f16_u16_e64 v198, v198
	v_cvt_f16_u16_e64 v199, v204
	s_delay_alu instid0(VALU_DEP_1) | instskip(NEXT) | instid1(VALU_DEP_4)
	v_pack_b32_f16 v20, v20, v199
	v_cvt_f16_u16_e64 v199, v205
	s_delay_alu instid0(VALU_DEP_2) | instskip(NEXT) | instid1(VALU_DEP_2)
	v_pk_fma_f16 v20, v19, v20, v19 op_sel:[0,0,1] op_sel_hi:[0,1,1]
	v_pack_b32_f16 v198, v199, v198
	s_delay_alu instid0(VALU_DEP_2) | instskip(NEXT) | instid1(VALU_DEP_2)
	v_pk_fma_f16 v202, v21, v20, v202 op_sel:[1,0,0]
	v_pk_fma_f16 v19, v19, v198, v19 op_sel:[0,0,1] op_sel_hi:[0,1,1]
	s_delay_alu instid0(VALU_DEP_1)
	v_pk_fma_f16 v21, v21, v19, v203 op_sel:[1,0,0]
	v_add_co_u32 v19, vcc_lo, v85, s15
	v_add_co_ci_u32_e32 v20, vcc_lo, 0, v86, vcc_lo
	v_add_co_u32 v198, vcc_lo, v89, s15
	v_add_co_ci_u32_e32 v199, vcc_lo, 0, v90, vcc_lo
	global_load_b32 v19, v[19:20], off
	global_load_b32 v198, v[198:199], off
	s_waitcnt vmcnt(0)
	v_ashrrev_i32_e32 v198, v195, v198
	s_delay_alu instid0(VALU_DEP_1) | instskip(SKIP_3) | instid1(VALU_DEP_4)
	v_lshrrev_b32_e32 v203, 8, v198
	v_and_b32_e32 v199, 15, v198
	v_lshrrev_b32_e32 v204, 16, v198
	v_bfe_u32 v198, v198, 24, 4
	v_and_b32_e32 v203, 15, v203
	s_delay_alu instid0(VALU_DEP_4) | instskip(NEXT) | instid1(VALU_DEP_4)
	v_cvt_f16_u16_e64 v20, v199
	v_and_b32_e32 v204, 15, v204
	s_delay_alu instid0(VALU_DEP_4) | instskip(NEXT) | instid1(VALU_DEP_4)
	v_cvt_f16_u16_e64 v198, v198
	v_cvt_f16_u16_e64 v199, v203
	s_delay_alu instid0(VALU_DEP_1) | instskip(NEXT) | instid1(VALU_DEP_4)
	v_pack_b32_f16 v20, v20, v199
	v_cvt_f16_u16_e64 v199, v204
	s_delay_alu instid0(VALU_DEP_2) | instskip(NEXT) | instid1(VALU_DEP_2)
	v_pk_fma_f16 v20, v19, v20, v19 op_sel:[0,0,1] op_sel_hi:[0,1,1]
	v_pack_b32_f16 v198, v199, v198
	s_delay_alu instid0(VALU_DEP_2) | instskip(NEXT) | instid1(VALU_DEP_2)
	v_pk_fma_f16 v202, v22, v20, v202 op_sel_hi:[0,1,1]
	v_pk_fma_f16 v19, v19, v198, v19 op_sel:[0,0,1] op_sel_hi:[0,1,1]
	s_delay_alu instid0(VALU_DEP_1)
	v_pk_fma_f16 v21, v22, v19, v21 op_sel_hi:[0,1,1]
	v_add_co_u32 v19, vcc_lo, v91, s15
	v_add_co_ci_u32_e32 v20, vcc_lo, 0, v92, vcc_lo
	v_add_co_u32 v198, vcc_lo, v93, s15
	v_add_co_ci_u32_e32 v199, vcc_lo, 0, v94, vcc_lo
	global_load_b32 v19, v[19:20], off
	global_load_b32 v198, v[198:199], off
	s_waitcnt vmcnt(0)
	v_ashrrev_i32_e32 v198, v195, v198
	s_delay_alu instid0(VALU_DEP_1) | instskip(SKIP_3) | instid1(VALU_DEP_4)
	v_lshrrev_b32_e32 v203, 8, v198
	v_and_b32_e32 v199, 15, v198
	v_lshrrev_b32_e32 v204, 16, v198
	v_bfe_u32 v198, v198, 24, 4
	v_and_b32_e32 v203, 15, v203
	s_delay_alu instid0(VALU_DEP_4) | instskip(NEXT) | instid1(VALU_DEP_4)
	v_cvt_f16_u16_e64 v20, v199
	v_and_b32_e32 v204, 15, v204
	s_delay_alu instid0(VALU_DEP_4) | instskip(NEXT) | instid1(VALU_DEP_4)
	v_cvt_f16_u16_e64 v198, v198
	v_cvt_f16_u16_e64 v199, v203
	s_delay_alu instid0(VALU_DEP_1) | instskip(NEXT) | instid1(VALU_DEP_4)
	v_pack_b32_f16 v20, v20, v199
	v_cvt_f16_u16_e64 v199, v204
	s_delay_alu instid0(VALU_DEP_2) | instskip(NEXT) | instid1(VALU_DEP_2)
	v_pk_fma_f16 v20, v19, v20, v19 op_sel:[0,0,1] op_sel_hi:[0,1,1]
	v_pack_b32_f16 v198, v199, v198
	s_delay_alu instid0(VALU_DEP_1) | instskip(NEXT) | instid1(VALU_DEP_3)
	v_pk_fma_f16 v19, v19, v198, v19 op_sel:[0,0,1] op_sel_hi:[0,1,1]
	v_pk_fma_f16 v198, v22, v20, v202 op_sel:[1,0,0]
	s_delay_alu instid0(VALU_DEP_2)
	v_pk_fma_f16 v199, v22, v19, v21 op_sel:[1,0,0]
	v_add_co_u32 v19, vcc_lo, v189, s15
	v_add_co_ci_u32_e32 v20, vcc_lo, 0, v190, vcc_lo
	v_add_co_u32 v21, vcc_lo, v187, s15
	v_add_co_ci_u32_e32 v22, vcc_lo, 0, v188, vcc_lo
	global_load_b32 v19, v[19:20], off
	global_load_b32 v21, v[21:22], off
	s_waitcnt vmcnt(0)
	v_ashrrev_i32_e32 v21, v195, v21
	s_delay_alu instid0(VALU_DEP_1) | instskip(SKIP_3) | instid1(VALU_DEP_4)
	v_lshrrev_b32_e32 v202, 8, v21
	v_and_b32_e32 v22, 15, v21
	v_lshrrev_b32_e32 v203, 16, v21
	v_bfe_u32 v21, v21, 24, 4
	v_and_b32_e32 v202, 15, v202
	s_delay_alu instid0(VALU_DEP_4) | instskip(NEXT) | instid1(VALU_DEP_4)
	v_cvt_f16_u16_e32 v20, v22
	v_and_b32_e32 v203, 15, v203
	s_delay_alu instid0(VALU_DEP_4) | instskip(NEXT) | instid1(VALU_DEP_4)
	v_cvt_f16_u16_e32 v21, v21
	v_cvt_f16_u16_e64 v22, v202
	s_delay_alu instid0(VALU_DEP_1) | instskip(NEXT) | instid1(VALU_DEP_4)
	v_pack_b32_f16 v20, v20, v22
	v_cvt_f16_u16_e64 v22, v203
	s_delay_alu instid0(VALU_DEP_2) | instskip(NEXT) | instid1(VALU_DEP_2)
	v_pk_fma_f16 v20, v19, v20, v19 op_sel:[0,0,1] op_sel_hi:[0,1,1]
	v_pack_b32_f16 v21, v22, v21
	s_waitcnt lgkmcnt(2)
	s_delay_alu instid0(VALU_DEP_2) | instskip(NEXT) | instid1(VALU_DEP_2)
	v_pk_fma_f16 v198, v15, v20, v198 op_sel_hi:[0,1,1]
	v_pk_fma_f16 v19, v19, v21, v19 op_sel:[0,0,1] op_sel_hi:[0,1,1]
	s_delay_alu instid0(VALU_DEP_1)
	v_pk_fma_f16 v199, v15, v19, v199 op_sel_hi:[0,1,1]
	v_add_co_u32 v19, vcc_lo, v185, s15
	v_add_co_ci_u32_e32 v20, vcc_lo, 0, v186, vcc_lo
	v_add_co_u32 v21, vcc_lo, v183, s15
	v_add_co_ci_u32_e32 v22, vcc_lo, 0, v184, vcc_lo
	global_load_b32 v19, v[19:20], off
	global_load_b32 v21, v[21:22], off
	s_waitcnt vmcnt(0)
	v_ashrrev_i32_e32 v21, v195, v21
	s_delay_alu instid0(VALU_DEP_1) | instskip(SKIP_3) | instid1(VALU_DEP_4)
	v_lshrrev_b32_e32 v202, 8, v21
	v_and_b32_e32 v22, 15, v21
	v_lshrrev_b32_e32 v203, 16, v21
	v_bfe_u32 v21, v21, 24, 4
	v_and_b32_e32 v202, 15, v202
	s_delay_alu instid0(VALU_DEP_4) | instskip(NEXT) | instid1(VALU_DEP_4)
	v_cvt_f16_u16_e32 v20, v22
	v_and_b32_e32 v203, 15, v203
	s_delay_alu instid0(VALU_DEP_4) | instskip(NEXT) | instid1(VALU_DEP_4)
	v_cvt_f16_u16_e32 v21, v21
	v_cvt_f16_u16_e64 v22, v202
	s_delay_alu instid0(VALU_DEP_1) | instskip(NEXT) | instid1(VALU_DEP_4)
	v_pack_b32_f16 v20, v20, v22
	v_cvt_f16_u16_e64 v22, v203
	s_delay_alu instid0(VALU_DEP_2) | instskip(NEXT) | instid1(VALU_DEP_2)
	v_pk_fma_f16 v20, v19, v20, v19 op_sel:[0,0,1] op_sel_hi:[0,1,1]
	v_pack_b32_f16 v21, v22, v21
	s_delay_alu instid0(VALU_DEP_2) | instskip(NEXT) | instid1(VALU_DEP_2)
	v_pk_fma_f16 v198, v15, v20, v198 op_sel:[1,0,0]
	v_pk_fma_f16 v19, v19, v21, v19 op_sel:[0,0,1] op_sel_hi:[0,1,1]
	s_delay_alu instid0(VALU_DEP_1)
	v_pk_fma_f16 v15, v15, v19, v199 op_sel:[1,0,0]
	v_add_co_u32 v19, vcc_lo, v181, s15
	v_add_co_ci_u32_e32 v20, vcc_lo, 0, v182, vcc_lo
	v_add_co_u32 v21, vcc_lo, v179, s15
	v_add_co_ci_u32_e32 v22, vcc_lo, 0, v180, vcc_lo
	global_load_b32 v19, v[19:20], off
	global_load_b32 v21, v[21:22], off
	s_waitcnt vmcnt(0)
	v_ashrrev_i32_e32 v21, v195, v21
	s_delay_alu instid0(VALU_DEP_1) | instskip(SKIP_3) | instid1(VALU_DEP_4)
	v_lshrrev_b32_e32 v199, 8, v21
	v_and_b32_e32 v22, 15, v21
	v_lshrrev_b32_e32 v202, 16, v21
	v_bfe_u32 v21, v21, 24, 4
	v_and_b32_e32 v199, 15, v199
	s_delay_alu instid0(VALU_DEP_4) | instskip(NEXT) | instid1(VALU_DEP_4)
	v_cvt_f16_u16_e32 v20, v22
	v_and_b32_e32 v202, 15, v202
	s_delay_alu instid0(VALU_DEP_4) | instskip(NEXT) | instid1(VALU_DEP_4)
	v_cvt_f16_u16_e32 v21, v21
	v_cvt_f16_u16_e64 v22, v199
	s_delay_alu instid0(VALU_DEP_1) | instskip(NEXT) | instid1(VALU_DEP_4)
	v_pack_b32_f16 v20, v20, v22
	v_cvt_f16_u16_e64 v22, v202
	s_delay_alu instid0(VALU_DEP_2) | instskip(NEXT) | instid1(VALU_DEP_2)
	v_pk_fma_f16 v20, v19, v20, v19 op_sel:[0,0,1] op_sel_hi:[0,1,1]
	v_pack_b32_f16 v21, v22, v21
	s_delay_alu instid0(VALU_DEP_2) | instskip(NEXT) | instid1(VALU_DEP_2)
	v_pk_fma_f16 v198, v16, v20, v198 op_sel_hi:[0,1,1]
	v_pk_fma_f16 v19, v19, v21, v19 op_sel:[0,0,1] op_sel_hi:[0,1,1]
	s_delay_alu instid0(VALU_DEP_1)
	v_pk_fma_f16 v15, v16, v19, v15 op_sel_hi:[0,1,1]
	v_add_co_u32 v19, vcc_lo, v177, s15
	v_add_co_ci_u32_e32 v20, vcc_lo, 0, v178, vcc_lo
	v_add_co_u32 v21, vcc_lo, v175, s15
	v_add_co_ci_u32_e32 v22, vcc_lo, 0, v176, vcc_lo
	global_load_b32 v19, v[19:20], off
	global_load_b32 v21, v[21:22], off
	s_waitcnt vmcnt(0)
	v_ashrrev_i32_e32 v21, v195, v21
	s_delay_alu instid0(VALU_DEP_1) | instskip(SKIP_3) | instid1(VALU_DEP_4)
	v_lshrrev_b32_e32 v199, 8, v21
	v_and_b32_e32 v22, 15, v21
	v_lshrrev_b32_e32 v202, 16, v21
	v_bfe_u32 v21, v21, 24, 4
	v_and_b32_e32 v199, 15, v199
	s_delay_alu instid0(VALU_DEP_4) | instskip(NEXT) | instid1(VALU_DEP_4)
	v_cvt_f16_u16_e32 v20, v22
	v_and_b32_e32 v202, 15, v202
	s_delay_alu instid0(VALU_DEP_4) | instskip(NEXT) | instid1(VALU_DEP_4)
	v_cvt_f16_u16_e32 v21, v21
	v_cvt_f16_u16_e64 v22, v199
	s_delay_alu instid0(VALU_DEP_1) | instskip(NEXT) | instid1(VALU_DEP_4)
	v_pack_b32_f16 v20, v20, v22
	v_cvt_f16_u16_e64 v22, v202
	s_delay_alu instid0(VALU_DEP_2) | instskip(NEXT) | instid1(VALU_DEP_2)
	v_pk_fma_f16 v20, v19, v20, v19 op_sel:[0,0,1] op_sel_hi:[0,1,1]
	v_pack_b32_f16 v21, v22, v21
	s_delay_alu instid0(VALU_DEP_1) | instskip(NEXT) | instid1(VALU_DEP_3)
	v_pk_fma_f16 v19, v19, v21, v19 op_sel:[0,0,1] op_sel_hi:[0,1,1]
	v_pk_fma_f16 v21, v16, v20, v198 op_sel:[1,0,0]
	s_delay_alu instid0(VALU_DEP_2)
	v_pk_fma_f16 v22, v16, v19, v15 op_sel:[1,0,0]
	v_add_co_u32 v15, vcc_lo, v173, s15
	v_add_co_ci_u32_e32 v16, vcc_lo, 0, v174, vcc_lo
	v_add_co_u32 v19, vcc_lo, v171, s15
	v_add_co_ci_u32_e32 v20, vcc_lo, 0, v172, vcc_lo
	global_load_b32 v15, v[15:16], off
	global_load_b32 v19, v[19:20], off
	s_waitcnt vmcnt(0)
	v_ashrrev_i32_e32 v19, v195, v19
	s_delay_alu instid0(VALU_DEP_1) | instskip(SKIP_3) | instid1(VALU_DEP_4)
	v_lshrrev_b32_e32 v198, 8, v19
	v_and_b32_e32 v20, 15, v19
	v_lshrrev_b32_e32 v199, 16, v19
	v_bfe_u32 v19, v19, 24, 4
	v_and_b32_e32 v198, 15, v198
	s_delay_alu instid0(VALU_DEP_4) | instskip(NEXT) | instid1(VALU_DEP_4)
	v_cvt_f16_u16_e32 v16, v20
	v_and_b32_e32 v199, 15, v199
	s_delay_alu instid0(VALU_DEP_4) | instskip(NEXT) | instid1(VALU_DEP_4)
	v_cvt_f16_u16_e32 v19, v19
	v_cvt_f16_u16_e64 v20, v198
	s_delay_alu instid0(VALU_DEP_1) | instskip(NEXT) | instid1(VALU_DEP_4)
	v_pack_b32_f16 v16, v16, v20
	v_cvt_f16_u16_e64 v20, v199
	s_delay_alu instid0(VALU_DEP_2) | instskip(NEXT) | instid1(VALU_DEP_2)
	v_pk_fma_f16 v16, v15, v16, v15 op_sel:[0,0,1] op_sel_hi:[0,1,1]
	v_pack_b32_f16 v19, v20, v19
	s_delay_alu instid0(VALU_DEP_2) | instskip(NEXT) | instid1(VALU_DEP_2)
	v_pk_fma_f16 v21, v17, v16, v21 op_sel_hi:[0,1,1]
	v_pk_fma_f16 v15, v15, v19, v15 op_sel:[0,0,1] op_sel_hi:[0,1,1]
	s_delay_alu instid0(VALU_DEP_1)
	v_pk_fma_f16 v22, v17, v15, v22 op_sel_hi:[0,1,1]
	v_add_co_u32 v15, vcc_lo, v169, s15
	v_add_co_ci_u32_e32 v16, vcc_lo, 0, v170, vcc_lo
	v_add_co_u32 v19, vcc_lo, v167, s15
	v_add_co_ci_u32_e32 v20, vcc_lo, 0, v168, vcc_lo
	global_load_b32 v15, v[15:16], off
	global_load_b32 v19, v[19:20], off
	s_waitcnt vmcnt(0)
	v_ashrrev_i32_e32 v19, v195, v19
	s_delay_alu instid0(VALU_DEP_1) | instskip(SKIP_3) | instid1(VALU_DEP_4)
	v_lshrrev_b32_e32 v198, 8, v19
	v_and_b32_e32 v20, 15, v19
	v_lshrrev_b32_e32 v199, 16, v19
	v_bfe_u32 v19, v19, 24, 4
	v_and_b32_e32 v198, 15, v198
	s_delay_alu instid0(VALU_DEP_4) | instskip(NEXT) | instid1(VALU_DEP_4)
	v_cvt_f16_u16_e32 v16, v20
	v_and_b32_e32 v199, 15, v199
	s_delay_alu instid0(VALU_DEP_4) | instskip(NEXT) | instid1(VALU_DEP_4)
	v_cvt_f16_u16_e32 v19, v19
	v_cvt_f16_u16_e64 v20, v198
	s_delay_alu instid0(VALU_DEP_1) | instskip(NEXT) | instid1(VALU_DEP_4)
	v_pack_b32_f16 v16, v16, v20
	v_cvt_f16_u16_e64 v20, v199
	s_delay_alu instid0(VALU_DEP_2) | instskip(NEXT) | instid1(VALU_DEP_2)
	v_pk_fma_f16 v16, v15, v16, v15 op_sel:[0,0,1] op_sel_hi:[0,1,1]
	v_pack_b32_f16 v19, v20, v19
	s_delay_alu instid0(VALU_DEP_2) | instskip(NEXT) | instid1(VALU_DEP_2)
	v_pk_fma_f16 v21, v17, v16, v21 op_sel:[1,0,0]
	v_pk_fma_f16 v15, v15, v19, v15 op_sel:[0,0,1] op_sel_hi:[0,1,1]
	s_delay_alu instid0(VALU_DEP_1)
	v_pk_fma_f16 v17, v17, v15, v22 op_sel:[1,0,0]
	v_add_co_u32 v15, vcc_lo, v165, s15
	v_add_co_ci_u32_e32 v16, vcc_lo, 0, v166, vcc_lo
	v_add_co_u32 v19, vcc_lo, v163, s15
	v_add_co_ci_u32_e32 v20, vcc_lo, 0, v164, vcc_lo
	global_load_b32 v15, v[15:16], off
	global_load_b32 v19, v[19:20], off
	s_waitcnt vmcnt(0)
	v_ashrrev_i32_e32 v19, v195, v19
	s_delay_alu instid0(VALU_DEP_1) | instskip(SKIP_3) | instid1(VALU_DEP_4)
	v_lshrrev_b32_e32 v22, 8, v19
	v_and_b32_e32 v20, 15, v19
	v_lshrrev_b32_e32 v198, 16, v19
	v_bfe_u32 v19, v19, 24, 4
	v_and_b32_e32 v22, 15, v22
	s_delay_alu instid0(VALU_DEP_4) | instskip(NEXT) | instid1(VALU_DEP_4)
	v_cvt_f16_u16_e32 v16, v20
	v_and_b32_e32 v198, 15, v198
	s_delay_alu instid0(VALU_DEP_4) | instskip(NEXT) | instid1(VALU_DEP_4)
	v_cvt_f16_u16_e32 v19, v19
	v_cvt_f16_u16_e32 v20, v22
	s_delay_alu instid0(VALU_DEP_1) | instskip(NEXT) | instid1(VALU_DEP_4)
	v_pack_b32_f16 v16, v16, v20
	v_cvt_f16_u16_e64 v20, v198
	s_delay_alu instid0(VALU_DEP_2) | instskip(NEXT) | instid1(VALU_DEP_2)
	v_pk_fma_f16 v16, v15, v16, v15 op_sel:[0,0,1] op_sel_hi:[0,1,1]
	v_pack_b32_f16 v19, v20, v19
	s_delay_alu instid0(VALU_DEP_2) | instskip(NEXT) | instid1(VALU_DEP_2)
	v_pk_fma_f16 v21, v18, v16, v21 op_sel_hi:[0,1,1]
	v_pk_fma_f16 v15, v15, v19, v15 op_sel:[0,0,1] op_sel_hi:[0,1,1]
	s_delay_alu instid0(VALU_DEP_1)
	v_pk_fma_f16 v17, v18, v15, v17 op_sel_hi:[0,1,1]
	v_add_co_u32 v15, vcc_lo, v161, s15
	v_add_co_ci_u32_e32 v16, vcc_lo, 0, v162, vcc_lo
	v_add_co_u32 v19, vcc_lo, v159, s15
	v_add_co_ci_u32_e32 v20, vcc_lo, 0, v160, vcc_lo
	global_load_b32 v15, v[15:16], off
	global_load_b32 v19, v[19:20], off
	s_waitcnt vmcnt(0)
	v_ashrrev_i32_e32 v19, v195, v19
	s_delay_alu instid0(VALU_DEP_1) | instskip(SKIP_3) | instid1(VALU_DEP_4)
	v_lshrrev_b32_e32 v22, 8, v19
	v_and_b32_e32 v20, 15, v19
	v_lshrrev_b32_e32 v198, 16, v19
	v_bfe_u32 v19, v19, 24, 4
	v_and_b32_e32 v22, 15, v22
	s_delay_alu instid0(VALU_DEP_4) | instskip(NEXT) | instid1(VALU_DEP_4)
	v_cvt_f16_u16_e32 v16, v20
	v_and_b32_e32 v198, 15, v198
	s_delay_alu instid0(VALU_DEP_4) | instskip(NEXT) | instid1(VALU_DEP_4)
	v_cvt_f16_u16_e32 v19, v19
	v_cvt_f16_u16_e32 v20, v22
	s_delay_alu instid0(VALU_DEP_1) | instskip(NEXT) | instid1(VALU_DEP_4)
	v_pack_b32_f16 v16, v16, v20
	v_cvt_f16_u16_e64 v20, v198
	s_delay_alu instid0(VALU_DEP_2) | instskip(NEXT) | instid1(VALU_DEP_2)
	v_pk_fma_f16 v16, v15, v16, v15 op_sel:[0,0,1] op_sel_hi:[0,1,1]
	v_pack_b32_f16 v19, v20, v19
	s_delay_alu instid0(VALU_DEP_1) | instskip(NEXT) | instid1(VALU_DEP_3)
	v_pk_fma_f16 v15, v15, v19, v15 op_sel:[0,0,1] op_sel_hi:[0,1,1]
	v_pk_fma_f16 v19, v18, v16, v21 op_sel:[1,0,0]
	s_delay_alu instid0(VALU_DEP_2)
	v_pk_fma_f16 v20, v18, v15, v17 op_sel:[1,0,0]
	v_add_co_u32 v15, vcc_lo, v157, s15
	v_add_co_ci_u32_e32 v16, vcc_lo, 0, v158, vcc_lo
	v_add_co_u32 v17, vcc_lo, v155, s15
	v_add_co_ci_u32_e32 v18, vcc_lo, 0, v156, vcc_lo
	global_load_b32 v15, v[15:16], off
	global_load_b32 v17, v[17:18], off
	s_waitcnt vmcnt(0)
	v_ashrrev_i32_e32 v17, v195, v17
	s_delay_alu instid0(VALU_DEP_1) | instskip(SKIP_3) | instid1(VALU_DEP_4)
	v_lshrrev_b32_e32 v21, 8, v17
	v_and_b32_e32 v18, 15, v17
	v_lshrrev_b32_e32 v22, 16, v17
	v_bfe_u32 v17, v17, 24, 4
	v_and_b32_e32 v21, 15, v21
	s_delay_alu instid0(VALU_DEP_4) | instskip(NEXT) | instid1(VALU_DEP_4)
	v_cvt_f16_u16_e32 v16, v18
	v_and_b32_e32 v22, 15, v22
	s_delay_alu instid0(VALU_DEP_4) | instskip(NEXT) | instid1(VALU_DEP_4)
	v_cvt_f16_u16_e32 v17, v17
	v_cvt_f16_u16_e32 v18, v21
	s_delay_alu instid0(VALU_DEP_1) | instskip(NEXT) | instid1(VALU_DEP_4)
	v_pack_b32_f16 v16, v16, v18
	v_cvt_f16_u16_e32 v18, v22
	s_delay_alu instid0(VALU_DEP_2) | instskip(NEXT) | instid1(VALU_DEP_2)
	v_pk_fma_f16 v16, v15, v16, v15 op_sel:[0,0,1] op_sel_hi:[0,1,1]
	v_pack_b32_f16 v17, v18, v17
	s_waitcnt lgkmcnt(1)
	s_delay_alu instid0(VALU_DEP_2) | instskip(NEXT) | instid1(VALU_DEP_2)
	v_pk_fma_f16 v19, v11, v16, v19 op_sel_hi:[0,1,1]
	v_pk_fma_f16 v15, v15, v17, v15 op_sel:[0,0,1] op_sel_hi:[0,1,1]
	s_delay_alu instid0(VALU_DEP_1)
	v_pk_fma_f16 v20, v11, v15, v20 op_sel_hi:[0,1,1]
	v_add_co_u32 v15, vcc_lo, v153, s15
	v_add_co_ci_u32_e32 v16, vcc_lo, 0, v154, vcc_lo
	v_add_co_u32 v17, vcc_lo, v151, s15
	v_add_co_ci_u32_e32 v18, vcc_lo, 0, v152, vcc_lo
	global_load_b32 v15, v[15:16], off
	global_load_b32 v17, v[17:18], off
	s_waitcnt vmcnt(0)
	v_ashrrev_i32_e32 v17, v195, v17
	s_delay_alu instid0(VALU_DEP_1) | instskip(SKIP_3) | instid1(VALU_DEP_4)
	v_lshrrev_b32_e32 v21, 8, v17
	v_and_b32_e32 v18, 15, v17
	v_lshrrev_b32_e32 v22, 16, v17
	v_bfe_u32 v17, v17, 24, 4
	v_and_b32_e32 v21, 15, v21
	s_delay_alu instid0(VALU_DEP_4) | instskip(NEXT) | instid1(VALU_DEP_4)
	v_cvt_f16_u16_e32 v16, v18
	v_and_b32_e32 v22, 15, v22
	s_delay_alu instid0(VALU_DEP_4) | instskip(NEXT) | instid1(VALU_DEP_4)
	v_cvt_f16_u16_e32 v17, v17
	v_cvt_f16_u16_e32 v18, v21
	s_delay_alu instid0(VALU_DEP_1) | instskip(NEXT) | instid1(VALU_DEP_4)
	v_pack_b32_f16 v16, v16, v18
	v_cvt_f16_u16_e32 v18, v22
	s_delay_alu instid0(VALU_DEP_2) | instskip(NEXT) | instid1(VALU_DEP_2)
	v_pk_fma_f16 v16, v15, v16, v15 op_sel:[0,0,1] op_sel_hi:[0,1,1]
	v_pack_b32_f16 v17, v18, v17
	s_delay_alu instid0(VALU_DEP_2) | instskip(NEXT) | instid1(VALU_DEP_2)
	v_pk_fma_f16 v19, v11, v16, v19 op_sel:[1,0,0]
	v_pk_fma_f16 v15, v15, v17, v15 op_sel:[0,0,1] op_sel_hi:[0,1,1]
	s_delay_alu instid0(VALU_DEP_1)
	v_pk_fma_f16 v11, v11, v15, v20 op_sel:[1,0,0]
	v_add_co_u32 v15, vcc_lo, v149, s15
	v_add_co_ci_u32_e32 v16, vcc_lo, 0, v150, vcc_lo
	v_add_co_u32 v17, vcc_lo, v147, s15
	v_add_co_ci_u32_e32 v18, vcc_lo, 0, v148, vcc_lo
	global_load_b32 v15, v[15:16], off
	global_load_b32 v17, v[17:18], off
	s_waitcnt vmcnt(0)
	v_ashrrev_i32_e32 v17, v195, v17
	s_delay_alu instid0(VALU_DEP_1) | instskip(SKIP_3) | instid1(VALU_DEP_4)
	v_lshrrev_b32_e32 v20, 8, v17
	v_and_b32_e32 v18, 15, v17
	v_lshrrev_b32_e32 v21, 16, v17
	v_bfe_u32 v17, v17, 24, 4
	v_and_b32_e32 v20, 15, v20
	s_delay_alu instid0(VALU_DEP_4) | instskip(NEXT) | instid1(VALU_DEP_4)
	v_cvt_f16_u16_e32 v16, v18
	v_and_b32_e32 v21, 15, v21
	s_delay_alu instid0(VALU_DEP_4) | instskip(NEXT) | instid1(VALU_DEP_4)
	v_cvt_f16_u16_e32 v17, v17
	v_cvt_f16_u16_e32 v18, v20
	s_delay_alu instid0(VALU_DEP_1) | instskip(NEXT) | instid1(VALU_DEP_4)
	v_pack_b32_f16 v16, v16, v18
	v_cvt_f16_u16_e32 v18, v21
	s_delay_alu instid0(VALU_DEP_2) | instskip(NEXT) | instid1(VALU_DEP_2)
	v_pk_fma_f16 v16, v15, v16, v15 op_sel:[0,0,1] op_sel_hi:[0,1,1]
	v_pack_b32_f16 v17, v18, v17
	s_delay_alu instid0(VALU_DEP_2) | instskip(NEXT) | instid1(VALU_DEP_2)
	v_pk_fma_f16 v19, v12, v16, v19 op_sel_hi:[0,1,1]
	v_pk_fma_f16 v15, v15, v17, v15 op_sel:[0,0,1] op_sel_hi:[0,1,1]
	s_delay_alu instid0(VALU_DEP_1)
	v_pk_fma_f16 v11, v12, v15, v11 op_sel_hi:[0,1,1]
	v_add_co_u32 v15, vcc_lo, v145, s15
	v_add_co_ci_u32_e32 v16, vcc_lo, 0, v146, vcc_lo
	v_add_co_u32 v17, vcc_lo, v143, s15
	v_add_co_ci_u32_e32 v18, vcc_lo, 0, v144, vcc_lo
	global_load_b32 v15, v[15:16], off
	global_load_b32 v17, v[17:18], off
	s_waitcnt vmcnt(0)
	v_ashrrev_i32_e32 v17, v195, v17
	s_delay_alu instid0(VALU_DEP_1) | instskip(SKIP_3) | instid1(VALU_DEP_4)
	v_lshrrev_b32_e32 v20, 8, v17
	v_and_b32_e32 v18, 15, v17
	v_lshrrev_b32_e32 v21, 16, v17
	v_bfe_u32 v17, v17, 24, 4
	v_and_b32_e32 v20, 15, v20
	s_delay_alu instid0(VALU_DEP_4) | instskip(NEXT) | instid1(VALU_DEP_4)
	v_cvt_f16_u16_e32 v16, v18
	v_and_b32_e32 v21, 15, v21
	s_delay_alu instid0(VALU_DEP_4) | instskip(NEXT) | instid1(VALU_DEP_4)
	v_cvt_f16_u16_e32 v17, v17
	v_cvt_f16_u16_e32 v18, v20
	s_delay_alu instid0(VALU_DEP_1) | instskip(NEXT) | instid1(VALU_DEP_4)
	v_pack_b32_f16 v16, v16, v18
	v_cvt_f16_u16_e32 v18, v21
	s_delay_alu instid0(VALU_DEP_2) | instskip(NEXT) | instid1(VALU_DEP_2)
	v_pk_fma_f16 v16, v15, v16, v15 op_sel:[0,0,1] op_sel_hi:[0,1,1]
	v_pack_b32_f16 v17, v18, v17
	s_delay_alu instid0(VALU_DEP_1) | instskip(NEXT) | instid1(VALU_DEP_3)
	v_pk_fma_f16 v15, v15, v17, v15 op_sel:[0,0,1] op_sel_hi:[0,1,1]
	v_pk_fma_f16 v17, v12, v16, v19 op_sel:[1,0,0]
	s_delay_alu instid0(VALU_DEP_2)
	v_pk_fma_f16 v18, v12, v15, v11 op_sel:[1,0,0]
	v_add_co_u32 v11, vcc_lo, v141, s15
	v_add_co_ci_u32_e32 v12, vcc_lo, 0, v142, vcc_lo
	v_add_co_u32 v15, vcc_lo, v139, s15
	v_add_co_ci_u32_e32 v16, vcc_lo, 0, v140, vcc_lo
	global_load_b32 v11, v[11:12], off
	global_load_b32 v15, v[15:16], off
	s_waitcnt vmcnt(0)
	v_ashrrev_i32_e32 v15, v195, v15
	s_delay_alu instid0(VALU_DEP_1) | instskip(SKIP_3) | instid1(VALU_DEP_4)
	v_lshrrev_b32_e32 v19, 8, v15
	v_and_b32_e32 v16, 15, v15
	v_lshrrev_b32_e32 v20, 16, v15
	v_bfe_u32 v15, v15, 24, 4
	v_and_b32_e32 v19, 15, v19
	s_delay_alu instid0(VALU_DEP_4) | instskip(NEXT) | instid1(VALU_DEP_4)
	v_cvt_f16_u16_e32 v12, v16
	v_and_b32_e32 v20, 15, v20
	s_delay_alu instid0(VALU_DEP_4) | instskip(NEXT) | instid1(VALU_DEP_4)
	v_cvt_f16_u16_e32 v15, v15
	v_cvt_f16_u16_e32 v16, v19
	s_delay_alu instid0(VALU_DEP_1) | instskip(NEXT) | instid1(VALU_DEP_4)
	v_pack_b32_f16 v12, v12, v16
	v_cvt_f16_u16_e32 v16, v20
	s_delay_alu instid0(VALU_DEP_2) | instskip(NEXT) | instid1(VALU_DEP_2)
	v_pk_fma_f16 v12, v11, v12, v11 op_sel:[0,0,1] op_sel_hi:[0,1,1]
	v_pack_b32_f16 v15, v16, v15
	s_delay_alu instid0(VALU_DEP_2) | instskip(NEXT) | instid1(VALU_DEP_2)
	v_pk_fma_f16 v17, v13, v12, v17 op_sel_hi:[0,1,1]
	v_pk_fma_f16 v11, v11, v15, v11 op_sel:[0,0,1] op_sel_hi:[0,1,1]
	s_delay_alu instid0(VALU_DEP_1)
	v_pk_fma_f16 v18, v13, v11, v18 op_sel_hi:[0,1,1]
	v_add_co_u32 v11, vcc_lo, v137, s15
	v_add_co_ci_u32_e32 v12, vcc_lo, 0, v138, vcc_lo
	v_add_co_u32 v15, vcc_lo, v135, s15
	v_add_co_ci_u32_e32 v16, vcc_lo, 0, v136, vcc_lo
	global_load_b32 v11, v[11:12], off
	global_load_b32 v15, v[15:16], off
	s_waitcnt vmcnt(0)
	v_ashrrev_i32_e32 v15, v195, v15
	s_delay_alu instid0(VALU_DEP_1) | instskip(SKIP_3) | instid1(VALU_DEP_4)
	v_lshrrev_b32_e32 v19, 8, v15
	v_and_b32_e32 v16, 15, v15
	v_lshrrev_b32_e32 v20, 16, v15
	v_bfe_u32 v15, v15, 24, 4
	v_and_b32_e32 v19, 15, v19
	s_delay_alu instid0(VALU_DEP_4) | instskip(NEXT) | instid1(VALU_DEP_4)
	v_cvt_f16_u16_e32 v12, v16
	v_and_b32_e32 v20, 15, v20
	s_delay_alu instid0(VALU_DEP_4) | instskip(NEXT) | instid1(VALU_DEP_4)
	v_cvt_f16_u16_e32 v15, v15
	v_cvt_f16_u16_e32 v16, v19
	s_delay_alu instid0(VALU_DEP_1) | instskip(NEXT) | instid1(VALU_DEP_4)
	v_pack_b32_f16 v12, v12, v16
	v_cvt_f16_u16_e32 v16, v20
	s_delay_alu instid0(VALU_DEP_2) | instskip(NEXT) | instid1(VALU_DEP_2)
	v_pk_fma_f16 v12, v11, v12, v11 op_sel:[0,0,1] op_sel_hi:[0,1,1]
	v_pack_b32_f16 v15, v16, v15
	s_delay_alu instid0(VALU_DEP_2) | instskip(NEXT) | instid1(VALU_DEP_2)
	v_pk_fma_f16 v17, v13, v12, v17 op_sel:[1,0,0]
	v_pk_fma_f16 v11, v11, v15, v11 op_sel:[0,0,1] op_sel_hi:[0,1,1]
	s_delay_alu instid0(VALU_DEP_1)
	v_pk_fma_f16 v13, v13, v11, v18 op_sel:[1,0,0]
	v_add_co_u32 v11, vcc_lo, v133, s15
	v_add_co_ci_u32_e32 v12, vcc_lo, 0, v134, vcc_lo
	v_add_co_u32 v15, vcc_lo, v131, s15
	v_add_co_ci_u32_e32 v16, vcc_lo, 0, v132, vcc_lo
	global_load_b32 v11, v[11:12], off
	global_load_b32 v15, v[15:16], off
	s_waitcnt vmcnt(0)
	v_ashrrev_i32_e32 v15, v195, v15
	s_delay_alu instid0(VALU_DEP_1) | instskip(SKIP_3) | instid1(VALU_DEP_4)
	v_lshrrev_b32_e32 v18, 8, v15
	v_and_b32_e32 v16, 15, v15
	v_lshrrev_b32_e32 v19, 16, v15
	v_bfe_u32 v15, v15, 24, 4
	v_and_b32_e32 v18, 15, v18
	s_delay_alu instid0(VALU_DEP_4) | instskip(NEXT) | instid1(VALU_DEP_4)
	v_cvt_f16_u16_e32 v12, v16
	v_and_b32_e32 v19, 15, v19
	s_delay_alu instid0(VALU_DEP_4) | instskip(NEXT) | instid1(VALU_DEP_4)
	v_cvt_f16_u16_e32 v15, v15
	v_cvt_f16_u16_e32 v16, v18
	s_delay_alu instid0(VALU_DEP_1) | instskip(NEXT) | instid1(VALU_DEP_4)
	v_pack_b32_f16 v12, v12, v16
	v_cvt_f16_u16_e32 v16, v19
	s_delay_alu instid0(VALU_DEP_2) | instskip(NEXT) | instid1(VALU_DEP_2)
	v_pk_fma_f16 v12, v11, v12, v11 op_sel:[0,0,1] op_sel_hi:[0,1,1]
	v_pack_b32_f16 v15, v16, v15
	s_delay_alu instid0(VALU_DEP_2) | instskip(NEXT) | instid1(VALU_DEP_2)
	v_pk_fma_f16 v17, v14, v12, v17 op_sel_hi:[0,1,1]
	v_pk_fma_f16 v11, v11, v15, v11 op_sel:[0,0,1] op_sel_hi:[0,1,1]
	s_delay_alu instid0(VALU_DEP_1)
	v_pk_fma_f16 v13, v14, v11, v13 op_sel_hi:[0,1,1]
	v_add_co_u32 v11, vcc_lo, v129, s15
	v_add_co_ci_u32_e32 v12, vcc_lo, 0, v130, vcc_lo
	v_add_co_u32 v15, vcc_lo, v127, s15
	v_add_co_ci_u32_e32 v16, vcc_lo, 0, v128, vcc_lo
	global_load_b32 v11, v[11:12], off
	global_load_b32 v15, v[15:16], off
	s_waitcnt vmcnt(0)
	v_ashrrev_i32_e32 v15, v195, v15
	s_delay_alu instid0(VALU_DEP_1) | instskip(SKIP_3) | instid1(VALU_DEP_4)
	v_lshrrev_b32_e32 v18, 8, v15
	v_and_b32_e32 v16, 15, v15
	v_lshrrev_b32_e32 v19, 16, v15
	v_bfe_u32 v15, v15, 24, 4
	v_and_b32_e32 v18, 15, v18
	s_delay_alu instid0(VALU_DEP_4) | instskip(NEXT) | instid1(VALU_DEP_4)
	v_cvt_f16_u16_e32 v12, v16
	v_and_b32_e32 v19, 15, v19
	s_delay_alu instid0(VALU_DEP_4) | instskip(NEXT) | instid1(VALU_DEP_4)
	v_cvt_f16_u16_e32 v15, v15
	v_cvt_f16_u16_e32 v16, v18
	s_delay_alu instid0(VALU_DEP_1) | instskip(NEXT) | instid1(VALU_DEP_4)
	v_pack_b32_f16 v12, v12, v16
	v_cvt_f16_u16_e32 v16, v19
	s_delay_alu instid0(VALU_DEP_2) | instskip(NEXT) | instid1(VALU_DEP_2)
	v_pk_fma_f16 v12, v11, v12, v11 op_sel:[0,0,1] op_sel_hi:[0,1,1]
	v_pack_b32_f16 v15, v16, v15
	s_delay_alu instid0(VALU_DEP_1) | instskip(NEXT) | instid1(VALU_DEP_3)
	v_pk_fma_f16 v11, v11, v15, v11 op_sel:[0,0,1] op_sel_hi:[0,1,1]
	v_pk_fma_f16 v15, v14, v12, v17 op_sel:[1,0,0]
	s_delay_alu instid0(VALU_DEP_2)
	v_pk_fma_f16 v16, v14, v11, v13 op_sel:[1,0,0]
	v_add_co_u32 v11, vcc_lo, v125, s15
	v_add_co_ci_u32_e32 v12, vcc_lo, 0, v126, vcc_lo
	v_add_co_u32 v13, vcc_lo, v123, s15
	v_add_co_ci_u32_e32 v14, vcc_lo, 0, v124, vcc_lo
	global_load_b32 v11, v[11:12], off
	global_load_b32 v13, v[13:14], off
	s_waitcnt vmcnt(0)
	v_ashrrev_i32_e32 v13, v195, v13
	s_delay_alu instid0(VALU_DEP_1) | instskip(SKIP_3) | instid1(VALU_DEP_4)
	v_lshrrev_b32_e32 v17, 8, v13
	v_and_b32_e32 v14, 15, v13
	v_lshrrev_b32_e32 v18, 16, v13
	v_bfe_u32 v13, v13, 24, 4
	v_and_b32_e32 v17, 15, v17
	s_delay_alu instid0(VALU_DEP_4) | instskip(NEXT) | instid1(VALU_DEP_4)
	v_cvt_f16_u16_e32 v12, v14
	v_and_b32_e32 v18, 15, v18
	s_delay_alu instid0(VALU_DEP_4) | instskip(NEXT) | instid1(VALU_DEP_4)
	v_cvt_f16_u16_e32 v13, v13
	v_cvt_f16_u16_e32 v14, v17
	s_delay_alu instid0(VALU_DEP_1) | instskip(NEXT) | instid1(VALU_DEP_4)
	v_pack_b32_f16 v12, v12, v14
	v_cvt_f16_u16_e32 v14, v18
	s_delay_alu instid0(VALU_DEP_2) | instskip(NEXT) | instid1(VALU_DEP_2)
	v_pk_fma_f16 v12, v11, v12, v11 op_sel:[0,0,1] op_sel_hi:[0,1,1]
	v_pack_b32_f16 v13, v14, v13
	s_waitcnt lgkmcnt(0)
	s_delay_alu instid0(VALU_DEP_2) | instskip(NEXT) | instid1(VALU_DEP_2)
	v_pk_fma_f16 v15, v7, v12, v15 op_sel_hi:[0,1,1]
	v_pk_fma_f16 v11, v11, v13, v11 op_sel:[0,0,1] op_sel_hi:[0,1,1]
	s_delay_alu instid0(VALU_DEP_1)
	v_pk_fma_f16 v16, v7, v11, v16 op_sel_hi:[0,1,1]
	v_add_co_u32 v11, vcc_lo, v121, s15
	v_add_co_ci_u32_e32 v12, vcc_lo, 0, v122, vcc_lo
	v_add_co_u32 v13, vcc_lo, v119, s15
	v_add_co_ci_u32_e32 v14, vcc_lo, 0, v120, vcc_lo
	global_load_b32 v11, v[11:12], off
	global_load_b32 v13, v[13:14], off
	s_waitcnt vmcnt(0)
	v_ashrrev_i32_e32 v13, v195, v13
	s_delay_alu instid0(VALU_DEP_1) | instskip(SKIP_3) | instid1(VALU_DEP_4)
	v_lshrrev_b32_e32 v17, 8, v13
	v_and_b32_e32 v14, 15, v13
	v_lshrrev_b32_e32 v18, 16, v13
	v_bfe_u32 v13, v13, 24, 4
	v_and_b32_e32 v17, 15, v17
	s_delay_alu instid0(VALU_DEP_4) | instskip(NEXT) | instid1(VALU_DEP_4)
	v_cvt_f16_u16_e32 v12, v14
	v_and_b32_e32 v18, 15, v18
	s_delay_alu instid0(VALU_DEP_4) | instskip(NEXT) | instid1(VALU_DEP_4)
	v_cvt_f16_u16_e32 v13, v13
	v_cvt_f16_u16_e32 v14, v17
	s_delay_alu instid0(VALU_DEP_1) | instskip(NEXT) | instid1(VALU_DEP_4)
	v_pack_b32_f16 v12, v12, v14
	v_cvt_f16_u16_e32 v14, v18
	s_delay_alu instid0(VALU_DEP_2) | instskip(NEXT) | instid1(VALU_DEP_2)
	v_pk_fma_f16 v12, v11, v12, v11 op_sel:[0,0,1] op_sel_hi:[0,1,1]
	v_pack_b32_f16 v13, v14, v13
	s_delay_alu instid0(VALU_DEP_2) | instskip(NEXT) | instid1(VALU_DEP_2)
	v_pk_fma_f16 v15, v7, v12, v15 op_sel:[1,0,0]
	v_pk_fma_f16 v11, v11, v13, v11 op_sel:[0,0,1] op_sel_hi:[0,1,1]
	s_delay_alu instid0(VALU_DEP_1)
	v_pk_fma_f16 v7, v7, v11, v16 op_sel:[1,0,0]
	v_add_co_u32 v11, vcc_lo, v117, s15
	v_add_co_ci_u32_e32 v12, vcc_lo, 0, v118, vcc_lo
	v_add_co_u32 v13, vcc_lo, v115, s15
	v_add_co_ci_u32_e32 v14, vcc_lo, 0, v116, vcc_lo
	global_load_b32 v11, v[11:12], off
	global_load_b32 v13, v[13:14], off
	s_waitcnt vmcnt(0)
	v_ashrrev_i32_e32 v13, v195, v13
	s_delay_alu instid0(VALU_DEP_1) | instskip(SKIP_3) | instid1(VALU_DEP_4)
	v_lshrrev_b32_e32 v16, 8, v13
	v_and_b32_e32 v14, 15, v13
	v_lshrrev_b32_e32 v17, 16, v13
	v_bfe_u32 v13, v13, 24, 4
	v_and_b32_e32 v16, 15, v16
	s_delay_alu instid0(VALU_DEP_4) | instskip(NEXT) | instid1(VALU_DEP_4)
	v_cvt_f16_u16_e32 v12, v14
	v_and_b32_e32 v17, 15, v17
	s_delay_alu instid0(VALU_DEP_4) | instskip(NEXT) | instid1(VALU_DEP_4)
	v_cvt_f16_u16_e32 v13, v13
	v_cvt_f16_u16_e32 v14, v16
	s_delay_alu instid0(VALU_DEP_1) | instskip(NEXT) | instid1(VALU_DEP_4)
	v_pack_b32_f16 v12, v12, v14
	v_cvt_f16_u16_e32 v14, v17
	s_delay_alu instid0(VALU_DEP_2) | instskip(NEXT) | instid1(VALU_DEP_2)
	v_pk_fma_f16 v12, v11, v12, v11 op_sel:[0,0,1] op_sel_hi:[0,1,1]
	v_pack_b32_f16 v13, v14, v13
	s_delay_alu instid0(VALU_DEP_2) | instskip(NEXT) | instid1(VALU_DEP_2)
	v_pk_fma_f16 v15, v8, v12, v15 op_sel_hi:[0,1,1]
	v_pk_fma_f16 v11, v11, v13, v11 op_sel:[0,0,1] op_sel_hi:[0,1,1]
	s_delay_alu instid0(VALU_DEP_1)
	v_pk_fma_f16 v7, v8, v11, v7 op_sel_hi:[0,1,1]
	v_add_co_u32 v11, vcc_lo, v113, s15
	v_add_co_ci_u32_e32 v12, vcc_lo, 0, v114, vcc_lo
	v_add_co_u32 v13, vcc_lo, v111, s15
	v_add_co_ci_u32_e32 v14, vcc_lo, 0, v112, vcc_lo
	global_load_b32 v11, v[11:12], off
	global_load_b32 v13, v[13:14], off
	s_waitcnt vmcnt(0)
	v_ashrrev_i32_e32 v13, v195, v13
	s_delay_alu instid0(VALU_DEP_1) | instskip(SKIP_3) | instid1(VALU_DEP_4)
	v_lshrrev_b32_e32 v16, 8, v13
	v_and_b32_e32 v14, 15, v13
	v_lshrrev_b32_e32 v17, 16, v13
	v_bfe_u32 v13, v13, 24, 4
	v_and_b32_e32 v16, 15, v16
	s_delay_alu instid0(VALU_DEP_4) | instskip(NEXT) | instid1(VALU_DEP_4)
	v_cvt_f16_u16_e32 v12, v14
	v_and_b32_e32 v17, 15, v17
	s_delay_alu instid0(VALU_DEP_4) | instskip(NEXT) | instid1(VALU_DEP_4)
	v_cvt_f16_u16_e32 v13, v13
	v_cvt_f16_u16_e32 v14, v16
	s_delay_alu instid0(VALU_DEP_1) | instskip(NEXT) | instid1(VALU_DEP_4)
	v_pack_b32_f16 v12, v12, v14
	v_cvt_f16_u16_e32 v14, v17
	s_delay_alu instid0(VALU_DEP_2) | instskip(NEXT) | instid1(VALU_DEP_2)
	v_pk_fma_f16 v12, v11, v12, v11 op_sel:[0,0,1] op_sel_hi:[0,1,1]
	v_pack_b32_f16 v13, v14, v13
	s_delay_alu instid0(VALU_DEP_1) | instskip(NEXT) | instid1(VALU_DEP_3)
	v_pk_fma_f16 v11, v11, v13, v11 op_sel:[0,0,1] op_sel_hi:[0,1,1]
	v_pk_fma_f16 v13, v8, v12, v15 op_sel:[1,0,0]
	s_delay_alu instid0(VALU_DEP_2)
	v_pk_fma_f16 v14, v8, v11, v7 op_sel:[1,0,0]
	v_add_co_u32 v7, vcc_lo, v109, s15
	v_add_co_ci_u32_e32 v8, vcc_lo, 0, v110, vcc_lo
	v_add_co_u32 v11, vcc_lo, v107, s15
	v_add_co_ci_u32_e32 v12, vcc_lo, 0, v108, vcc_lo
	global_load_b32 v7, v[7:8], off
	global_load_b32 v11, v[11:12], off
	s_waitcnt vmcnt(0)
	v_ashrrev_i32_e32 v11, v195, v11
	s_delay_alu instid0(VALU_DEP_1) | instskip(SKIP_3) | instid1(VALU_DEP_4)
	v_lshrrev_b32_e32 v15, 8, v11
	v_and_b32_e32 v12, 15, v11
	v_lshrrev_b32_e32 v16, 16, v11
	v_bfe_u32 v11, v11, 24, 4
	v_and_b32_e32 v15, 15, v15
	s_delay_alu instid0(VALU_DEP_4) | instskip(NEXT) | instid1(VALU_DEP_4)
	v_cvt_f16_u16_e32 v8, v12
	v_and_b32_e32 v16, 15, v16
	s_delay_alu instid0(VALU_DEP_4) | instskip(NEXT) | instid1(VALU_DEP_4)
	v_cvt_f16_u16_e32 v11, v11
	v_cvt_f16_u16_e32 v12, v15
	s_delay_alu instid0(VALU_DEP_1) | instskip(NEXT) | instid1(VALU_DEP_4)
	v_pack_b32_f16 v8, v8, v12
	v_cvt_f16_u16_e32 v12, v16
	s_delay_alu instid0(VALU_DEP_2) | instskip(NEXT) | instid1(VALU_DEP_2)
	v_pk_fma_f16 v8, v7, v8, v7 op_sel:[0,0,1] op_sel_hi:[0,1,1]
	v_pack_b32_f16 v11, v12, v11
	s_delay_alu instid0(VALU_DEP_2) | instskip(NEXT) | instid1(VALU_DEP_2)
	v_pk_fma_f16 v13, v9, v8, v13 op_sel_hi:[0,1,1]
	v_pk_fma_f16 v7, v7, v11, v7 op_sel:[0,0,1] op_sel_hi:[0,1,1]
	s_delay_alu instid0(VALU_DEP_1)
	v_pk_fma_f16 v14, v9, v7, v14 op_sel_hi:[0,1,1]
	v_add_co_u32 v7, vcc_lo, v105, s15
	v_add_co_ci_u32_e32 v8, vcc_lo, 0, v106, vcc_lo
	v_add_co_u32 v11, vcc_lo, v103, s15
	v_add_co_ci_u32_e32 v12, vcc_lo, 0, v104, vcc_lo
	global_load_b32 v7, v[7:8], off
	global_load_b32 v11, v[11:12], off
	s_waitcnt vmcnt(0)
	v_ashrrev_i32_e32 v11, v195, v11
	s_delay_alu instid0(VALU_DEP_1) | instskip(SKIP_3) | instid1(VALU_DEP_4)
	v_lshrrev_b32_e32 v15, 8, v11
	v_and_b32_e32 v12, 15, v11
	v_lshrrev_b32_e32 v16, 16, v11
	v_bfe_u32 v11, v11, 24, 4
	v_and_b32_e32 v15, 15, v15
	s_delay_alu instid0(VALU_DEP_4) | instskip(NEXT) | instid1(VALU_DEP_4)
	v_cvt_f16_u16_e32 v8, v12
	v_and_b32_e32 v16, 15, v16
	s_delay_alu instid0(VALU_DEP_4) | instskip(NEXT) | instid1(VALU_DEP_4)
	v_cvt_f16_u16_e32 v11, v11
	v_cvt_f16_u16_e32 v12, v15
	s_delay_alu instid0(VALU_DEP_1) | instskip(NEXT) | instid1(VALU_DEP_4)
	v_pack_b32_f16 v8, v8, v12
	v_cvt_f16_u16_e32 v12, v16
	s_delay_alu instid0(VALU_DEP_2) | instskip(NEXT) | instid1(VALU_DEP_2)
	v_pk_fma_f16 v8, v7, v8, v7 op_sel:[0,0,1] op_sel_hi:[0,1,1]
	v_pack_b32_f16 v11, v12, v11
	s_delay_alu instid0(VALU_DEP_2) | instskip(NEXT) | instid1(VALU_DEP_2)
	v_pk_fma_f16 v13, v9, v8, v13 op_sel:[1,0,0]
	v_pk_fma_f16 v7, v7, v11, v7 op_sel:[0,0,1] op_sel_hi:[0,1,1]
	s_delay_alu instid0(VALU_DEP_1)
	v_pk_fma_f16 v9, v9, v7, v14 op_sel:[1,0,0]
	v_add_co_u32 v7, vcc_lo, v101, s15
	v_add_co_ci_u32_e32 v8, vcc_lo, 0, v102, vcc_lo
	v_add_co_u32 v11, vcc_lo, v99, s15
	v_add_co_ci_u32_e32 v12, vcc_lo, 0, v100, vcc_lo
	global_load_b32 v7, v[7:8], off
	global_load_b32 v11, v[11:12], off
	s_waitcnt vmcnt(0)
	v_ashrrev_i32_e32 v11, v195, v11
	s_delay_alu instid0(VALU_DEP_1) | instskip(SKIP_3) | instid1(VALU_DEP_4)
	v_lshrrev_b32_e32 v14, 8, v11
	v_and_b32_e32 v12, 15, v11
	v_lshrrev_b32_e32 v15, 16, v11
	v_bfe_u32 v11, v11, 24, 4
	v_and_b32_e32 v14, 15, v14
	s_delay_alu instid0(VALU_DEP_4) | instskip(NEXT) | instid1(VALU_DEP_4)
	v_cvt_f16_u16_e32 v8, v12
	v_and_b32_e32 v15, 15, v15
	s_delay_alu instid0(VALU_DEP_4) | instskip(NEXT) | instid1(VALU_DEP_4)
	v_cvt_f16_u16_e32 v11, v11
	v_cvt_f16_u16_e32 v12, v14
	v_add_co_u32 v14, vcc_lo, v97, s15
	s_delay_alu instid0(VALU_DEP_2) | instskip(SKIP_2) | instid1(VALU_DEP_3)
	v_pack_b32_f16 v8, v8, v12
	v_cvt_f16_u16_e32 v12, v15
	v_add_co_ci_u32_e32 v15, vcc_lo, 0, v98, vcc_lo
	v_pk_fma_f16 v8, v7, v8, v7 op_sel:[0,0,1] op_sel_hi:[0,1,1]
	s_delay_alu instid0(VALU_DEP_3) | instskip(SKIP_3) | instid1(VALU_DEP_2)
	v_pack_b32_f16 v11, v12, v11
	global_load_b32 v14, v[14:15], off
	v_pk_fma_f16 v11, v7, v11, v7 op_sel:[0,0,1] op_sel_hi:[0,1,1]
	v_pk_fma_f16 v7, v10, v8, v13 op_sel_hi:[0,1,1]
	v_pk_fma_f16 v8, v10, v11, v9 op_sel_hi:[0,1,1]
	v_add_co_u32 v11, vcc_lo, v95, s15
	v_add_co_ci_u32_e32 v12, vcc_lo, 0, v96, vcc_lo
	v_add_co_u32 v55, vcc_lo, v55, s9
	v_add_co_ci_u32_e32 v56, vcc_lo, 0, v56, vcc_lo
	global_load_b32 v9, v[11:12], off
	v_add_co_u32 v57, vcc_lo, v57, s9
	v_add_co_ci_u32_e32 v58, vcc_lo, 0, v58, vcc_lo
	v_add_co_u32 v39, vcc_lo, v39, s10
	v_add_co_ci_u32_e32 v40, vcc_lo, s11, v40, vcc_lo
	;; [unrolled: 2-line block ×68, first 2 shown]
	s_waitcnt vmcnt(0)
	v_ashrrev_i32_e32 v11, v195, v9
	s_delay_alu instid0(VALU_DEP_1) | instskip(SKIP_1) | instid1(VALU_DEP_2)
	v_lshrrev_b32_e32 v9, 8, v11
	v_and_b32_e32 v12, 15, v11
	v_and_b32_e32 v13, 15, v9
	v_lshrrev_b32_e32 v9, 16, v11
	v_bfe_u32 v11, v11, 24, 4
	s_delay_alu instid0(VALU_DEP_4) | instskip(NEXT) | instid1(VALU_DEP_4)
	v_cvt_f16_u16_e32 v12, v12
	v_cvt_f16_u16_e32 v13, v13
	s_delay_alu instid0(VALU_DEP_4) | instskip(NEXT) | instid1(VALU_DEP_4)
	v_and_b32_e32 v9, 15, v9
	v_cvt_f16_u16_e32 v11, v11
	s_delay_alu instid0(VALU_DEP_3) | instskip(NEXT) | instid1(VALU_DEP_3)
	v_pack_b32_f16 v12, v12, v13
	v_cvt_f16_u16_e32 v9, v9
	s_delay_alu instid0(VALU_DEP_2) | instskip(NEXT) | instid1(VALU_DEP_2)
	v_pk_fma_f16 v12, v14, v12, v14 op_sel:[0,0,1] op_sel_hi:[0,1,1]
	v_pack_b32_f16 v9, v9, v11
	s_delay_alu instid0(VALU_DEP_2) | instskip(NEXT) | instid1(VALU_DEP_2)
	v_pk_fma_f16 v198, v10, v12, v7 op_sel:[1,0,0]
	v_pk_fma_f16 v9, v14, v9, v14 op_sel:[0,0,1] op_sel_hi:[0,1,1]
	s_delay_alu instid0(VALU_DEP_1)
	v_pk_fma_f16 v199, v10, v9, v8 op_sel:[1,0,0]
	s_cbranch_scc1 .LBB14_17
; %bb.16:                               ;   in Loop: Header=BB14_11 Depth=1
	v_dual_mov_b32 v11, v200 :: v_dual_mov_b32 v196, v197
	s_branch .LBB14_11
.LBB14_17:
	v_or_b32_e32 v0, s14, v41
	s_cmp_lg_u64 s[24:25], 0
	s_cselect_b32 s3, -1, 0
	s_delay_alu instid0(VALU_DEP_1) | instskip(SKIP_1) | instid1(SALU_CYCLE_1)
	v_cmp_eq_u32_e32 vcc_lo, 0, v0
	s_and_b32 s4, vcc_lo, s3
	s_and_saveexec_b32 s3, s4
	s_cbranch_execz .LBB14_19
; %bb.18:
	s_lshl_b64 s[4:5], s[36:37], 2
	v_max_f32_e32 v0, v200, v200
	s_add_u32 s4, s24, s4
	s_addc_u32 s5, s25, s5
	s_load_b32 s4, s[4:5], 0x0
	s_waitcnt lgkmcnt(0)
	v_max_f32_e64 v1, s4, s4
	s_delay_alu instid0(VALU_DEP_1) | instskip(NEXT) | instid1(VALU_DEP_1)
	v_max_f32_e32 v0, v1, v0
	v_sub_f32_e32 v1, s4, v0
	s_delay_alu instid0(VALU_DEP_1) | instskip(NEXT) | instid1(VALU_DEP_1)
	v_mul_f32_e32 v3, 0x3fb8aa3b, v1
	v_fma_f32 v5, 0x3fb8aa3b, v1, -v3
	v_rndne_f32_e32 v6, v3
	s_delay_alu instid0(VALU_DEP_2) | instskip(NEXT) | instid1(VALU_DEP_2)
	v_dual_fmac_f32 v5, 0x32a5705f, v1 :: v_dual_sub_f32 v2, v200, v0
	v_dual_sub_f32 v3, v3, v6 :: v_dual_mov_b32 v200, v0
	s_delay_alu instid0(VALU_DEP_2) | instskip(SKIP_1) | instid1(VALU_DEP_2)
	v_mul_f32_e32 v4, 0x3fb8aa3b, v2
	v_cmp_ngt_f32_e32 vcc_lo, 0xc2ce8ed0, v1
	v_fma_f32 v7, 0x3fb8aa3b, v2, -v4
	v_rndne_f32_e32 v8, v4
	s_delay_alu instid0(VALU_DEP_1) | instskip(SKIP_3) | instid1(VALU_DEP_4)
	v_dual_fmac_f32 v7, 0x32a5705f, v2 :: v_dual_sub_f32 v4, v4, v8
	v_add_f32_e32 v3, v3, v5
	v_cvt_i32_f32_e32 v5, v6
	v_cvt_i32_f32_e32 v6, v8
	v_add_f32_e32 v4, v4, v7
	s_delay_alu instid0(VALU_DEP_4) | instskip(NEXT) | instid1(VALU_DEP_1)
	v_exp_f32_e32 v3, v3
	v_exp_f32_e32 v4, v4
	s_waitcnt_depctr 0xfff
	v_ldexp_f32 v3, v3, v5
	v_ldexp_f32 v4, v4, v6
	s_delay_alu instid0(VALU_DEP_2) | instskip(SKIP_1) | instid1(VALU_DEP_3)
	v_cndmask_b32_e32 v3, 0, v3, vcc_lo
	v_cmp_ngt_f32_e32 vcc_lo, 0xc2ce8ed0, v2
	v_cndmask_b32_e32 v4, 0, v4, vcc_lo
	v_cmp_nlt_f32_e32 vcc_lo, 0x42b17218, v1
	s_delay_alu instid0(VALU_DEP_4) | instskip(SKIP_1) | instid1(VALU_DEP_4)
	v_cndmask_b32_e32 v1, 0x7f800000, v3, vcc_lo
	v_cmp_nlt_f32_e32 vcc_lo, 0x42b17218, v2
	v_cndmask_b32_e32 v2, 0x7f800000, v4, vcc_lo
	v_cmp_eq_u32_e32 vcc_lo, 0, v42
	s_delay_alu instid0(VALU_DEP_4) | instskip(NEXT) | instid1(VALU_DEP_1)
	v_cndmask_b32_e32 v1, 0, v1, vcc_lo
	v_fmac_f32_e32 v1, v197, v2
	s_delay_alu instid0(VALU_DEP_1) | instskip(SKIP_1) | instid1(VALU_DEP_1)
	v_mov_b32_e32 v197, v1
	v_cvt_f16_f32_e32 v3, v2
	v_pk_mul_f16 v198, v3, v198 op_sel_hi:[0,1]
	v_pk_mul_f16 v199, v3, v199 op_sel_hi:[0,1]
.LBB14_19:
	s_or_b32 exec_lo, exec_lo, s3
	s_and_saveexec_b32 s3, s2
	s_cbranch_execz .LBB14_21
; %bb.20:
	v_dual_mov_b32 v0, 0xfeffffff :: v_dual_mov_b32 v1, 0
	v_add_nc_u32_e32 v2, 0x400, v47
	ds_store_2addr_b32 v2, v0, v1 offset1:32
.LBB14_21:
	s_or_b32 exec_lo, exec_lo, s3
	v_cmp_eq_u32_e32 vcc_lo, 0, v42
	v_lshlrev_b32_e32 v2, 2, v41
	s_waitcnt lgkmcnt(0)
	s_barrier
	buffer_gl0_inv
	s_and_saveexec_b32 s2, vcc_lo
	s_cbranch_execz .LBB14_23
; %bb.22:
	ds_store_b32 v2, v200 offset:1024
.LBB14_23:
	s_or_b32 exec_lo, exec_lo, s2
	s_waitcnt lgkmcnt(0)
	s_barrier
	buffer_gl0_inv
	ds_load_b32 v0, v47 offset:1024
	v_xor_b32_e32 v1, 16, v43
	v_xor_b32_e32 v4, 8, v43
	v_lshlrev_b32_e32 v11, 3, v42
	s_delay_alu instid0(VALU_DEP_3) | instskip(NEXT) | instid1(VALU_DEP_2)
	v_cmp_gt_i32_e64 s2, 32, v1
	v_lshl_add_u32 v11, v41, 8, v11
	s_delay_alu instid0(VALU_DEP_2) | instskip(SKIP_1) | instid1(VALU_DEP_2)
	v_cndmask_b32_e64 v1, v43, v1, s2
	v_cmp_gt_i32_e64 s2, 32, v4
	v_lshlrev_b32_e32 v1, 2, v1
	s_delay_alu instid0(VALU_DEP_2) | instskip(SKIP_4) | instid1(VALU_DEP_1)
	v_cndmask_b32_e64 v4, v43, v4, s2
	s_waitcnt lgkmcnt(0)
	ds_bpermute_b32 v3, v1, v0
	s_waitcnt lgkmcnt(0)
	v_dual_max_f32 v0, v0, v0 :: v_dual_max_f32 v5, v3, v3
	v_dual_max_f32 v0, v0, v5 :: v_dual_lshlrev_b32 v3, 2, v4
	v_xor_b32_e32 v5, 4, v43
	ds_bpermute_b32 v4, v3, v0
	v_cmp_gt_i32_e64 s2, 32, v5
	s_delay_alu instid0(VALU_DEP_1) | instskip(SKIP_2) | instid1(VALU_DEP_2)
	v_cndmask_b32_e64 v5, v43, v5, s2
	s_waitcnt lgkmcnt(0)
	v_max_f32_e32 v6, v4, v4
	v_lshlrev_b32_e32 v4, 2, v5
	s_delay_alu instid0(VALU_DEP_2) | instskip(SKIP_3) | instid1(VALU_DEP_1)
	v_max_f32_e32 v0, v0, v6
	v_xor_b32_e32 v6, 2, v43
	ds_bpermute_b32 v5, v4, v0
	v_cmp_gt_i32_e64 s2, 32, v6
	v_cndmask_b32_e64 v6, v43, v6, s2
	s_waitcnt lgkmcnt(0)
	v_max_f32_e32 v7, v5, v5
	s_delay_alu instid0(VALU_DEP_1) | instskip(SKIP_3) | instid1(VALU_DEP_1)
	v_dual_max_f32 v0, v0, v7 :: v_dual_lshlrev_b32 v5, 2, v6
	v_xor_b32_e32 v7, 1, v43
	ds_bpermute_b32 v6, v5, v0
	v_cmp_gt_i32_e64 s2, 32, v7
	v_cndmask_b32_e64 v7, v43, v7, s2
	s_waitcnt lgkmcnt(0)
	v_max_f32_e32 v8, v6, v6
	s_delay_alu instid0(VALU_DEP_2) | instskip(NEXT) | instid1(VALU_DEP_2)
	v_lshlrev_b32_e32 v6, 2, v7
	v_max_f32_e32 v0, v0, v8
	ds_bpermute_b32 v7, v6, v0
	s_waitcnt lgkmcnt(0)
	v_max_f32_e32 v7, v7, v7
	s_delay_alu instid0(VALU_DEP_1) | instskip(NEXT) | instid1(VALU_DEP_1)
	v_max_f32_e32 v0, v0, v7
	v_sub_f32_e32 v7, v200, v0
	s_delay_alu instid0(VALU_DEP_1) | instskip(SKIP_1) | instid1(VALU_DEP_2)
	v_mul_f32_e32 v8, 0x3fb8aa3b, v7
	v_cmp_ngt_f32_e64 s2, 0xc2ce8ed0, v7
	v_fma_f32 v9, 0x3fb8aa3b, v7, -v8
	v_rndne_f32_e32 v10, v8
	s_delay_alu instid0(VALU_DEP_1) | instskip(NEXT) | instid1(VALU_DEP_1)
	v_dual_fmamk_f32 v9, v7, 0x32a5705f, v9 :: v_dual_sub_f32 v8, v8, v10
	v_add_f32_e32 v8, v8, v9
	v_cvt_i32_f32_e32 v9, v10
	s_delay_alu instid0(VALU_DEP_2) | instskip(SKIP_2) | instid1(VALU_DEP_1)
	v_exp_f32_e32 v8, v8
	s_waitcnt_depctr 0xfff
	v_ldexp_f32 v8, v8, v9
	v_cndmask_b32_e64 v8, 0, v8, s2
	v_cmp_nlt_f32_e64 s2, 0x42b17218, v7
	s_delay_alu instid0(VALU_DEP_1) | instskip(NEXT) | instid1(VALU_DEP_1)
	v_cndmask_b32_e64 v9, 0x7f800000, v8, s2
	v_mul_f32_e32 v7, v197, v9
	v_cvt_f16_f32_e32 v10, v9
	ds_bpermute_b32 v7, v1, v7
	s_waitcnt lgkmcnt(0)
	v_fmac_f32_e32 v7, v197, v9
	v_pk_mul_f16 v9, v10, v198 op_sel_hi:[0,1]
	v_pk_mul_f16 v10, v10, v199 op_sel_hi:[0,1]
	ds_bpermute_b32 v8, v3, v7
	ds_store_b64 v11, v[9:10]
	s_waitcnt lgkmcnt(1)
	v_add_f32_e32 v7, v7, v8
	ds_bpermute_b32 v8, v4, v7
	s_waitcnt lgkmcnt(0)
	v_add_f32_e32 v7, v7, v8
	ds_bpermute_b32 v8, v5, v7
	;; [unrolled: 3-line block ×3, first 2 shown]
	s_and_saveexec_b32 s2, vcc_lo
	s_cbranch_execz .LBB14_25
; %bb.24:
	s_waitcnt lgkmcnt(0)
	v_add_f32_e32 v7, v7, v8
	ds_store_b32 v2, v7 offset:1152
.LBB14_25:
	s_or_b32 exec_lo, exec_lo, s2
	s_waitcnt lgkmcnt(0)
	s_barrier
	buffer_gl0_inv
	ds_load_b32 v2, v47 offset:1152
	ds_load_u16 v7, v46 offset:768
	s_mov_b32 s3, 0
	s_waitcnt lgkmcnt(1)
	ds_bpermute_b32 v1, v1, v2
	s_waitcnt lgkmcnt(0)
	v_add_f32_e32 v1, v2, v1
	ds_bpermute_b32 v2, v3, v1
	s_waitcnt lgkmcnt(0)
	v_add_f32_e32 v1, v1, v2
	;; [unrolled: 3-line block ×3, first 2 shown]
	ds_bpermute_b32 v2, v5, v1
	ds_load_u16 v3, v46
	ds_load_u16 v4, v46 offset:256
	ds_load_u16 v5, v46 offset:512
	s_load_b32 s1, s[0:1], 0xd4
	s_mul_i32 s0, s12, s34
	s_waitcnt lgkmcnt(0)
	v_cvt_f32_f16_e32 v4, v4
	v_add_f32_e32 v1, v1, v2
	v_cvt_f32_f16_e32 v2, v3
	v_cvt_f32_f16_e32 v5, v5
	s_cmp_eq_u32 s1, 1
	ds_bpermute_b32 v3, v6, v1
	v_add_f32_e32 v2, 0, v2
	s_delay_alu instid0(VALU_DEP_1) | instskip(SKIP_1) | instid1(VALU_DEP_2)
	v_add_f32_e32 v2, v2, v4
	v_cvt_f32_f16_e32 v4, v7
	v_add_f32_e32 v2, v2, v5
	s_waitcnt lgkmcnt(0)
	s_delay_alu instid0(VALU_DEP_1) | instskip(NEXT) | instid1(VALU_DEP_1)
	v_dual_add_f32 v6, v2, v4 :: v_dual_add_f32 v1, v1, v3
	v_div_scale_f32 v2, null, v1, v1, v6
	v_div_scale_f32 v5, vcc_lo, v6, v1, v6
	s_delay_alu instid0(VALU_DEP_2) | instskip(SKIP_2) | instid1(VALU_DEP_1)
	v_rcp_f32_e32 v3, v2
	s_waitcnt_depctr 0xfff
	v_fma_f32 v4, -v2, v3, 1.0
	v_fmac_f32_e32 v3, v4, v3
	s_delay_alu instid0(VALU_DEP_1) | instskip(NEXT) | instid1(VALU_DEP_1)
	v_mul_f32_e32 v4, v5, v3
	v_fma_f32 v7, -v2, v4, v5
	s_delay_alu instid0(VALU_DEP_1) | instskip(NEXT) | instid1(VALU_DEP_1)
	v_fmac_f32_e32 v4, v7, v3
	v_fma_f32 v2, -v2, v4, v5
	s_delay_alu instid0(VALU_DEP_1) | instskip(SKIP_3) | instid1(SALU_CYCLE_1)
	v_div_fmas_f32 v2, v2, v3, v4
	v_mov_b32_e32 v3, 0
	s_cselect_b32 vcc_lo, -1, 0
	s_add_i32 s0, s0, s13
	s_mul_i32 s0, s0, s35
	v_div_fixup_f32 v7, v2, v1, v6
	s_add_i32 s0, s0, s36
	s_delay_alu instid0(SALU_CYCLE_1) | instskip(NEXT) | instid1(SALU_CYCLE_1)
	s_mul_i32 s0, s1, s0
	s_add_i32 s2, s0, s14
	v_cmp_eq_u32_e64 s0, 0, v45
	v_lshl_or_b32 v2, s2, 7, v45
	s_cmp_lg_u32 s1, 1
	s_cselect_b32 s1, -1, 0
	s_delay_alu instid0(VALU_DEP_1) | instskip(SKIP_2) | instid1(VALU_DEP_2)
	v_lshlrev_b64 v[4:5], 2, v[2:3]
	v_cndmask_b32_e32 v2, v6, v7, vcc_lo
	s_and_b32 s0, s0, s1
	v_add_co_u32 v4, vcc_lo, s28, v4
	s_delay_alu instid0(VALU_DEP_3)
	v_add_co_ci_u32_e32 v5, vcc_lo, s29, v5, vcc_lo
	global_store_b32 v[4:5], v2, off
	s_and_saveexec_b32 s1, s0
	s_cbranch_execz .LBB14_27
; %bb.26:
	s_lshl_b64 s[0:1], s[2:3], 3
	s_delay_alu instid0(SALU_CYCLE_1)
	s_add_u32 s0, s30, s0
	s_addc_u32 s1, s31, s1
	global_store_b64 v3, v[0:1], s[0:1]
.LBB14_27:
	s_nop 0
	s_sendmsg sendmsg(MSG_DEALLOC_VGPRS)
	s_endpgm
	.section	.rodata,"a",@progbits
	.p2align	6, 0x0
	.amdhsa_kernel _ZL18flash_attn_ext_vecILi128ELi1EL9ggml_type6ELS0_3ELb0EEvPKcS2_S2_S2_S2_PKiPfP15HIP_vector_typeIfLj2EEffffjfiS6_IjLj3EEiiiiiiiiiiiliiliiiiil
		.amdhsa_group_segment_fixed_size 1280
		.amdhsa_private_segment_fixed_size 0
		.amdhsa_kernarg_size 464
		.amdhsa_user_sgpr_count 13
		.amdhsa_user_sgpr_dispatch_ptr 0
		.amdhsa_user_sgpr_queue_ptr 0
		.amdhsa_user_sgpr_kernarg_segment_ptr 1
		.amdhsa_user_sgpr_dispatch_id 0
		.amdhsa_user_sgpr_private_segment_size 0
		.amdhsa_wavefront_size32 1
		.amdhsa_uses_dynamic_stack 0
		.amdhsa_enable_private_segment 0
		.amdhsa_system_sgpr_workgroup_id_x 1
		.amdhsa_system_sgpr_workgroup_id_y 1
		.amdhsa_system_sgpr_workgroup_id_z 1
		.amdhsa_system_sgpr_workgroup_info 0
		.amdhsa_system_vgpr_workitem_id 1
		.amdhsa_next_free_vgpr 220
		.amdhsa_next_free_sgpr 52
		.amdhsa_reserve_vcc 1
		.amdhsa_float_round_mode_32 0
		.amdhsa_float_round_mode_16_64 0
		.amdhsa_float_denorm_mode_32 3
		.amdhsa_float_denorm_mode_16_64 3
		.amdhsa_dx10_clamp 1
		.amdhsa_ieee_mode 1
		.amdhsa_fp16_overflow 0
		.amdhsa_workgroup_processor_mode 1
		.amdhsa_memory_ordered 1
		.amdhsa_forward_progress 0
		.amdhsa_shared_vgpr_count 0
		.amdhsa_exception_fp_ieee_invalid_op 0
		.amdhsa_exception_fp_denorm_src 0
		.amdhsa_exception_fp_ieee_div_zero 0
		.amdhsa_exception_fp_ieee_overflow 0
		.amdhsa_exception_fp_ieee_underflow 0
		.amdhsa_exception_fp_ieee_inexact 0
		.amdhsa_exception_int_div_zero 0
	.end_amdhsa_kernel
	.section	.text._ZL18flash_attn_ext_vecILi128ELi1EL9ggml_type6ELS0_3ELb0EEvPKcS2_S2_S2_S2_PKiPfP15HIP_vector_typeIfLj2EEffffjfiS6_IjLj3EEiiiiiiiiiiiliiliiiiil,"axG",@progbits,_ZL18flash_attn_ext_vecILi128ELi1EL9ggml_type6ELS0_3ELb0EEvPKcS2_S2_S2_S2_PKiPfP15HIP_vector_typeIfLj2EEffffjfiS6_IjLj3EEiiiiiiiiiiiliiliiiiil,comdat
.Lfunc_end14:
	.size	_ZL18flash_attn_ext_vecILi128ELi1EL9ggml_type6ELS0_3ELb0EEvPKcS2_S2_S2_S2_PKiPfP15HIP_vector_typeIfLj2EEffffjfiS6_IjLj3EEiiiiiiiiiiiliiliiiiil, .Lfunc_end14-_ZL18flash_attn_ext_vecILi128ELi1EL9ggml_type6ELS0_3ELb0EEvPKcS2_S2_S2_S2_PKiPfP15HIP_vector_typeIfLj2EEffffjfiS6_IjLj3EEiiiiiiiiiiiliiliiiiil
                                        ; -- End function
	.section	.AMDGPU.csdata,"",@progbits
; Kernel info:
; codeLenInByte = 19004
; NumSgprs: 54
; NumVgprs: 220
; ScratchSize: 0
; MemoryBound: 0
; FloatMode: 240
; IeeeMode: 1
; LDSByteSize: 1280 bytes/workgroup (compile time only)
; SGPRBlocks: 6
; VGPRBlocks: 27
; NumSGPRsForWavesPerEU: 54
; NumVGPRsForWavesPerEU: 220
; Occupancy: 6
; WaveLimiterHint : 0
; COMPUTE_PGM_RSRC2:SCRATCH_EN: 0
; COMPUTE_PGM_RSRC2:USER_SGPR: 13
; COMPUTE_PGM_RSRC2:TRAP_HANDLER: 0
; COMPUTE_PGM_RSRC2:TGID_X_EN: 1
; COMPUTE_PGM_RSRC2:TGID_Y_EN: 1
; COMPUTE_PGM_RSRC2:TGID_Z_EN: 1
; COMPUTE_PGM_RSRC2:TIDIG_COMP_CNT: 1
	.section	.text._ZL33flash_attn_stream_k_fixup_uniformILi128ELi1ELi1EEvPfPK15HIP_vector_typeIfLj2EEiiiiiiS1_IjLj3EES5_S5_,"axG",@progbits,_ZL33flash_attn_stream_k_fixup_uniformILi128ELi1ELi1EEvPfPK15HIP_vector_typeIfLj2EEiiiiiiS1_IjLj3EES5_S5_,comdat
	.globl	_ZL33flash_attn_stream_k_fixup_uniformILi128ELi1ELi1EEvPfPK15HIP_vector_typeIfLj2EEiiiiiiS1_IjLj3EES5_S5_ ; -- Begin function _ZL33flash_attn_stream_k_fixup_uniformILi128ELi1ELi1EEvPfPK15HIP_vector_typeIfLj2EEiiiiiiS1_IjLj3EES5_S5_
	.p2align	8
	.type	_ZL33flash_attn_stream_k_fixup_uniformILi128ELi1ELi1EEvPfPK15HIP_vector_typeIfLj2EEiiiiiiS1_IjLj3EES5_S5_,@function
_ZL33flash_attn_stream_k_fixup_uniformILi128ELi1ELi1EEvPfPK15HIP_vector_typeIfLj2EEiiiiiiS1_IjLj3EES5_S5_: ; @_ZL33flash_attn_stream_k_fixup_uniformILi128ELi1ELi1EEvPfPK15HIP_vector_typeIfLj2EEiiiiiiS1_IjLj3EES5_S5_
; %bb.0:
	s_clause 0x1
	s_load_b256 s[4:11], s[0:1], 0x1c
	s_load_b128 s[16:19], s[0:1], 0x3c
	s_waitcnt lgkmcnt(0)
	s_mul_hi_u32 s2, s7, s13
	s_delay_alu instid0(SALU_CYCLE_1) | instskip(NEXT) | instid1(SALU_CYCLE_1)
	s_add_i32 s2, s13, s2
	s_lshr_b32 s7, s2, s8
	s_delay_alu instid0(SALU_CYCLE_1) | instskip(SKIP_2) | instid1(SALU_CYCLE_1)
	s_mul_i32 s2, s7, s9
	s_load_b64 s[8:9], s[0:1], 0x10
	s_sub_i32 s2, s13, s2
	s_mul_hi_u32 s3, s2, s10
	s_delay_alu instid0(SALU_CYCLE_1) | instskip(NEXT) | instid1(SALU_CYCLE_1)
	s_add_i32 s3, s2, s3
	s_lshr_b32 s10, s3, s11
	s_delay_alu instid0(SALU_CYCLE_1) | instskip(NEXT) | instid1(SALU_CYCLE_1)
	s_mul_i32 s3, s10, s16
	s_sub_i32 s2, s2, s3
	s_delay_alu instid0(SALU_CYCLE_1) | instskip(NEXT) | instid1(SALU_CYCLE_1)
	s_mul_hi_u32 s3, s2, s17
	s_add_i32 s3, s2, s3
	s_delay_alu instid0(SALU_CYCLE_1) | instskip(NEXT) | instid1(SALU_CYCLE_1)
	s_lshr_b32 s12, s3, s18
	s_mul_i32 s3, s12, s19
	s_delay_alu instid0(SALU_CYCLE_1) | instskip(NEXT) | instid1(SALU_CYCLE_1)
	s_sub_i32 s11, s2, s3
	s_add_i32 s11, s11, s14
	s_waitcnt lgkmcnt(0)
	s_cmp_lt_i32 s11, s8
	s_cselect_b32 s2, -1, 0
	s_add_i32 s12, s12, s15
	s_delay_alu instid0(SALU_CYCLE_1) | instskip(SKIP_1) | instid1(SALU_CYCLE_1)
	s_cmp_lt_i32 s12, s5
	s_cselect_b32 s3, -1, 0
	s_and_b32 s2, s2, s3
	s_delay_alu instid0(SALU_CYCLE_1)
	s_and_not1_b32 vcc_lo, exec_lo, s2
	s_cbranch_vccnz .LBB15_6
; %bb.1:
	s_mul_i32 s7, s7, s8
	s_mul_i32 s10, s10, s5
	s_add_i32 s5, s11, s7
	s_load_b128 s[0:3], s[0:1], 0x0
	s_add_i32 s7, s12, s10
	s_mul_i32 s5, s5, s9
	s_delay_alu instid0(SALU_CYCLE_1) | instskip(SKIP_4) | instid1(SALU_CYCLE_1)
	s_add_i32 s7, s7, s5
	s_mul_i32 s5, s13, s6
	v_lshl_or_b32 v1, s7, 7, v0
	s_add_i32 s7, s14, s15
	s_add_i32 s6, s5, s6
	;; [unrolled: 1-line block ×3, first 2 shown]
	s_delay_alu instid0(VALU_DEP_1) | instskip(NEXT) | instid1(VALU_DEP_1)
	v_ashrrev_i32_e32 v2, 31, v1
	v_lshlrev_b64 v[1:2], 2, v[1:2]
	s_waitcnt lgkmcnt(0)
	s_delay_alu instid0(VALU_DEP_1) | instskip(NEXT) | instid1(VALU_DEP_2)
	v_add_co_u32 v1, vcc_lo, s0, v1
	v_add_co_ci_u32_e32 v2, vcc_lo, s1, v2, vcc_lo
	s_add_i32 s0, s8, -1
	s_delay_alu instid0(SALU_CYCLE_1) | instskip(SKIP_2) | instid1(SALU_CYCLE_1)
	s_ashr_i32 s1, s0, 31
	global_load_b32 v5, v[1:2], off
	s_lshl_b64 s[0:1], s[0:1], 3
	s_add_u32 s0, s2, s0
	s_addc_u32 s1, s3, s1
	s_add_i32 s10, s6, -2
	s_load_b32 s9, s[0:1], 0x4
	s_cmp_lt_i32 s10, s5
	s_cbranch_scc1 .LBB15_4
; %bb.2:
	s_load_b32 s10, s[0:1], 0x0
	v_lshl_or_b32 v0, s8, 7, v0
	s_lshl_b32 s0, s4, 2
	s_waitcnt lgkmcnt(0)
	v_mov_b32_e32 v6, s9
	s_ashr_i32 s1, s0, 31
	s_delay_alu instid0(SALU_CYCLE_1)
	s_lshl_b64 s[0:1], s[0:1], 2
	v_add_nc_u32_e32 v3, 0xffffff00, v0
	s_add_u32 s0, s2, s0
	s_addc_u32 s1, s3, s1
	s_add_i32 s6, s6, -1
	s_add_i32 s4, s7, s4
	v_mov_b32_e32 v0, s10
.LBB15_3:                               ; =>This Inner Loop Header: Depth=1
	s_delay_alu instid0(VALU_DEP_2) | instskip(SKIP_1) | instid1(SALU_CYCLE_1)
	v_ashrrev_i32_e32 v4, 31, v3
	s_add_i32 s6, s6, -1
	s_add_i32 s8, s6, s4
	s_delay_alu instid0(SALU_CYCLE_1) | instskip(NEXT) | instid1(VALU_DEP_1)
	s_ashr_i32 s9, s8, 31
	v_lshlrev_b64 v[7:8], 2, v[3:4]
	s_lshl_b64 s[8:9], s[8:9], 3
	s_delay_alu instid0(SALU_CYCLE_1) | instskip(SKIP_2) | instid1(VALU_DEP_1)
	s_add_u32 s8, s2, s8
	s_addc_u32 s9, s3, s9
	s_cmp_le_i32 s6, s5
	v_add_co_u32 v7, vcc_lo, s0, v7
	v_add_co_ci_u32_e32 v8, vcc_lo, s1, v8, vcc_lo
	s_load_b64 s[8:9], s[8:9], 0x0
	global_load_b32 v4, v[7:8], off
	v_max_f32_e32 v7, v0, v0
	s_waitcnt lgkmcnt(0)
	v_max_f32_e64 v8, s8, s8
	s_delay_alu instid0(VALU_DEP_1) | instskip(NEXT) | instid1(VALU_DEP_1)
	v_max_f32_e32 v7, v7, v8
	v_sub_f32_e32 v8, s8, v7
	s_delay_alu instid0(VALU_DEP_1) | instskip(NEXT) | instid1(VALU_DEP_1)
	v_dual_sub_f32 v0, v0, v7 :: v_dual_mul_f32 v9, 0x3fb8aa3b, v8
	v_fma_f32 v10, 0x3fb8aa3b, v8, -v9
	v_rndne_f32_e32 v11, v9
	s_delay_alu instid0(VALU_DEP_3) | instskip(NEXT) | instid1(VALU_DEP_2)
	v_mul_f32_e32 v12, 0x3fb8aa3b, v0
	v_dual_fmac_f32 v10, 0x32a5705f, v8 :: v_dual_sub_f32 v9, v9, v11
	v_cvt_i32_f32_e32 v11, v11
	s_delay_alu instid0(VALU_DEP_3) | instskip(SKIP_1) | instid1(VALU_DEP_4)
	v_fma_f32 v13, 0x3fb8aa3b, v0, -v12
	v_rndne_f32_e32 v14, v12
	v_add_f32_e32 v9, v9, v10
	v_cmp_ngt_f32_e32 vcc_lo, 0xc2ce8ed0, v8
	s_delay_alu instid0(VALU_DEP_3) | instskip(NEXT) | instid1(VALU_DEP_3)
	v_sub_f32_e32 v10, v12, v14
	v_exp_f32_e32 v9, v9
	s_waitcnt_depctr 0xfff
	v_ldexp_f32 v9, v9, v11
	v_cvt_i32_f32_e32 v11, v14
	s_delay_alu instid0(VALU_DEP_2) | instskip(SKIP_1) | instid1(VALU_DEP_2)
	v_cndmask_b32_e32 v9, 0, v9, vcc_lo
	v_cmp_nlt_f32_e32 vcc_lo, 0x42b17218, v8
	v_cndmask_b32_e32 v9, 0x7f800000, v9, vcc_lo
	v_cmp_ngt_f32_e32 vcc_lo, 0xc2ce8ed0, v0
	v_fmac_f32_e32 v13, 0x32a5705f, v0
	s_delay_alu instid0(VALU_DEP_1) | instskip(NEXT) | instid1(VALU_DEP_1)
	v_add_f32_e32 v10, v10, v13
	v_exp_f32_e32 v10, v10
	s_waitcnt_depctr 0xfff
	v_ldexp_f32 v10, v10, v11
	s_delay_alu instid0(VALU_DEP_1)
	v_dual_mov_b32 v11, v6 :: v_dual_cndmask_b32 v10, 0, v10
	v_cmp_le_f32_e32 vcc_lo, 0xc1a00000, v8
	s_waitcnt vmcnt(1)
	v_dual_cndmask_b32 v8, 0, v9 :: v_dual_mov_b32 v9, v5
	v_cmp_nlt_f32_e32 vcc_lo, 0x42b17218, v0
	v_cndmask_b32_e32 v5, 0x7f800000, v10, vcc_lo
	s_delay_alu instid0(VALU_DEP_3) | instskip(SKIP_2) | instid1(VALU_DEP_3)
	v_mul_f32_e32 v10, s9, v8
	v_cmp_le_f32_e32 vcc_lo, 0xc1a00000, v0
	v_mov_b32_e32 v0, v7
	v_mov_b32_e32 v6, v10
	s_waitcnt vmcnt(0)
	v_dual_cndmask_b32 v12, 0, v5 :: v_dual_mul_f32 v5, v4, v8
	s_delay_alu instid0(VALU_DEP_1) | instskip(NEXT) | instid1(VALU_DEP_2)
	v_dual_fmac_f32 v6, v11, v12 :: v_dual_add_nc_u32 v3, 0xffffff80, v3
	v_fmac_f32_e32 v5, v9, v12
	s_cbranch_scc0 .LBB15_3
	s_branch .LBB15_5
.LBB15_4:
	s_waitcnt lgkmcnt(0)
	v_mov_b32_e32 v6, s9
.LBB15_5:
	s_waitcnt vmcnt(0)
	s_delay_alu instid0(VALU_DEP_1) | instskip(NEXT) | instid1(VALU_DEP_1)
	v_div_scale_f32 v0, null, v6, v6, v5
	v_rcp_f32_e32 v3, v0
	s_waitcnt_depctr 0xfff
	v_fma_f32 v4, -v0, v3, 1.0
	s_delay_alu instid0(VALU_DEP_1) | instskip(SKIP_1) | instid1(VALU_DEP_1)
	v_fmac_f32_e32 v3, v4, v3
	v_div_scale_f32 v4, vcc_lo, v5, v6, v5
	v_mul_f32_e32 v7, v4, v3
	s_delay_alu instid0(VALU_DEP_1) | instskip(NEXT) | instid1(VALU_DEP_1)
	v_fma_f32 v8, -v0, v7, v4
	v_fmac_f32_e32 v7, v8, v3
	s_delay_alu instid0(VALU_DEP_1) | instskip(NEXT) | instid1(VALU_DEP_1)
	v_fma_f32 v0, -v0, v7, v4
	v_div_fmas_f32 v0, v0, v3, v7
	s_delay_alu instid0(VALU_DEP_1)
	v_div_fixup_f32 v0, v0, v6, v5
	global_store_b32 v[1:2], v0, off
.LBB15_6:
	s_nop 0
	s_sendmsg sendmsg(MSG_DEALLOC_VGPRS)
	s_endpgm
	.section	.rodata,"a",@progbits
	.p2align	6, 0x0
	.amdhsa_kernel _ZL33flash_attn_stream_k_fixup_uniformILi128ELi1ELi1EEvPfPK15HIP_vector_typeIfLj2EEiiiiiiS1_IjLj3EES5_S5_
		.amdhsa_group_segment_fixed_size 0
		.amdhsa_private_segment_fixed_size 0
		.amdhsa_kernarg_size 76
		.amdhsa_user_sgpr_count 13
		.amdhsa_user_sgpr_dispatch_ptr 0
		.amdhsa_user_sgpr_queue_ptr 0
		.amdhsa_user_sgpr_kernarg_segment_ptr 1
		.amdhsa_user_sgpr_dispatch_id 0
		.amdhsa_user_sgpr_private_segment_size 0
		.amdhsa_wavefront_size32 1
		.amdhsa_uses_dynamic_stack 0
		.amdhsa_enable_private_segment 0
		.amdhsa_system_sgpr_workgroup_id_x 1
		.amdhsa_system_sgpr_workgroup_id_y 1
		.amdhsa_system_sgpr_workgroup_id_z 1
		.amdhsa_system_sgpr_workgroup_info 0
		.amdhsa_system_vgpr_workitem_id 0
		.amdhsa_next_free_vgpr 15
		.amdhsa_next_free_sgpr 20
		.amdhsa_reserve_vcc 1
		.amdhsa_float_round_mode_32 0
		.amdhsa_float_round_mode_16_64 0
		.amdhsa_float_denorm_mode_32 3
		.amdhsa_float_denorm_mode_16_64 3
		.amdhsa_dx10_clamp 1
		.amdhsa_ieee_mode 1
		.amdhsa_fp16_overflow 0
		.amdhsa_workgroup_processor_mode 1
		.amdhsa_memory_ordered 1
		.amdhsa_forward_progress 0
		.amdhsa_shared_vgpr_count 0
		.amdhsa_exception_fp_ieee_invalid_op 0
		.amdhsa_exception_fp_denorm_src 0
		.amdhsa_exception_fp_ieee_div_zero 0
		.amdhsa_exception_fp_ieee_overflow 0
		.amdhsa_exception_fp_ieee_underflow 0
		.amdhsa_exception_fp_ieee_inexact 0
		.amdhsa_exception_int_div_zero 0
	.end_amdhsa_kernel
	.section	.text._ZL33flash_attn_stream_k_fixup_uniformILi128ELi1ELi1EEvPfPK15HIP_vector_typeIfLj2EEiiiiiiS1_IjLj3EES5_S5_,"axG",@progbits,_ZL33flash_attn_stream_k_fixup_uniformILi128ELi1ELi1EEvPfPK15HIP_vector_typeIfLj2EEiiiiiiS1_IjLj3EES5_S5_,comdat
.Lfunc_end15:
	.size	_ZL33flash_attn_stream_k_fixup_uniformILi128ELi1ELi1EEvPfPK15HIP_vector_typeIfLj2EEiiiiiiS1_IjLj3EES5_S5_, .Lfunc_end15-_ZL33flash_attn_stream_k_fixup_uniformILi128ELi1ELi1EEvPfPK15HIP_vector_typeIfLj2EEiiiiiiS1_IjLj3EES5_S5_
                                        ; -- End function
	.section	.AMDGPU.csdata,"",@progbits
; Kernel info:
; codeLenInByte = 916
; NumSgprs: 22
; NumVgprs: 15
; ScratchSize: 0
; MemoryBound: 0
; FloatMode: 240
; IeeeMode: 1
; LDSByteSize: 0 bytes/workgroup (compile time only)
; SGPRBlocks: 2
; VGPRBlocks: 1
; NumSGPRsForWavesPerEU: 22
; NumVGPRsForWavesPerEU: 15
; Occupancy: 16
; WaveLimiterHint : 0
; COMPUTE_PGM_RSRC2:SCRATCH_EN: 0
; COMPUTE_PGM_RSRC2:USER_SGPR: 13
; COMPUTE_PGM_RSRC2:TRAP_HANDLER: 0
; COMPUTE_PGM_RSRC2:TGID_X_EN: 1
; COMPUTE_PGM_RSRC2:TGID_Y_EN: 1
; COMPUTE_PGM_RSRC2:TGID_Z_EN: 1
; COMPUTE_PGM_RSRC2:TIDIG_COMP_CNT: 0
	.section	.text._ZL33flash_attn_stream_k_fixup_generalILi128ELi1ELi1EEvPfPK15HIP_vector_typeIfLj2EEiiiiS1_IjLj3EES5_S5_S5_,"axG",@progbits,_ZL33flash_attn_stream_k_fixup_generalILi128ELi1ELi1EEvPfPK15HIP_vector_typeIfLj2EEiiiiS1_IjLj3EES5_S5_S5_,comdat
	.globl	_ZL33flash_attn_stream_k_fixup_generalILi128ELi1ELi1EEvPfPK15HIP_vector_typeIfLj2EEiiiiS1_IjLj3EES5_S5_S5_ ; -- Begin function _ZL33flash_attn_stream_k_fixup_generalILi128ELi1ELi1EEvPfPK15HIP_vector_typeIfLj2EEiiiiS1_IjLj3EES5_S5_S5_
	.p2align	8
	.type	_ZL33flash_attn_stream_k_fixup_generalILi128ELi1ELi1EEvPfPK15HIP_vector_typeIfLj2EEiiiiS1_IjLj3EES5_S5_S5_,@function
_ZL33flash_attn_stream_k_fixup_generalILi128ELi1ELi1EEvPfPK15HIP_vector_typeIfLj2EEiiiiS1_IjLj3EES5_S5_S5_: ; @_ZL33flash_attn_stream_k_fixup_generalILi128ELi1ELi1EEvPfPK15HIP_vector_typeIfLj2EEiiiiS1_IjLj3EES5_S5_S5_
; %bb.0:
	s_clause 0x1
	s_load_b128 s[4:7], s[0:1], 0x10
	s_load_b32 s20, s[0:1], 0x50
	s_mov_b32 s2, 0
	s_waitcnt lgkmcnt(0)
	s_mul_hi_i32 s3, s7, s13
	s_mul_i32 s12, s7, s13
	s_cmp_lg_u64 s[2:3], 0
	s_cbranch_scc0 .LBB16_21
; %bb.1:
	v_cvt_f32_ubyte0_e32 v1, 0
	v_cvt_f32_u32_e32 v2, s20
	s_sub_u32 s10, 0, s20
	s_subb_u32 s11, 0, 0
	s_delay_alu instid0(VALU_DEP_1) | instskip(NEXT) | instid1(VALU_DEP_1)
	v_fmamk_f32 v1, v1, 0x4f800000, v2
	v_rcp_f32_e32 v1, v1
	s_waitcnt_depctr 0xfff
	v_mul_f32_e32 v1, 0x5f7ffffc, v1
	s_delay_alu instid0(VALU_DEP_1) | instskip(NEXT) | instid1(VALU_DEP_1)
	v_mul_f32_e32 v2, 0x2f800000, v1
	v_trunc_f32_e32 v2, v2
	s_delay_alu instid0(VALU_DEP_1) | instskip(SKIP_1) | instid1(VALU_DEP_2)
	v_fmamk_f32 v1, v2, 0xcf800000, v1
	v_cvt_u32_f32_e32 v2, v2
	v_cvt_u32_f32_e32 v1, v1
	s_delay_alu instid0(VALU_DEP_2) | instskip(NEXT) | instid1(VALU_DEP_2)
	v_readfirstlane_b32 s8, v2
	v_readfirstlane_b32 s9, v1
	s_delay_alu instid0(VALU_DEP_2) | instskip(NEXT) | instid1(VALU_DEP_1)
	s_mul_i32 s16, s10, s8
	s_mul_hi_u32 s18, s10, s9
	s_mul_i32 s17, s11, s9
	s_add_i32 s16, s18, s16
	s_mul_i32 s19, s10, s9
	s_add_i32 s16, s16, s17
	s_mul_hi_u32 s18, s9, s19
	s_mul_hi_u32 s21, s8, s19
	s_mul_i32 s17, s8, s19
	s_mul_hi_u32 s19, s9, s16
	s_mul_i32 s9, s9, s16
	s_mul_hi_u32 s22, s8, s16
	s_add_u32 s9, s18, s9
	s_addc_u32 s18, 0, s19
	s_add_u32 s9, s9, s17
	s_mul_i32 s16, s8, s16
	s_addc_u32 s9, s18, s21
	s_addc_u32 s17, s22, 0
	s_add_u32 s9, s9, s16
	s_addc_u32 s16, 0, s17
	v_add_co_u32 v1, s9, v1, s9
	s_delay_alu instid0(VALU_DEP_1) | instskip(SKIP_1) | instid1(VALU_DEP_1)
	s_cmp_lg_u32 s9, 0
	s_addc_u32 s8, s8, s16
	v_readfirstlane_b32 s9, v1
	s_mul_i32 s16, s10, s8
	s_delay_alu instid0(VALU_DEP_1)
	s_mul_hi_u32 s17, s10, s9
	s_mul_i32 s11, s11, s9
	s_add_i32 s16, s17, s16
	s_mul_i32 s10, s10, s9
	s_add_i32 s16, s16, s11
	s_mul_hi_u32 s17, s8, s10
	s_mul_i32 s18, s8, s10
	s_mul_hi_u32 s10, s9, s10
	s_mul_hi_u32 s19, s9, s16
	s_mul_i32 s9, s9, s16
	s_mul_hi_u32 s11, s8, s16
	s_add_u32 s9, s10, s9
	s_addc_u32 s10, 0, s19
	s_add_u32 s9, s9, s18
	s_mul_i32 s16, s8, s16
	s_addc_u32 s9, s10, s17
	s_addc_u32 s10, s11, 0
	s_add_u32 s9, s9, s16
	s_addc_u32 s10, 0, s10
	v_add_co_u32 v1, s9, v1, s9
	s_delay_alu instid0(VALU_DEP_1) | instskip(SKIP_2) | instid1(SALU_CYCLE_1)
	s_cmp_lg_u32 s9, 0
	s_addc_u32 s16, s8, s10
	s_ashr_i32 s8, s3, 31
	s_add_u32 s10, s12, s8
	s_addc_u32 s11, s3, s8
	v_readfirstlane_b32 s3, v1
	s_mov_b32 s9, s8
	s_delay_alu instid0(SALU_CYCLE_1) | instskip(NEXT) | instid1(SALU_CYCLE_1)
	s_xor_b64 s[10:11], s[10:11], s[8:9]
	s_mul_i32 s18, s10, s16
	s_delay_alu instid0(VALU_DEP_1)
	s_mul_hi_u32 s19, s10, s3
	s_mul_hi_u32 s17, s10, s16
	;; [unrolled: 1-line block ×3, first 2 shown]
	s_mul_i32 s3, s11, s3
	s_add_u32 s18, s19, s18
	s_addc_u32 s17, 0, s17
	s_mul_hi_u32 s21, s11, s16
	s_add_u32 s3, s18, s3
	s_mul_i32 s16, s11, s16
	s_addc_u32 s3, s17, s22
	s_addc_u32 s17, s21, 0
	s_add_u32 s3, s3, s16
	s_addc_u32 s16, 0, s17
	s_mul_i32 s18, s20, s3
	s_add_u32 s17, s3, 1
	v_sub_co_u32 v1, s10, s10, s18
	s_mul_hi_u32 s18, s20, s3
	s_addc_u32 s19, s16, 0
	s_mul_i32 s21, s20, s16
	s_delay_alu instid0(VALU_DEP_1)
	v_sub_co_u32 v2, s22, v1, s20
	s_add_u32 s23, s3, 2
	s_addc_u32 s24, s16, 0
	s_add_i32 s18, s18, s21
	s_cmp_lg_u32 s10, 0
	v_readfirstlane_b32 s10, v2
	s_subb_u32 s11, s11, s18
	s_cmp_lg_u32 s22, 0
	s_subb_u32 s18, s11, 0
	s_delay_alu instid0(VALU_DEP_1) | instskip(SKIP_4) | instid1(SALU_CYCLE_1)
	s_cmp_ge_u32 s10, s20
	s_cselect_b32 s10, -1, 0
	s_cmp_eq_u32 s18, 0
	v_readfirstlane_b32 s18, v1
	s_cselect_b32 s10, s10, -1
	s_cmp_lg_u32 s10, 0
	s_cselect_b32 s10, s23, s17
	s_cselect_b32 s17, s24, s19
	s_cmp_ge_u32 s18, s20
	s_cselect_b32 s18, -1, 0
	s_cmp_eq_u32 s11, 0
	s_cselect_b32 s11, s18, -1
	s_delay_alu instid0(SALU_CYCLE_1) | instskip(SKIP_2) | instid1(SALU_CYCLE_1)
	s_cmp_lg_u32 s11, 0
	s_cselect_b32 s11, s17, s16
	s_cselect_b32 s10, s10, s3
	s_xor_b64 s[10:11], s[10:11], s[8:9]
	s_delay_alu instid0(SALU_CYCLE_1)
	s_sub_u32 s16, s10, s8
	s_load_b128 s[8:11], s[0:1], 0x44
	s_and_not1_b32 vcc_lo, exec_lo, s2
	s_cbranch_vccnz .LBB16_3
.LBB16_2:
	v_cvt_f32_u32_e32 v1, s20
	s_sub_i32 s3, 0, s20
	s_delay_alu instid0(VALU_DEP_1) | instskip(SKIP_2) | instid1(VALU_DEP_1)
	v_rcp_iflag_f32_e32 v1, v1
	s_waitcnt_depctr 0xfff
	v_mul_f32_e32 v1, 0x4f7ffffe, v1
	v_cvt_u32_f32_e32 v1, v1
	s_delay_alu instid0(VALU_DEP_1) | instskip(NEXT) | instid1(VALU_DEP_1)
	v_readfirstlane_b32 s2, v1
	s_mul_i32 s3, s3, s2
	s_delay_alu instid0(SALU_CYCLE_1) | instskip(NEXT) | instid1(SALU_CYCLE_1)
	s_mul_hi_u32 s3, s2, s3
	s_add_i32 s2, s2, s3
	s_delay_alu instid0(SALU_CYCLE_1) | instskip(NEXT) | instid1(SALU_CYCLE_1)
	s_mul_hi_u32 s2, s12, s2
	s_mul_i32 s3, s2, s20
	s_waitcnt lgkmcnt(0)
	s_add_i32 s11, s2, 1
	s_sub_i32 s3, s12, s3
	s_delay_alu instid0(SALU_CYCLE_1)
	s_sub_i32 s12, s3, s20
	s_cmp_ge_u32 s3, s20
	s_cselect_b32 s2, s11, s2
	s_cselect_b32 s3, s12, s3
	s_add_i32 s11, s2, 1
	s_cmp_ge_u32 s3, s20
	s_cselect_b32 s16, s11, s2
.LBB16_3:
	s_waitcnt lgkmcnt(0)
	s_add_i32 s11, s13, 1
	s_mov_b32 s2, 0
	s_mul_hi_i32 s3, s7, s11
	s_mul_i32 s11, s7, s11
	s_cmp_lg_u64 s[2:3], 0
	s_cbranch_scc0 .LBB16_22
; %bb.4:
	v_cvt_f32_ubyte0_e32 v1, 0
	v_cvt_f32_u32_e32 v2, s20
	s_sub_u32 s18, 0, s20
	s_subb_u32 s19, 0, 0
	s_delay_alu instid0(VALU_DEP_1) | instskip(NEXT) | instid1(VALU_DEP_1)
	v_fmamk_f32 v1, v1, 0x4f800000, v2
	v_rcp_f32_e32 v1, v1
	s_waitcnt_depctr 0xfff
	v_mul_f32_e32 v1, 0x5f7ffffc, v1
	s_delay_alu instid0(VALU_DEP_1) | instskip(NEXT) | instid1(VALU_DEP_1)
	v_mul_f32_e32 v2, 0x2f800000, v1
	v_trunc_f32_e32 v2, v2
	s_delay_alu instid0(VALU_DEP_1) | instskip(SKIP_1) | instid1(VALU_DEP_2)
	v_fmamk_f32 v1, v2, 0xcf800000, v1
	v_cvt_u32_f32_e32 v2, v2
	v_cvt_u32_f32_e32 v1, v1
	s_delay_alu instid0(VALU_DEP_2) | instskip(NEXT) | instid1(VALU_DEP_2)
	v_readfirstlane_b32 s12, v2
	v_readfirstlane_b32 s17, v1
	s_delay_alu instid0(VALU_DEP_2) | instskip(NEXT) | instid1(VALU_DEP_1)
	s_mul_i32 s21, s18, s12
	s_mul_hi_u32 s23, s18, s17
	s_mul_i32 s22, s19, s17
	s_add_i32 s21, s23, s21
	s_mul_i32 s24, s18, s17
	s_add_i32 s21, s21, s22
	s_mul_hi_u32 s23, s17, s24
	s_mul_hi_u32 s25, s12, s24
	s_mul_i32 s22, s12, s24
	s_mul_hi_u32 s24, s17, s21
	s_mul_i32 s17, s17, s21
	s_mul_hi_u32 s26, s12, s21
	s_add_u32 s17, s23, s17
	s_addc_u32 s23, 0, s24
	s_add_u32 s17, s17, s22
	s_mul_i32 s21, s12, s21
	s_addc_u32 s17, s23, s25
	s_addc_u32 s22, s26, 0
	s_add_u32 s17, s17, s21
	s_addc_u32 s21, 0, s22
	v_add_co_u32 v1, s17, v1, s17
	s_delay_alu instid0(VALU_DEP_1) | instskip(SKIP_1) | instid1(VALU_DEP_1)
	s_cmp_lg_u32 s17, 0
	s_addc_u32 s12, s12, s21
	v_readfirstlane_b32 s17, v1
	s_mul_i32 s21, s18, s12
	s_delay_alu instid0(VALU_DEP_1)
	s_mul_hi_u32 s22, s18, s17
	s_mul_i32 s19, s19, s17
	s_add_i32 s21, s22, s21
	s_mul_i32 s18, s18, s17
	s_add_i32 s21, s21, s19
	s_mul_hi_u32 s22, s12, s18
	s_mul_i32 s23, s12, s18
	s_mul_hi_u32 s18, s17, s18
	s_mul_hi_u32 s24, s17, s21
	s_mul_i32 s17, s17, s21
	s_mul_hi_u32 s19, s12, s21
	s_add_u32 s17, s18, s17
	s_addc_u32 s18, 0, s24
	s_add_u32 s17, s17, s23
	s_mul_i32 s21, s12, s21
	s_addc_u32 s17, s18, s22
	s_addc_u32 s18, s19, 0
	s_add_u32 s17, s17, s21
	s_addc_u32 s18, 0, s18
	v_add_co_u32 v1, s17, v1, s17
	s_delay_alu instid0(VALU_DEP_1) | instskip(SKIP_2) | instid1(SALU_CYCLE_1)
	s_cmp_lg_u32 s17, 0
	s_addc_u32 s12, s12, s18
	s_ashr_i32 s18, s3, 31
	s_add_u32 s22, s11, s18
	s_addc_u32 s23, s3, s18
	v_readfirstlane_b32 s3, v1
	s_mov_b32 s19, s18
	s_delay_alu instid0(SALU_CYCLE_1) | instskip(NEXT) | instid1(SALU_CYCLE_1)
	s_xor_b64 s[22:23], s[22:23], s[18:19]
	s_mul_i32 s21, s22, s12
	s_delay_alu instid0(VALU_DEP_1)
	s_mul_hi_u32 s24, s22, s3
	s_mul_hi_u32 s17, s22, s12
	;; [unrolled: 1-line block ×3, first 2 shown]
	s_mul_i32 s3, s23, s3
	s_add_u32 s21, s24, s21
	s_addc_u32 s17, 0, s17
	s_mul_hi_u32 s25, s23, s12
	s_add_u32 s3, s21, s3
	s_mul_i32 s12, s23, s12
	s_addc_u32 s3, s17, s26
	s_addc_u32 s17, s25, 0
	s_add_u32 s3, s3, s12
	s_addc_u32 s12, 0, s17
	s_mul_i32 s21, s20, s3
	s_add_u32 s17, s3, 1
	v_sub_co_u32 v1, s21, s22, s21
	s_mul_hi_u32 s22, s20, s3
	s_addc_u32 s24, s12, 0
	s_mul_i32 s25, s20, s12
	s_delay_alu instid0(VALU_DEP_1)
	v_sub_co_u32 v2, s26, v1, s20
	s_add_u32 s27, s3, 2
	s_addc_u32 s28, s12, 0
	s_add_i32 s22, s22, s25
	s_cmp_lg_u32 s21, 0
	v_readfirstlane_b32 s21, v2
	s_subb_u32 s22, s23, s22
	s_cmp_lg_u32 s26, 0
	s_subb_u32 s23, s22, 0
	s_delay_alu instid0(VALU_DEP_1) | instskip(SKIP_4) | instid1(SALU_CYCLE_1)
	s_cmp_ge_u32 s21, s20
	s_cselect_b32 s21, -1, 0
	s_cmp_eq_u32 s23, 0
	v_readfirstlane_b32 s23, v1
	s_cselect_b32 s21, s21, -1
	s_cmp_lg_u32 s21, 0
	s_cselect_b32 s17, s27, s17
	s_cselect_b32 s21, s28, s24
	s_cmp_ge_u32 s23, s20
	s_cselect_b32 s23, -1, 0
	s_cmp_eq_u32 s22, 0
	s_cselect_b32 s22, s23, -1
	s_delay_alu instid0(SALU_CYCLE_1) | instskip(SKIP_2) | instid1(SALU_CYCLE_1)
	s_cmp_lg_u32 s22, 0
	s_cselect_b32 s23, s21, s12
	s_cselect_b32 s22, s17, s3
	s_xor_b64 s[22:23], s[22:23], s[18:19]
	s_delay_alu instid0(SALU_CYCLE_1)
	s_sub_u32 s18, s22, s18
	s_and_not1_b32 vcc_lo, exec_lo, s2
	s_cbranch_vccnz .LBB16_6
.LBB16_5:
	v_cvt_f32_u32_e32 v1, s20
	s_sub_i32 s3, 0, s20
	s_delay_alu instid0(VALU_DEP_1) | instskip(SKIP_2) | instid1(VALU_DEP_1)
	v_rcp_iflag_f32_e32 v1, v1
	s_waitcnt_depctr 0xfff
	v_mul_f32_e32 v1, 0x4f7ffffe, v1
	v_cvt_u32_f32_e32 v1, v1
	s_delay_alu instid0(VALU_DEP_1) | instskip(NEXT) | instid1(VALU_DEP_1)
	v_readfirstlane_b32 s2, v1
	s_mul_i32 s3, s3, s2
	s_delay_alu instid0(SALU_CYCLE_1) | instskip(NEXT) | instid1(SALU_CYCLE_1)
	s_mul_hi_u32 s3, s2, s3
	s_add_i32 s2, s2, s3
	s_delay_alu instid0(SALU_CYCLE_1) | instskip(NEXT) | instid1(SALU_CYCLE_1)
	s_mul_hi_u32 s2, s11, s2
	s_mul_i32 s3, s2, s20
	s_delay_alu instid0(SALU_CYCLE_1)
	s_sub_i32 s3, s11, s3
	s_add_i32 s11, s2, 1
	s_sub_i32 s12, s3, s20
	s_cmp_ge_u32 s3, s20
	s_cselect_b32 s2, s11, s2
	s_cselect_b32 s3, s12, s3
	s_add_i32 s11, s2, 1
	s_cmp_ge_u32 s3, s20
	s_cselect_b32 s18, s11, s2
.LBB16_6:
	s_delay_alu instid0(SALU_CYCLE_1) | instskip(SKIP_3) | instid1(SALU_CYCLE_1)
	s_cmp_eq_u32 s16, s18
	s_mul_hi_u32 s2, s16, s8
	s_cselect_b32 s3, -1, 0
	s_add_i32 s2, s2, s16
	s_lshr_b32 s11, s2, s9
	s_delay_alu instid0(SALU_CYCLE_1) | instskip(NEXT) | instid1(SALU_CYCLE_1)
	s_mul_i32 s2, s11, s10
	s_cmp_eq_u32 s2, s16
	s_mul_hi_u32 s2, s18, s8
	s_cselect_b32 s12, -1, 0
	s_add_i32 s2, s2, s18
	s_delay_alu instid0(SALU_CYCLE_1) | instskip(NEXT) | instid1(SALU_CYCLE_1)
	s_lshr_b32 s2, s2, s9
	s_cmp_eq_u32 s11, s2
	s_mul_i32 s2, s2, s10
	s_cselect_b32 s17, -1, 0
	s_cmp_lg_u32 s2, s18
	s_cselect_b32 s2, -1, 0
	s_or_b32 s3, s3, s12
	s_and_b32 s2, s17, s2
	s_delay_alu instid0(SALU_CYCLE_1) | instskip(NEXT) | instid1(SALU_CYCLE_1)
	s_or_b32 s2, s3, s2
	s_and_b32 vcc_lo, exec_lo, s2
	s_cbranch_vccnz .LBB16_24
; %bb.7:
	s_load_b256 s[24:31], s[0:1], 0x20
	s_waitcnt lgkmcnt(0)
	s_mul_hi_u32 s2, s16, s24
	s_delay_alu instid0(SALU_CYCLE_1) | instskip(NEXT) | instid1(SALU_CYCLE_1)
	s_add_i32 s2, s2, s16
	s_lshr_b32 s17, s2, s25
	s_load_b32 s2, s[0:1], 0x40
	s_mul_i32 s3, s17, s26
	s_delay_alu instid0(SALU_CYCLE_1) | instskip(NEXT) | instid1(SALU_CYCLE_1)
	s_sub_i32 s3, s16, s3
	s_mul_hi_u32 s12, s3, s27
	s_delay_alu instid0(SALU_CYCLE_1) | instskip(NEXT) | instid1(SALU_CYCLE_1)
	s_add_i32 s12, s3, s12
	s_lshr_b32 s18, s12, s28
	s_delay_alu instid0(SALU_CYCLE_1) | instskip(NEXT) | instid1(SALU_CYCLE_1)
	s_mul_i32 s12, s18, s29
	s_sub_i32 s3, s3, s12
	s_delay_alu instid0(SALU_CYCLE_1) | instskip(NEXT) | instid1(SALU_CYCLE_1)
	s_mul_hi_u32 s12, s3, s30
	s_add_i32 s12, s3, s12
	s_delay_alu instid0(SALU_CYCLE_1) | instskip(SKIP_3) | instid1(SALU_CYCLE_1)
	s_lshr_b32 s21, s12, s31
	s_mov_b32 s12, 0
	s_waitcnt lgkmcnt(0)
	s_mul_i32 s2, s21, s2
	s_sub_i32 s2, s3, s2
	s_delay_alu instid0(SALU_CYCLE_1) | instskip(NEXT) | instid1(SALU_CYCLE_1)
	s_mul_hi_u32 s3, s2, s8
	s_add_i32 s2, s2, s3
	s_delay_alu instid0(SALU_CYCLE_1) | instskip(NEXT) | instid1(SALU_CYCLE_1)
	s_lshr_b32 s19, s2, s9
	s_add_i32 s19, s19, s14
	s_delay_alu instid0(SALU_CYCLE_1) | instskip(SKIP_2) | instid1(SALU_CYCLE_1)
	s_cmp_lt_i32 s19, s4
	s_cselect_b32 s2, -1, 0
	s_add_i32 s21, s21, s15
	s_cmp_lt_i32 s21, s6
	s_cselect_b32 s3, -1, 0
	s_delay_alu instid0(SALU_CYCLE_1) | instskip(NEXT) | instid1(SALU_CYCLE_1)
	s_and_b32 s2, s2, s3
	s_and_not1_b32 vcc_lo, exec_lo, s2
	s_cbranch_vccnz .LBB16_24
; %bb.8:
	s_load_b128 s[0:3], s[0:1], 0x0
	s_lshl_b32 s22, s20, 2
	s_mov_b32 s23, s12
	s_add_i32 s14, s14, s15
	s_lshl_b64 s[22:23], s[22:23], 2
	s_mul_i32 s17, s17, s4
	s_mul_i32 s18, s18, s6
	v_cvt_f32_ubyte0_e32 v4, 0
	v_cvt_f32_u32_e32 v5, s20
	s_waitcnt lgkmcnt(0)
	s_add_u32 s6, s2, s22
	s_addc_u32 s15, s3, s23
	s_add_i32 s4, s19, s17
	s_add_i32 s17, s21, s18
	s_mul_i32 s4, s4, s5
	s_delay_alu instid0(SALU_CYCLE_1) | instskip(NEXT) | instid1(SALU_CYCLE_1)
	s_add_i32 s17, s17, s4
	v_lshl_or_b32 v1, s17, 7, v0
	s_delay_alu instid0(VALU_DEP_1) | instskip(NEXT) | instid1(VALU_DEP_1)
	v_ashrrev_i32_e32 v2, 31, v1
	v_lshlrev_b64 v[1:2], 2, v[1:2]
	s_delay_alu instid0(VALU_DEP_1) | instskip(NEXT) | instid1(VALU_DEP_2)
	v_add_co_u32 v1, vcc_lo, s0, v1
	v_add_co_ci_u32_e32 v2, vcc_lo, s1, v2, vcc_lo
	s_add_i32 s0, s14, s13
	s_delay_alu instid0(SALU_CYCLE_1) | instskip(SKIP_2) | instid1(SALU_CYCLE_1)
	s_ashr_i32 s1, s0, 31
	global_load_b32 v3, v[1:2], off
	s_lshl_b64 s[0:1], s[0:1], 3
	s_add_u32 s0, s2, s0
	s_addc_u32 s1, s3, s1
	s_add_i32 s18, s13, -1
	s_load_b64 s[0:1], s[0:1], 0x0
	v_fmac_f32_e32 v5, 0x4f800000, v4
	s_sub_i32 s17, 0, s20
	s_waitcnt lgkmcnt(0)
	v_mov_b32_e32 v8, s0
	s_delay_alu instid0(VALU_DEP_2) | instskip(SKIP_2) | instid1(VALU_DEP_2)
	v_rcp_f32_e32 v4, v5
	v_cvt_f32_u32_e32 v5, s20
	v_mov_b32_e32 v7, s1
	v_rcp_iflag_f32_e32 v5, v5
	s_waitcnt_depctr 0xfff
	v_mul_f32_e32 v4, 0x5f7ffffc, v4
	s_delay_alu instid0(VALU_DEP_1) | instskip(SKIP_1) | instid1(VALU_DEP_2)
	v_mul_f32_e32 v6, 0x2f800000, v4
	v_mul_f32_e32 v9, 0x4f7ffffe, v5
	v_trunc_f32_e32 v6, v6
	s_delay_alu instid0(VALU_DEP_1) | instskip(SKIP_1) | instid1(VALU_DEP_4)
	v_fmac_f32_e32 v4, 0xcf800000, v6
	v_cvt_u32_f32_e32 v5, v6
	v_cvt_u32_f32_e32 v6, v9
	s_delay_alu instid0(VALU_DEP_3)
	v_cvt_u32_f32_e32 v4, v4
.LBB16_9:                               ; =>This Inner Loop Header: Depth=1
	s_mul_hi_i32 s13, s18, s7
	s_mul_i32 s4, s18, s7
	s_cmp_lg_u64 s[12:13], 0
	s_mov_b32 s5, -1
                                        ; implicit-def: $sgpr0_sgpr1
	s_cbranch_scc0 .LBB16_11
; %bb.10:                               ;   in Loop: Header=BB16_9 Depth=1
	v_readfirstlane_b32 s0, v4
	v_readfirstlane_b32 s1, v5
	s_sub_u32 s5, 0, s20
	s_subb_u32 s19, 0, 0
	s_delay_alu instid0(VALU_DEP_2) | instskip(NEXT) | instid1(VALU_DEP_1)
	s_mul_hi_u32 s21, s5, s0
	s_mul_i32 s22, s5, s1
	s_mul_i32 s23, s19, s0
	s_add_i32 s21, s21, s22
	s_mul_i32 s22, s5, s0
	s_add_i32 s21, s21, s23
	s_mul_hi_u32 s23, s0, s22
	s_mul_i32 s24, s0, s21
	s_mul_hi_u32 s0, s0, s21
	s_add_u32 s23, s23, s24
	s_mul_i32 s25, s1, s22
	s_addc_u32 s0, 0, s0
	s_mul_hi_u32 s22, s1, s22
	s_mul_hi_u32 s24, s1, s21
	s_add_u32 s23, s23, s25
	s_addc_u32 s0, s0, s22
	s_mul_i32 s21, s1, s21
	s_addc_u32 s22, s24, 0
	s_add_u32 s0, s0, s21
	s_addc_u32 s21, 0, s22
	v_add_co_u32 v9, s0, v4, s0
	s_delay_alu instid0(VALU_DEP_1) | instskip(SKIP_1) | instid1(VALU_DEP_1)
	s_cmp_lg_u32 s0, 0
	s_addc_u32 s1, s1, s21
	v_readfirstlane_b32 s0, v9
	s_mul_i32 s21, s5, s1
	s_delay_alu instid0(VALU_DEP_1)
	s_mul_hi_u32 s22, s5, s0
	s_mul_i32 s19, s19, s0
	s_add_i32 s21, s22, s21
	s_mul_i32 s5, s5, s0
	s_add_i32 s21, s21, s19
	s_mul_hi_u32 s19, s1, s5
	s_mul_i32 s23, s1, s5
	s_mul_i32 s24, s0, s21
	s_mul_hi_u32 s5, s0, s5
	s_mul_hi_u32 s0, s0, s21
	s_add_u32 s5, s5, s24
	s_addc_u32 s0, 0, s0
	s_mul_hi_u32 s22, s1, s21
	s_add_u32 s5, s5, s23
	s_addc_u32 s0, s0, s19
	s_mul_i32 s5, s1, s21
	s_addc_u32 s19, s22, 0
	s_add_u32 s0, s0, s5
	s_addc_u32 s5, 0, s19
	v_add_co_u32 v9, s0, v9, s0
	s_delay_alu instid0(VALU_DEP_1) | instskip(SKIP_2) | instid1(SALU_CYCLE_1)
	s_cmp_lg_u32 s0, 0
	s_addc_u32 s5, s1, s5
	s_ashr_i32 s0, s13, 31
	s_add_u32 s22, s4, s0
	s_addc_u32 s23, s13, s0
	v_readfirstlane_b32 s13, v9
	s_mov_b32 s1, s0
	s_delay_alu instid0(SALU_CYCLE_1) | instskip(NEXT) | instid1(SALU_CYCLE_1)
	s_xor_b64 s[22:23], s[22:23], s[0:1]
	s_mul_i32 s19, s22, s5
	s_delay_alu instid0(VALU_DEP_1)
	s_mul_hi_u32 s21, s22, s13
	s_mul_hi_u32 s24, s22, s5
	s_add_u32 s19, s21, s19
	s_mul_i32 s25, s23, s13
	s_addc_u32 s21, 0, s24
	s_mul_hi_u32 s13, s23, s13
	s_mul_hi_u32 s24, s23, s5
	s_add_u32 s19, s19, s25
	s_addc_u32 s13, s21, s13
	s_mul_i32 s5, s23, s5
	s_addc_u32 s19, s24, 0
	s_add_u32 s5, s13, s5
	s_addc_u32 s13, 0, s19
	s_mul_i32 s21, s20, s5
	s_add_u32 s19, s5, 1
	v_sub_co_u32 v9, s21, s22, s21
	s_addc_u32 s22, s13, 0
	s_mul_i32 s25, s20, s13
	s_mul_hi_u32 s27, s20, s5
	s_delay_alu instid0(VALU_DEP_1)
	v_sub_co_u32 v10, s26, v9, s20
	s_add_u32 s24, s5, 2
	s_addc_u32 s28, s13, 0
	s_add_i32 s27, s27, s25
	s_cmp_lg_u32 s21, 0
	v_readfirstlane_b32 s21, v10
	s_subb_u32 s23, s23, s27
	s_cmp_lg_u32 s26, 0
	s_subb_u32 s25, s23, 0
	s_delay_alu instid0(VALU_DEP_1) | instskip(SKIP_4) | instid1(SALU_CYCLE_1)
	s_cmp_ge_u32 s21, s20
	s_cselect_b32 s21, -1, 0
	s_cmp_eq_u32 s25, 0
	v_readfirstlane_b32 s25, v9
	s_cselect_b32 s21, s21, -1
	s_cmp_lg_u32 s21, 0
	s_cselect_b32 s19, s24, s19
	s_cselect_b32 s21, s28, s22
	s_cmp_ge_u32 s25, s20
	s_cselect_b32 s22, -1, 0
	s_cmp_eq_u32 s23, 0
	s_cselect_b32 s22, s22, -1
	s_delay_alu instid0(SALU_CYCLE_1) | instskip(SKIP_4) | instid1(SALU_CYCLE_1)
	s_cmp_lg_u32 s22, 0
	s_cselect_b32 s23, s21, s13
	s_cselect_b32 s22, s19, s5
	s_mov_b32 s5, 0
	s_xor_b64 s[22:23], s[22:23], s[0:1]
	s_sub_u32 s0, s22, s0
.LBB16_11:                              ;   in Loop: Header=BB16_9 Depth=1
	s_and_not1_b32 vcc_lo, exec_lo, s5
	s_cbranch_vccnz .LBB16_13
; %bb.12:                               ;   in Loop: Header=BB16_9 Depth=1
	v_readfirstlane_b32 s0, v6
	s_delay_alu instid0(VALU_DEP_1) | instskip(NEXT) | instid1(SALU_CYCLE_1)
	s_mul_i32 s1, s17, s0
	s_mul_hi_u32 s1, s0, s1
	s_delay_alu instid0(SALU_CYCLE_1) | instskip(NEXT) | instid1(SALU_CYCLE_1)
	s_add_i32 s0, s0, s1
	s_mul_hi_u32 s0, s4, s0
	s_delay_alu instid0(SALU_CYCLE_1) | instskip(NEXT) | instid1(SALU_CYCLE_1)
	s_mul_i32 s1, s0, s20
	s_sub_i32 s1, s4, s1
	s_add_i32 s4, s0, 1
	s_sub_i32 s5, s1, s20
	s_cmp_ge_u32 s1, s20
	s_cselect_b32 s0, s4, s0
	s_cselect_b32 s1, s5, s1
	s_add_i32 s4, s0, 1
	s_cmp_ge_u32 s1, s20
	s_cselect_b32 s0, s4, s0
.LBB16_13:                              ;   in Loop: Header=BB16_9 Depth=1
	s_delay_alu instid0(SALU_CYCLE_1)
	s_cmp_lg_u32 s16, s0
	s_cbranch_scc0 .LBB16_17
; %bb.14:                               ;   in Loop: Header=BB16_9 Depth=1
	s_add_i32 s21, s18, s14
	s_mov_b32 s5, s12
	s_add_i32 s4, s21, s20
	s_mul_hi_u32 s1, s0, s8
	s_lshl_b64 s[4:5], s[4:5], 3
	s_mov_b32 s19, s16
	s_add_u32 s4, s2, s4
	s_addc_u32 s5, s3, s5
	s_add_i32 s1, s1, s0
	s_delay_alu instid0(SALU_CYCLE_1) | instskip(NEXT) | instid1(SALU_CYCLE_1)
	s_lshr_b32 s1, s1, s9
	s_mul_i32 s13, s1, s10
	s_delay_alu instid0(SALU_CYCLE_1) | instskip(SKIP_3) | instid1(SALU_CYCLE_1)
	s_cmp_eq_u32 s13, s0
	s_cselect_b32 s13, -1, 0
	s_cmp_lt_u32 s1, s11
	s_cselect_b32 s1, -1, 0
	s_or_b32 s1, s1, s13
	s_mov_b32 s13, -1
	s_and_b32 vcc_lo, exec_lo, s1
	s_mov_b32 s1, s18
	s_cbranch_vccnz .LBB16_16
; %bb.15:                               ;   in Loop: Header=BB16_9 Depth=1
	s_add_i32 s1, s18, -1
	s_mov_b32 s13, 0
	s_mov_b32 s19, s0
.LBB16_16:                              ;   in Loop: Header=BB16_9 Depth=1
	v_lshl_or_b32 v9, s21, 7, v0
	s_load_b64 s[4:5], s[4:5], 0x0
	s_delay_alu instid0(VALU_DEP_1) | instskip(NEXT) | instid1(VALU_DEP_1)
	v_ashrrev_i32_e32 v10, 31, v9
	v_lshlrev_b64 v[9:10], 2, v[9:10]
	s_delay_alu instid0(VALU_DEP_1) | instskip(NEXT) | instid1(VALU_DEP_2)
	v_add_co_u32 v9, vcc_lo, s6, v9
	v_add_co_ci_u32_e32 v10, vcc_lo, s15, v10, vcc_lo
	s_waitcnt lgkmcnt(0)
	v_max_f32_e64 v11, s4, s4
	global_load_b32 v10, v[9:10], off
	v_max_f32_e32 v9, v8, v8
	s_delay_alu instid0(VALU_DEP_1) | instskip(NEXT) | instid1(VALU_DEP_1)
	v_max_f32_e32 v9, v9, v11
	v_sub_f32_e32 v12, v8, v9
	s_delay_alu instid0(VALU_DEP_1) | instskip(NEXT) | instid1(VALU_DEP_1)
	v_dual_mul_f32 v14, 0x3fb8aa3b, v12 :: v_dual_sub_f32 v11, s4, v9
	v_rndne_f32_e32 v18, v14
	s_delay_alu instid0(VALU_DEP_2) | instskip(SKIP_2) | instid1(VALU_DEP_4)
	v_mul_f32_e32 v13, 0x3fb8aa3b, v11
	v_fma_f32 v17, 0x3fb8aa3b, v12, -v14
	v_cmp_ngt_f32_e32 vcc_lo, 0xc2ce8ed0, v11
	v_sub_f32_e32 v14, v14, v18
	s_delay_alu instid0(VALU_DEP_4) | instskip(SKIP_2) | instid1(VALU_DEP_3)
	v_fma_f32 v15, 0x3fb8aa3b, v11, -v13
	v_rndne_f32_e32 v16, v13
	v_fmac_f32_e32 v17, 0x32a5705f, v12
	v_fmac_f32_e32 v15, 0x32a5705f, v11
	s_delay_alu instid0(VALU_DEP_2) | instskip(NEXT) | instid1(VALU_DEP_1)
	v_dual_sub_f32 v13, v13, v16 :: v_dual_add_f32 v14, v14, v17
	v_add_f32_e32 v13, v13, v15
	s_delay_alu instid0(VALU_DEP_2) | instskip(SKIP_2) | instid1(VALU_DEP_3)
	v_exp_f32_e32 v14, v14
	v_cvt_i32_f32_e32 v15, v16
	v_cvt_i32_f32_e32 v16, v18
	v_exp_f32_e32 v13, v13
	s_waitcnt_depctr 0xfff
	v_ldexp_f32 v14, v14, v16
	v_ldexp_f32 v13, v13, v15
	s_delay_alu instid0(VALU_DEP_1) | instskip(SKIP_1) | instid1(VALU_DEP_4)
	v_cndmask_b32_e32 v13, 0, v13, vcc_lo
	v_cmp_ngt_f32_e32 vcc_lo, 0xc2ce8ed0, v12
	v_cndmask_b32_e32 v14, 0, v14, vcc_lo
	v_cmp_nlt_f32_e32 vcc_lo, 0x42b17218, v11
	s_delay_alu instid0(VALU_DEP_4) | instskip(SKIP_1) | instid1(VALU_DEP_4)
	v_cndmask_b32_e32 v13, 0x7f800000, v13, vcc_lo
	v_cmp_nlt_f32_e32 vcc_lo, 0x42b17218, v12
	v_cndmask_b32_e32 v14, 0x7f800000, v14, vcc_lo
	v_cmp_le_f32_e32 vcc_lo, 0xc1a00000, v11
	s_delay_alu instid0(VALU_DEP_4) | instskip(SKIP_1) | instid1(VALU_DEP_4)
	v_cndmask_b32_e32 v11, 0, v13, vcc_lo
	v_cmp_le_f32_e32 vcc_lo, 0xc1a00000, v12
	v_cndmask_b32_e32 v12, 0, v14, vcc_lo
	s_waitcnt vmcnt(0)
	s_delay_alu instid0(VALU_DEP_3) | instskip(NEXT) | instid1(VALU_DEP_1)
	v_mul_f32_e32 v10, v10, v11
	v_dual_mul_f32 v11, s5, v11 :: v_dual_fmac_f32 v10, v3, v12
	s_delay_alu instid0(VALU_DEP_1)
	v_fmac_f32_e32 v11, v7, v12
	s_cbranch_execz .LBB16_18
	s_branch .LBB16_19
.LBB16_17:                              ;   in Loop: Header=BB16_9 Depth=1
                                        ; implicit-def: $sgpr13
                                        ; implicit-def: $vgpr10
                                        ; implicit-def: $vgpr9
                                        ; implicit-def: $vgpr11
                                        ; implicit-def: $sgpr1
                                        ; implicit-def: $sgpr19
.LBB16_18:                              ;   in Loop: Header=BB16_9 Depth=1
	v_mov_b32_e32 v11, v7
	s_waitcnt vmcnt(0)
	v_dual_mov_b32 v9, v8 :: v_dual_mov_b32 v10, v3
	s_add_i32 s1, s18, -1
	s_mov_b32 s13, 0
	s_mov_b32 s19, s16
.LBB16_19:                              ;   in Loop: Header=BB16_9 Depth=1
	s_and_not1_b32 vcc_lo, exec_lo, s13
	s_cbranch_vccz .LBB16_23
; %bb.20:                               ;   in Loop: Header=BB16_9 Depth=1
	v_dual_mov_b32 v7, v11 :: v_dual_mov_b32 v8, v9
	s_waitcnt vmcnt(0)
	v_mov_b32_e32 v3, v10
	s_mov_b32 s16, s19
	s_mov_b32 s18, s1
	s_branch .LBB16_9
.LBB16_21:
                                        ; implicit-def: $sgpr16_sgpr17
	s_load_b128 s[8:11], s[0:1], 0x44
	s_branch .LBB16_2
.LBB16_22:
                                        ; implicit-def: $sgpr18_sgpr19
	s_branch .LBB16_5
.LBB16_23:
	v_div_scale_f32 v0, null, v11, v11, v10
	s_waitcnt vmcnt(0)
	s_delay_alu instid0(VALU_DEP_1) | instskip(SKIP_2) | instid1(VALU_DEP_1)
	v_rcp_f32_e32 v3, v0
	s_waitcnt_depctr 0xfff
	v_fma_f32 v4, -v0, v3, 1.0
	v_fmac_f32_e32 v3, v4, v3
	v_div_scale_f32 v4, vcc_lo, v10, v11, v10
	s_delay_alu instid0(VALU_DEP_1) | instskip(NEXT) | instid1(VALU_DEP_1)
	v_mul_f32_e32 v5, v4, v3
	v_fma_f32 v6, -v0, v5, v4
	s_delay_alu instid0(VALU_DEP_1) | instskip(NEXT) | instid1(VALU_DEP_1)
	v_fmac_f32_e32 v5, v6, v3
	v_fma_f32 v0, -v0, v5, v4
	s_delay_alu instid0(VALU_DEP_1) | instskip(NEXT) | instid1(VALU_DEP_1)
	v_div_fmas_f32 v0, v0, v3, v5
	v_div_fixup_f32 v0, v0, v11, v10
	global_store_b32 v[1:2], v0, off
.LBB16_24:
	s_nop 0
	s_sendmsg sendmsg(MSG_DEALLOC_VGPRS)
	s_endpgm
	.section	.rodata,"a",@progbits
	.p2align	6, 0x0
	.amdhsa_kernel _ZL33flash_attn_stream_k_fixup_generalILi128ELi1ELi1EEvPfPK15HIP_vector_typeIfLj2EEiiiiS1_IjLj3EES5_S5_S5_
		.amdhsa_group_segment_fixed_size 0
		.amdhsa_private_segment_fixed_size 0
		.amdhsa_kernarg_size 336
		.amdhsa_user_sgpr_count 13
		.amdhsa_user_sgpr_dispatch_ptr 0
		.amdhsa_user_sgpr_queue_ptr 0
		.amdhsa_user_sgpr_kernarg_segment_ptr 1
		.amdhsa_user_sgpr_dispatch_id 0
		.amdhsa_user_sgpr_private_segment_size 0
		.amdhsa_wavefront_size32 1
		.amdhsa_uses_dynamic_stack 0
		.amdhsa_enable_private_segment 0
		.amdhsa_system_sgpr_workgroup_id_x 1
		.amdhsa_system_sgpr_workgroup_id_y 1
		.amdhsa_system_sgpr_workgroup_id_z 1
		.amdhsa_system_sgpr_workgroup_info 0
		.amdhsa_system_vgpr_workitem_id 0
		.amdhsa_next_free_vgpr 19
		.amdhsa_next_free_sgpr 32
		.amdhsa_reserve_vcc 1
		.amdhsa_float_round_mode_32 0
		.amdhsa_float_round_mode_16_64 0
		.amdhsa_float_denorm_mode_32 3
		.amdhsa_float_denorm_mode_16_64 3
		.amdhsa_dx10_clamp 1
		.amdhsa_ieee_mode 1
		.amdhsa_fp16_overflow 0
		.amdhsa_workgroup_processor_mode 1
		.amdhsa_memory_ordered 1
		.amdhsa_forward_progress 0
		.amdhsa_shared_vgpr_count 0
		.amdhsa_exception_fp_ieee_invalid_op 0
		.amdhsa_exception_fp_denorm_src 0
		.amdhsa_exception_fp_ieee_div_zero 0
		.amdhsa_exception_fp_ieee_overflow 0
		.amdhsa_exception_fp_ieee_underflow 0
		.amdhsa_exception_fp_ieee_inexact 0
		.amdhsa_exception_int_div_zero 0
	.end_amdhsa_kernel
	.section	.text._ZL33flash_attn_stream_k_fixup_generalILi128ELi1ELi1EEvPfPK15HIP_vector_typeIfLj2EEiiiiS1_IjLj3EES5_S5_S5_,"axG",@progbits,_ZL33flash_attn_stream_k_fixup_generalILi128ELi1ELi1EEvPfPK15HIP_vector_typeIfLj2EEiiiiS1_IjLj3EES5_S5_S5_,comdat
.Lfunc_end16:
	.size	_ZL33flash_attn_stream_k_fixup_generalILi128ELi1ELi1EEvPfPK15HIP_vector_typeIfLj2EEiiiiS1_IjLj3EES5_S5_S5_, .Lfunc_end16-_ZL33flash_attn_stream_k_fixup_generalILi128ELi1ELi1EEvPfPK15HIP_vector_typeIfLj2EEiiiiS1_IjLj3EES5_S5_S5_
                                        ; -- End function
	.section	.AMDGPU.csdata,"",@progbits
; Kernel info:
; codeLenInByte = 3168
; NumSgprs: 34
; NumVgprs: 19
; ScratchSize: 0
; MemoryBound: 0
; FloatMode: 240
; IeeeMode: 1
; LDSByteSize: 0 bytes/workgroup (compile time only)
; SGPRBlocks: 4
; VGPRBlocks: 2
; NumSGPRsForWavesPerEU: 34
; NumVGPRsForWavesPerEU: 19
; Occupancy: 16
; WaveLimiterHint : 0
; COMPUTE_PGM_RSRC2:SCRATCH_EN: 0
; COMPUTE_PGM_RSRC2:USER_SGPR: 13
; COMPUTE_PGM_RSRC2:TRAP_HANDLER: 0
; COMPUTE_PGM_RSRC2:TGID_X_EN: 1
; COMPUTE_PGM_RSRC2:TGID_Y_EN: 1
; COMPUTE_PGM_RSRC2:TGID_Z_EN: 1
; COMPUTE_PGM_RSRC2:TIDIG_COMP_CNT: 0
	.section	.text._ZL26flash_attn_combine_resultsILi128EEvPKfPK15HIP_vector_typeIfLj2EEPfi,"axG",@progbits,_ZL26flash_attn_combine_resultsILi128EEvPKfPK15HIP_vector_typeIfLj2EEPfi,comdat
	.globl	_ZL26flash_attn_combine_resultsILi128EEvPKfPK15HIP_vector_typeIfLj2EEPfi ; -- Begin function _ZL26flash_attn_combine_resultsILi128EEvPKfPK15HIP_vector_typeIfLj2EEPfi
	.p2align	8
	.type	_ZL26flash_attn_combine_resultsILi128EEvPKfPK15HIP_vector_typeIfLj2EEPfi,@function
_ZL26flash_attn_combine_resultsILi128EEvPKfPK15HIP_vector_typeIfLj2EEPfi: ; @_ZL26flash_attn_combine_resultsILi128EEvPKfPK15HIP_vector_typeIfLj2EEPfi
; %bb.0:
	s_clause 0x3
	s_load_b64 s[2:3], s[0:1], 0x20
	s_load_b32 s11, s[0:1], 0x18
	s_load_b128 s[4:7], s[0:1], 0x0
	s_load_b64 s[8:9], s[0:1], 0x10
	v_lshlrev_b32_e32 v5, 2, v0
	s_mov_b32 s12, exec_lo
	s_waitcnt lgkmcnt(0)
	s_mul_i32 s0, s2, s15
	s_lshl_b32 s1, s11, 1
	s_add_i32 s0, s0, s13
	s_delay_alu instid0(SALU_CYCLE_1) | instskip(NEXT) | instid1(SALU_CYCLE_1)
	s_mul_i32 s10, s0, s3
	s_add_i32 s10, s10, s14
	s_delay_alu instid0(SALU_CYCLE_1)
	s_mul_i32 s2, s10, s11
	v_cmpx_gt_i32_e64 s1, v0
	s_cbranch_execz .LBB17_3
; %bb.1:
	s_ashr_i32 s3, s2, 31
	v_dual_mov_b32 v4, v0 :: v_dual_add_nc_u32 v3, 0, v5
	s_lshl_b64 s[14:15], s[2:3], 3
	s_delay_alu instid0(SALU_CYCLE_1) | instskip(SKIP_2) | instid1(VALU_DEP_1)
	s_add_u32 s0, s6, s14
	s_addc_u32 s3, s7, s15
	v_add_co_u32 v1, s0, s0, v5
	v_add_co_ci_u32_e64 v2, null, s3, 0, s0
	s_mov_b32 s3, 0
	.p2align	6
.LBB17_2:                               ; =>This Inner Loop Header: Depth=1
	global_load_b32 v6, v[1:2], off
	v_add_nc_u32_e32 v4, 0x80, v4
	v_add_co_u32 v1, vcc_lo, 0x200, v1
	v_add_co_ci_u32_e32 v2, vcc_lo, 0, v2, vcc_lo
	s_delay_alu instid0(VALU_DEP_3) | instskip(NEXT) | instid1(VALU_DEP_1)
	v_cmp_le_i32_e64 s0, s1, v4
	s_or_b32 s3, s0, s3
	s_waitcnt vmcnt(0)
	ds_store_b32 v3, v6
	v_add_nc_u32_e32 v3, 0x200, v3
	s_and_not1_b32 exec_lo, exec_lo, s3
	s_cbranch_execnz .LBB17_2
.LBB17_3:
	s_or_b32 exec_lo, exec_lo, s12
	v_mov_b32_e32 v1, 0
	s_waitcnt lgkmcnt(0)
	s_barrier
	buffer_gl0_inv
	s_cmp_lt_i32 s11, 2
	ds_load_b32 v6, v1
	s_cbranch_scc1 .LBB17_11
; %bb.4:
	s_add_i32 s1, s11, -2
	s_add_i32 s0, s11, -1
	s_cmp_lt_u32 s1, 7
	s_cbranch_scc1 .LBB17_8
; %bb.5:
	s_mov_b32 s3, 0
	s_add_i32 s1, 0, 8
	s_and_b32 s6, s0, -8
	.p2align	6
.LBB17_6:                               ; =>This Inner Loop Header: Depth=1
	v_mov_b32_e32 v9, s1
	s_mov_b32 s7, s3
	s_add_i32 s3, s3, 8
	s_add_i32 s1, s1, 64
	s_cmp_eq_u32 s6, s3
	ds_load_2addr_b32 v[1:2], v9 offset1:2
	ds_load_2addr_b32 v[3:4], v9 offset0:4 offset1:6
	ds_load_2addr_b32 v[7:8], v9 offset0:8 offset1:10
	;; [unrolled: 1-line block ×3, first 2 shown]
	s_waitcnt lgkmcnt(3)
	v_max3_f32 v1, v6, v1, v2
	s_waitcnt lgkmcnt(2)
	s_delay_alu instid0(VALU_DEP_1) | instskip(SKIP_1) | instid1(VALU_DEP_1)
	v_max3_f32 v1, v1, v3, v4
	s_waitcnt lgkmcnt(1)
	v_max3_f32 v1, v1, v7, v8
	s_waitcnt lgkmcnt(0)
	s_delay_alu instid0(VALU_DEP_1)
	v_max3_f32 v6, v1, v9, v10
	s_cbranch_scc0 .LBB17_6
; %bb.7:
	s_add_i32 s1, s7, 9
	s_and_b32 s0, s0, 7
	s_delay_alu instid0(SALU_CYCLE_1)
	s_cmp_eq_u32 s0, 0
	s_cbranch_scc0 .LBB17_9
	s_branch .LBB17_11
.LBB17_8:
	s_mov_b32 s1, 1
	s_and_b32 s0, s0, 7
	s_delay_alu instid0(SALU_CYCLE_1)
	s_cmp_eq_u32 s0, 0
	s_cbranch_scc1 .LBB17_11
.LBB17_9:
	s_lshl_b32 s1, s1, 3
	s_delay_alu instid0(SALU_CYCLE_1)
	s_add_i32 s1, s1, 0
.LBB17_10:                              ; =>This Inner Loop Header: Depth=1
	s_waitcnt lgkmcnt(0)
	s_delay_alu instid0(VALU_DEP_1)
	v_dual_mov_b32 v1, s1 :: v_dual_max_f32 v2, v6, v6
	s_add_i32 s0, s0, -1
	s_add_i32 s1, s1, 8
	s_cmp_lg_u32 s0, 0
	ds_load_b32 v1, v1
	s_waitcnt lgkmcnt(0)
	v_max_f32_e32 v1, v1, v1
	s_delay_alu instid0(VALU_DEP_1)
	v_max_f32_e32 v6, v2, v1
	s_cbranch_scc1 .LBB17_10
.LBB17_11:
	s_cmp_lt_i32 s11, 1
	s_cbranch_scc1 .LBB17_16
; %bb.12:
	s_lshl_b32 s0, s2, 7
	v_mov_b32_e32 v7, 0
	s_ashr_i32 s1, s0, 31
	s_mov_b32 s13, 0
	s_lshl_b64 s[0:1], s[0:1], 2
	s_delay_alu instid0(SALU_CYCLE_1)
	s_add_u32 s6, s4, s0
	s_addc_u32 s7, s5, s1
	s_cmp_lt_u32 s11, 8
	s_cbranch_scc1 .LBB17_17
; %bb.13:
	v_or_b32_e32 v1, 0x380, v0
	v_dual_mov_b32 v4, 0 :: v_dual_mov_b32 v7, 0
	v_mov_b32_e32 v8, 0
	s_and_b32 s12, s11, 0x7ffffff8
	s_mov_b32 s14, 0
.LBB17_14:                              ; =>This Inner Loop Header: Depth=1
	s_delay_alu instid0(VALU_DEP_2) | instskip(SKIP_3) | instid1(VALU_DEP_2)
	v_dual_mov_b32 v2, v4 :: v_dual_add_nc_u32 v3, 0xfffffc80, v1
	v_mov_b32_e32 v21, s13
	s_add_i32 s14, s14, 8
	s_add_i32 s13, s13, 64
	v_lshlrev_b64 v[9:10], 2, v[3:4]
	v_add_nc_u32_e32 v3, 0xfffffd00, v1
	v_lshlrev_b64 v[11:12], 2, v[1:2]
	s_cmp_eq_u32 s12, s14
	s_delay_alu instid0(VALU_DEP_2) | instskip(NEXT) | instid1(VALU_DEP_4)
	v_lshlrev_b64 v[13:14], 2, v[3:4]
	v_add_co_u32 v9, vcc_lo, s6, v9
	v_add_co_ci_u32_e32 v10, vcc_lo, s7, v10, vcc_lo
	v_add_nc_u32_e32 v3, 0xfffffd80, v1
	s_delay_alu instid0(VALU_DEP_4)
	v_add_co_u32 v13, vcc_lo, s6, v13
	global_load_b32 v25, v[9:10], off
	v_add_co_ci_u32_e32 v14, vcc_lo, s7, v14, vcc_lo
	v_lshlrev_b64 v[15:16], 2, v[3:4]
	v_add_nc_u32_e32 v3, 0xfffffe00, v1
	global_load_b32 v26, v[13:14], off
	v_add_co_u32 v13, vcc_lo, s6, v15
	v_add_co_ci_u32_e32 v14, vcc_lo, s7, v16, vcc_lo
	v_lshlrev_b64 v[9:10], 2, v[3:4]
	v_add_nc_u32_e32 v3, 0xfffffe80, v1
	global_load_b32 v27, v[13:14], off
	v_add_co_u32 v9, vcc_lo, s6, v9
	v_lshlrev_b64 v[15:16], 2, v[3:4]
	v_add_nc_u32_e32 v3, 0xffffff00, v1
	v_add_co_ci_u32_e32 v10, vcc_lo, s7, v10, vcc_lo
	global_load_b32 v28, v[9:10], off
	v_lshlrev_b64 v[13:14], 2, v[3:4]
	v_add_nc_u32_e32 v3, 0xffffff80, v1
	v_add_co_u32 v9, vcc_lo, s6, v15
	v_add_co_ci_u32_e32 v10, vcc_lo, s7, v16, vcc_lo
	s_delay_alu instid0(VALU_DEP_4) | instskip(NEXT) | instid1(VALU_DEP_4)
	v_add_co_u32 v13, vcc_lo, s6, v13
	v_lshlrev_b64 v[2:3], 2, v[3:4]
	v_add_co_ci_u32_e32 v14, vcc_lo, s7, v14, vcc_lo
	s_clause 0x1
	global_load_b32 v29, v[9:10], off
	global_load_b32 v30, v[13:14], off
	v_add_co_u32 v2, vcc_lo, s6, v2
	v_add_co_ci_u32_e32 v3, vcc_lo, s7, v3, vcc_lo
	v_add_co_u32 v9, vcc_lo, s6, v11
	v_add_co_ci_u32_e32 v10, vcc_lo, s7, v12, vcc_lo
	s_clause 0x1
	global_load_b32 v2, v[2:3], off
	global_load_b32 v3, v[9:10], off
	ds_load_2addr_b64 v[9:12], v21 offset1:1
	ds_load_2addr_b64 v[13:16], v21 offset0:2 offset1:3
	ds_load_2addr_b64 v[17:20], v21 offset0:4 offset1:5
	;; [unrolled: 1-line block ×3, first 2 shown]
	v_add_nc_u32_e32 v1, 0x400, v1
	s_waitcnt lgkmcnt(1)
	v_sub_f32_e32 v19, v19, v6
	v_sub_f32_e32 v11, v11, v6
	s_waitcnt lgkmcnt(0)
	v_sub_f32_e32 v23, v23, v6
	s_delay_alu instid0(VALU_DEP_3) | instskip(NEXT) | instid1(VALU_DEP_3)
	v_dual_sub_f32 v13, v13, v6 :: v_dual_mul_f32 v36, 0x3fb8aa3b, v19
	v_mul_f32_e32 v32, 0x3fb8aa3b, v11
	s_delay_alu instid0(VALU_DEP_2) | instskip(SKIP_1) | instid1(VALU_DEP_4)
	v_dual_mul_f32 v38, 0x3fb8aa3b, v23 :: v_dual_mul_f32 v33, 0x3fb8aa3b, v13
	v_cmp_ngt_f32_e32 vcc_lo, 0xc2ce8ed0, v13
	v_fma_f32 v49, 0x3fb8aa3b, v19, -v36
	s_delay_alu instid0(VALU_DEP_4) | instskip(SKIP_4) | instid1(VALU_DEP_4)
	v_fma_f32 v41, 0x3fb8aa3b, v11, -v32
	v_rndne_f32_e32 v42, v32
	v_fma_f32 v43, 0x3fb8aa3b, v13, -v33
	v_rndne_f32_e32 v44, v33
	v_rndne_f32_e32 v50, v36
	v_dual_fmac_f32 v41, 0x32a5705f, v11 :: v_dual_sub_f32 v32, v32, v42
	v_sub_f32_e32 v15, v15, v6
	v_fmac_f32_e32 v43, 0x32a5705f, v13
	v_sub_f32_e32 v33, v33, v44
	v_cvt_i32_f32_e32 v42, v42
	v_dual_add_f32 v32, v32, v41 :: v_dual_sub_f32 v9, v9, v6
	v_mul_f32_e32 v34, 0x3fb8aa3b, v15
	s_delay_alu instid0(VALU_DEP_4) | instskip(SKIP_1) | instid1(VALU_DEP_4)
	v_add_f32_e32 v33, v33, v43
	v_cvt_i32_f32_e32 v44, v44
	v_exp_f32_e32 v32, v32
	v_mul_f32_e32 v31, 0x3fb8aa3b, v9
	v_fma_f32 v45, 0x3fb8aa3b, v15, -v34
	v_rndne_f32_e32 v46, v34
	v_exp_f32_e32 v33, v33
	v_cmp_ngt_f32_e64 s5, 0xc2ce8ed0, v9
	v_fma_f32 v39, 0x3fb8aa3b, v9, -v31
	v_rndne_f32_e32 v40, v31
	v_dual_fmac_f32 v45, 0x32a5705f, v15 :: v_dual_sub_f32 v34, v34, v46
	v_sub_f32_e32 v17, v17, v6
	s_delay_alu instid0(VALU_DEP_4) | instskip(NEXT) | instid1(VALU_DEP_4)
	v_fmac_f32_e32 v39, 0x32a5705f, v9
	v_sub_f32_e32 v31, v31, v40
	v_cvt_i32_f32_e32 v40, v40
	v_add_f32_e32 v34, v34, v45
	v_ldexp_f32 v32, v32, v42
	v_ldexp_f32 v33, v33, v44
	v_add_f32_e32 v31, v31, v39
	v_cvt_i32_f32_e32 v46, v46
	v_exp_f32_e32 v34, v34
	v_cmp_ngt_f32_e64 s0, 0xc2ce8ed0, v15
	v_fmac_f32_e32 v49, 0x32a5705f, v19
	v_exp_f32_e32 v31, v31
	v_sub_f32_e32 v36, v36, v50
	v_cvt_i32_f32_e32 v50, v50
	v_cmp_ngt_f32_e64 s1, 0xc2ce8ed0, v17
	v_rndne_f32_e32 v54, v38
	s_delay_alu instid0(VALU_DEP_4) | instskip(NEXT) | instid1(TRANS32_DEP_2)
	v_add_f32_e32 v36, v36, v49
	v_ldexp_f32 v34, v34, v46
	v_cmp_ngt_f32_e64 s2, 0xc2ce8ed0, v19
	s_delay_alu instid0(TRANS32_DEP_1) | instskip(NEXT) | instid1(VALU_DEP_4)
	v_ldexp_f32 v31, v31, v40
	v_exp_f32_e32 v36, v36
	s_delay_alu instid0(VALU_DEP_1) | instskip(SKIP_1) | instid1(VALU_DEP_1)
	v_cndmask_b32_e64 v31, 0, v31, s5
	v_cmp_ngt_f32_e64 s5, 0xc2ce8ed0, v11
	v_cndmask_b32_e64 v32, 0, v32, s5
	v_cmp_nlt_f32_e64 s5, 0x42b17218, v9
	s_waitcnt_depctr 0xfff
	v_ldexp_f32 v36, v36, v50
	v_cndmask_b32_e64 v9, 0x7f800000, v31, s5
	v_cndmask_b32_e32 v31, 0, v33, vcc_lo
	v_cmp_nlt_f32_e32 vcc_lo, 0x42b17218, v11
	s_delay_alu instid0(VALU_DEP_3) | instskip(SKIP_1) | instid1(VALU_DEP_2)
	v_dual_fmac_f32 v8, v9, v10 :: v_dual_cndmask_b32 v11, 0x7f800000, v32
	v_cmp_nlt_f32_e32 vcc_lo, 0x42b17218, v13
	v_fmac_f32_e32 v8, v11, v12
	v_cndmask_b32_e32 v10, 0x7f800000, v31, vcc_lo
	v_cmp_nlt_f32_e32 vcc_lo, 0x42b17218, v15
	v_fma_f32 v53, 0x3fb8aa3b, v23, -v38
	v_sub_f32_e32 v38, v38, v54
	v_cvt_i32_f32_e32 v54, v54
	v_fmac_f32_e32 v8, v10, v14
	v_cmp_ngt_f32_e64 s4, 0xc2ce8ed0, v23
	v_fmac_f32_e32 v53, 0x32a5705f, v23
	s_delay_alu instid0(VALU_DEP_1) | instskip(NEXT) | instid1(VALU_DEP_1)
	v_dual_sub_f32 v21, v21, v6 :: v_dual_add_f32 v38, v38, v53
	v_cmp_ngt_f32_e64 s3, 0xc2ce8ed0, v21
	s_delay_alu instid0(VALU_DEP_2)
	v_exp_f32_e32 v38, v38
	s_waitcnt_depctr 0xfff
	v_ldexp_f32 v38, v38, v54
	s_waitcnt vmcnt(7)
	v_fmac_f32_e32 v7, v25, v9
	v_cndmask_b32_e64 v9, 0, v34, s0
	s_delay_alu instid0(VALU_DEP_1) | instskip(SKIP_1) | instid1(VALU_DEP_3)
	v_cndmask_b32_e32 v9, 0x7f800000, v9, vcc_lo
	s_waitcnt vmcnt(6)
	v_fmac_f32_e32 v7, v26, v11
	v_cmp_nlt_f32_e32 vcc_lo, 0x42b17218, v17
	s_delay_alu instid0(VALU_DEP_3) | instskip(SKIP_1) | instid1(VALU_DEP_3)
	v_dual_fmac_f32 v8, v9, v16 :: v_dual_mul_f32 v35, 0x3fb8aa3b, v17
	s_waitcnt vmcnt(5)
	v_fmac_f32_e32 v7, v27, v10
	s_delay_alu instid0(VALU_DEP_2) | instskip(SKIP_2) | instid1(VALU_DEP_3)
	v_fma_f32 v47, 0x3fb8aa3b, v17, -v35
	v_rndne_f32_e32 v48, v35
	v_cndmask_b32_e64 v10, 0, v36, s2
	v_fmac_f32_e32 v47, 0x32a5705f, v17
	s_delay_alu instid0(VALU_DEP_3) | instskip(SKIP_1) | instid1(VALU_DEP_2)
	v_sub_f32_e32 v35, v35, v48
	v_cvt_i32_f32_e32 v48, v48
	v_add_f32_e32 v35, v35, v47
	s_waitcnt vmcnt(4)
	v_fmac_f32_e32 v7, v28, v9
	s_delay_alu instid0(VALU_DEP_2) | instskip(SKIP_2) | instid1(VALU_DEP_1)
	v_exp_f32_e32 v35, v35
	s_waitcnt_depctr 0xfff
	v_ldexp_f32 v35, v35, v48
	v_cndmask_b32_e64 v11, 0, v35, s1
	s_delay_alu instid0(VALU_DEP_1) | instskip(SKIP_1) | instid1(VALU_DEP_2)
	v_cndmask_b32_e32 v11, 0x7f800000, v11, vcc_lo
	v_cmp_nlt_f32_e32 vcc_lo, 0x42b17218, v19
	v_fmac_f32_e32 v8, v11, v18
	v_cndmask_b32_e32 v10, 0x7f800000, v10, vcc_lo
	v_mul_f32_e32 v37, 0x3fb8aa3b, v21
	s_waitcnt vmcnt(3)
	v_fmac_f32_e32 v7, v29, v11
	v_cmp_nlt_f32_e32 vcc_lo, 0x42b17218, v21
	v_cndmask_b32_e64 v11, 0, v38, s4
	v_fmac_f32_e32 v8, v10, v20
	v_fma_f32 v51, 0x3fb8aa3b, v21, -v37
	v_rndne_f32_e32 v52, v37
	s_waitcnt vmcnt(2)
	v_fmac_f32_e32 v7, v30, v10
	s_delay_alu instid0(VALU_DEP_3) | instskip(NEXT) | instid1(VALU_DEP_3)
	v_fmac_f32_e32 v51, 0x32a5705f, v21
	v_sub_f32_e32 v37, v37, v52
	v_cvt_i32_f32_e32 v52, v52
	s_delay_alu instid0(VALU_DEP_2) | instskip(NEXT) | instid1(VALU_DEP_1)
	v_add_f32_e32 v37, v37, v51
	v_exp_f32_e32 v37, v37
	s_waitcnt_depctr 0xfff
	v_ldexp_f32 v37, v37, v52
	s_delay_alu instid0(VALU_DEP_1) | instskip(NEXT) | instid1(VALU_DEP_1)
	v_cndmask_b32_e64 v9, 0, v37, s3
	v_cndmask_b32_e32 v9, 0x7f800000, v9, vcc_lo
	v_cmp_nlt_f32_e32 vcc_lo, 0x42b17218, v23
	s_delay_alu instid0(VALU_DEP_2) | instskip(SKIP_3) | instid1(VALU_DEP_1)
	v_fmac_f32_e32 v8, v9, v22
	s_waitcnt vmcnt(1)
	v_dual_cndmask_b32 v10, 0x7f800000, v11 :: v_dual_fmac_f32 v7, v2, v9
	s_waitcnt vmcnt(0)
	v_dual_fmac_f32 v8, v10, v24 :: v_dual_fmac_f32 v7, v3, v10
	s_cbranch_scc0 .LBB17_14
; %bb.15:
	s_and_b32 s0, s11, 7
	s_delay_alu instid0(SALU_CYCLE_1)
	s_cmp_eq_u32 s0, 0
	s_cbranch_scc0 .LBB17_18
	s_branch .LBB17_20
.LBB17_16:
	v_mov_b32_e32 v0, 0x7fc00000
	s_branch .LBB17_21
.LBB17_17:
	v_mov_b32_e32 v8, 0
	s_mov_b32 s12, 0
	s_and_b32 s0, s11, 7
	s_delay_alu instid0(SALU_CYCLE_1)
	s_cmp_eq_u32 s0, 0
	s_cbranch_scc1 .LBB17_20
.LBB17_18:
	v_lshl_or_b32 v0, s12, 7, v0
	v_mov_b32_e32 v1, 0
	s_lshl_b32 s1, s12, 3
	s_delay_alu instid0(SALU_CYCLE_1)
	s_add_i32 s1, s1, 0
	s_set_inst_prefetch_distance 0x1
	.p2align	6
.LBB17_19:                              ; =>This Inner Loop Header: Depth=1
	s_delay_alu instid0(VALU_DEP_1) | instskip(SKIP_2) | instid1(VALU_DEP_2)
	v_lshlrev_b64 v[2:3], 2, v[0:1]
	s_add_i32 s0, s0, -1
	v_add_nc_u32_e32 v0, 0x80, v0
	v_add_co_u32 v2, vcc_lo, s6, v2
	s_delay_alu instid0(VALU_DEP_3)
	v_add_co_ci_u32_e32 v3, vcc_lo, s7, v3, vcc_lo
	global_load_b32 v4, v[2:3], off
	v_mov_b32_e32 v2, s1
	s_add_i32 s1, s1, 8
	s_cmp_lg_u32 s0, 0
	ds_load_b64 v[2:3], v2
	s_waitcnt lgkmcnt(0)
	v_sub_f32_e32 v2, v2, v6
	s_delay_alu instid0(VALU_DEP_1) | instskip(SKIP_1) | instid1(VALU_DEP_2)
	v_mul_f32_e32 v9, 0x3fb8aa3b, v2
	v_cmp_ngt_f32_e32 vcc_lo, 0xc2ce8ed0, v2
	v_fma_f32 v10, 0x3fb8aa3b, v2, -v9
	v_rndne_f32_e32 v11, v9
	s_delay_alu instid0(VALU_DEP_1) | instskip(NEXT) | instid1(VALU_DEP_1)
	v_dual_fmac_f32 v10, 0x32a5705f, v2 :: v_dual_sub_f32 v9, v9, v11
	v_add_f32_e32 v9, v9, v10
	v_cvt_i32_f32_e32 v10, v11
	s_delay_alu instid0(VALU_DEP_2) | instskip(SKIP_2) | instid1(VALU_DEP_1)
	v_exp_f32_e32 v9, v9
	s_waitcnt_depctr 0xfff
	v_ldexp_f32 v9, v9, v10
	v_cndmask_b32_e32 v9, 0, v9, vcc_lo
	v_cmp_nlt_f32_e32 vcc_lo, 0x42b17218, v2
	s_delay_alu instid0(VALU_DEP_2) | instskip(SKIP_1) | instid1(VALU_DEP_1)
	v_cndmask_b32_e32 v2, 0x7f800000, v9, vcc_lo
	s_waitcnt vmcnt(0)
	v_dual_fmac_f32 v8, v2, v3 :: v_dual_fmac_f32 v7, v4, v2
	s_cbranch_scc1 .LBB17_19
.LBB17_20:
	s_set_inst_prefetch_distance 0x2
	s_delay_alu instid0(VALU_DEP_1) | instskip(NEXT) | instid1(VALU_DEP_1)
	v_div_scale_f32 v0, null, v8, v8, v7
	v_rcp_f32_e32 v1, v0
	s_waitcnt_depctr 0xfff
	v_fma_f32 v2, -v0, v1, 1.0
	s_delay_alu instid0(VALU_DEP_1) | instskip(SKIP_1) | instid1(VALU_DEP_1)
	v_fmac_f32_e32 v1, v2, v1
	v_div_scale_f32 v2, vcc_lo, v7, v8, v7
	v_mul_f32_e32 v3, v2, v1
	s_delay_alu instid0(VALU_DEP_1) | instskip(NEXT) | instid1(VALU_DEP_1)
	v_fma_f32 v4, -v0, v3, v2
	v_fmac_f32_e32 v3, v4, v1
	s_delay_alu instid0(VALU_DEP_1) | instskip(NEXT) | instid1(VALU_DEP_1)
	v_fma_f32 v0, -v0, v3, v2
	v_div_fmas_f32 v0, v0, v1, v3
	s_delay_alu instid0(VALU_DEP_1)
	v_div_fixup_f32 v0, v0, v8, v7
.LBB17_21:
	s_lshl_b32 s0, s10, 7
	s_delay_alu instid0(SALU_CYCLE_1) | instskip(NEXT) | instid1(SALU_CYCLE_1)
	s_ashr_i32 s1, s0, 31
	s_lshl_b64 s[0:1], s[0:1], 2
	s_delay_alu instid0(SALU_CYCLE_1)
	s_add_u32 s0, s8, s0
	s_addc_u32 s1, s9, s1
	global_store_b32 v5, v0, s[0:1]
	s_nop 0
	s_sendmsg sendmsg(MSG_DEALLOC_VGPRS)
	s_endpgm
	.section	.rodata,"a",@progbits
	.p2align	6, 0x0
	.amdhsa_kernel _ZL26flash_attn_combine_resultsILi128EEvPKfPK15HIP_vector_typeIfLj2EEPfi
		.amdhsa_group_segment_fixed_size 0
		.amdhsa_private_segment_fixed_size 0
		.amdhsa_kernarg_size 288
		.amdhsa_user_sgpr_count 13
		.amdhsa_user_sgpr_dispatch_ptr 0
		.amdhsa_user_sgpr_queue_ptr 0
		.amdhsa_user_sgpr_kernarg_segment_ptr 1
		.amdhsa_user_sgpr_dispatch_id 0
		.amdhsa_user_sgpr_private_segment_size 0
		.amdhsa_wavefront_size32 1
		.amdhsa_uses_dynamic_stack 0
		.amdhsa_enable_private_segment 0
		.amdhsa_system_sgpr_workgroup_id_x 1
		.amdhsa_system_sgpr_workgroup_id_y 1
		.amdhsa_system_sgpr_workgroup_id_z 1
		.amdhsa_system_sgpr_workgroup_info 0
		.amdhsa_system_vgpr_workitem_id 0
		.amdhsa_next_free_vgpr 55
		.amdhsa_next_free_sgpr 16
		.amdhsa_reserve_vcc 1
		.amdhsa_float_round_mode_32 0
		.amdhsa_float_round_mode_16_64 0
		.amdhsa_float_denorm_mode_32 3
		.amdhsa_float_denorm_mode_16_64 3
		.amdhsa_dx10_clamp 1
		.amdhsa_ieee_mode 1
		.amdhsa_fp16_overflow 0
		.amdhsa_workgroup_processor_mode 1
		.amdhsa_memory_ordered 1
		.amdhsa_forward_progress 0
		.amdhsa_shared_vgpr_count 0
		.amdhsa_exception_fp_ieee_invalid_op 0
		.amdhsa_exception_fp_denorm_src 0
		.amdhsa_exception_fp_ieee_div_zero 0
		.amdhsa_exception_fp_ieee_overflow 0
		.amdhsa_exception_fp_ieee_underflow 0
		.amdhsa_exception_fp_ieee_inexact 0
		.amdhsa_exception_int_div_zero 0
	.end_amdhsa_kernel
	.section	.text._ZL26flash_attn_combine_resultsILi128EEvPKfPK15HIP_vector_typeIfLj2EEPfi,"axG",@progbits,_ZL26flash_attn_combine_resultsILi128EEvPKfPK15HIP_vector_typeIfLj2EEPfi,comdat
.Lfunc_end17:
	.size	_ZL26flash_attn_combine_resultsILi128EEvPKfPK15HIP_vector_typeIfLj2EEPfi, .Lfunc_end17-_ZL26flash_attn_combine_resultsILi128EEvPKfPK15HIP_vector_typeIfLj2EEPfi
                                        ; -- End function
	.section	.AMDGPU.csdata,"",@progbits
; Kernel info:
; codeLenInByte = 2352
; NumSgprs: 18
; NumVgprs: 55
; ScratchSize: 0
; MemoryBound: 0
; FloatMode: 240
; IeeeMode: 1
; LDSByteSize: 0 bytes/workgroup (compile time only)
; SGPRBlocks: 2
; VGPRBlocks: 6
; NumSGPRsForWavesPerEU: 18
; NumVGPRsForWavesPerEU: 55
; Occupancy: 16
; WaveLimiterHint : 0
; COMPUTE_PGM_RSRC2:SCRATCH_EN: 0
; COMPUTE_PGM_RSRC2:USER_SGPR: 13
; COMPUTE_PGM_RSRC2:TRAP_HANDLER: 0
; COMPUTE_PGM_RSRC2:TGID_X_EN: 1
; COMPUTE_PGM_RSRC2:TGID_Y_EN: 1
; COMPUTE_PGM_RSRC2:TGID_Z_EN: 1
; COMPUTE_PGM_RSRC2:TIDIG_COMP_CNT: 0
	.section	.text._ZL18flash_attn_ext_vecILi128ELi1EL9ggml_type6ELS0_3ELb1EEvPKcS2_S2_S2_S2_PKiPfP15HIP_vector_typeIfLj2EEffffjfiS6_IjLj3EEiiiiiiiiiiiliiliiiiil,"axG",@progbits,_ZL18flash_attn_ext_vecILi128ELi1EL9ggml_type6ELS0_3ELb1EEvPKcS2_S2_S2_S2_PKiPfP15HIP_vector_typeIfLj2EEffffjfiS6_IjLj3EEiiiiiiiiiiiliiliiiiil,comdat
	.globl	_ZL18flash_attn_ext_vecILi128ELi1EL9ggml_type6ELS0_3ELb1EEvPKcS2_S2_S2_S2_PKiPfP15HIP_vector_typeIfLj2EEffffjfiS6_IjLj3EEiiiiiiiiiiiliiliiiiil ; -- Begin function _ZL18flash_attn_ext_vecILi128ELi1EL9ggml_type6ELS0_3ELb1EEvPKcS2_S2_S2_S2_PKiPfP15HIP_vector_typeIfLj2EEffffjfiS6_IjLj3EEiiiiiiiiiiiliiliiiiil
	.p2align	8
	.type	_ZL18flash_attn_ext_vecILi128ELi1EL9ggml_type6ELS0_3ELb1EEvPKcS2_S2_S2_S2_PKiPfP15HIP_vector_typeIfLj2EEffffjfiS6_IjLj3EEiiiiiiiiiiiliiliiiiil,@function
_ZL18flash_attn_ext_vecILi128ELi1EL9ggml_type6ELS0_3ELb1EEvPKcS2_S2_S2_S2_PKiPfP15HIP_vector_typeIfLj2EEffffjfiS6_IjLj3EEiiiiiiiiiiiliiliiiiil: ; @_ZL18flash_attn_ext_vecILi128ELi1EL9ggml_type6ELS0_3ELb1EEvPKcS2_S2_S2_S2_PKiPfP15HIP_vector_typeIfLj2EEffffjfiS6_IjLj3EEiiiiiiiiiiiliiliiiiil
; %bb.0:
	s_clause 0x4
	s_load_b64 s[34:35], s[0:1], 0x64
	s_load_b64 s[38:39], s[0:1], 0x80
	;; [unrolled: 1-line block ×3, first 2 shown]
	s_load_b128 s[8:11], s[0:1], 0x40
	s_load_b64 s[40:41], s[0:1], 0x50
	v_mov_b32_e32 v44, 1.0
	s_waitcnt lgkmcnt(0)
	v_cvt_f32_u32_e32 v1, s35
	s_sub_i32 s3, 0, s35
	s_delay_alu instid0(VALU_DEP_1) | instskip(SKIP_2) | instid1(VALU_DEP_1)
	v_rcp_iflag_f32_e32 v1, v1
	s_waitcnt_depctr 0xfff
	v_mul_f32_e32 v1, 0x4f7ffffe, v1
	v_cvt_u32_f32_e32 v1, v1
	s_delay_alu instid0(VALU_DEP_1) | instskip(NEXT) | instid1(VALU_DEP_1)
	v_readfirstlane_b32 s2, v1
	s_mul_i32 s3, s3, s2
	s_delay_alu instid0(SALU_CYCLE_1) | instskip(NEXT) | instid1(SALU_CYCLE_1)
	s_mul_hi_u32 s3, s2, s3
	s_add_i32 s2, s2, s3
	s_delay_alu instid0(SALU_CYCLE_1) | instskip(NEXT) | instid1(SALU_CYCLE_1)
	s_mul_hi_u32 s2, s15, s2
	s_mul_i32 s3, s2, s35
	s_add_i32 s4, s2, 1
	s_sub_i32 s3, s15, s3
	s_delay_alu instid0(SALU_CYCLE_1)
	s_sub_i32 s5, s3, s35
	s_cmp_ge_u32 s3, s35
	s_cselect_b32 s2, s4, s2
	s_cselect_b32 s3, s5, s3
	s_add_i32 s4, s2, 1
	s_cmp_ge_u32 s3, s35
	s_cselect_b32 s12, s4, s2
	s_abs_i32 s2, s39
	s_abs_i32 s6, s35
	v_cvt_f32_u32_e32 v1, s2
	s_sub_i32 s4, 0, s2
	s_xor_b32 s5, s35, s39
	s_delay_alu instid0(SALU_CYCLE_1) | instskip(NEXT) | instid1(VALU_DEP_1)
	s_ashr_i32 s5, s5, 31
	v_rcp_iflag_f32_e32 v1, v1
	s_waitcnt_depctr 0xfff
	v_mul_f32_e32 v1, 0x4f7ffffe, v1
	s_delay_alu instid0(VALU_DEP_1) | instskip(NEXT) | instid1(VALU_DEP_1)
	v_cvt_u32_f32_e32 v1, v1
	v_readfirstlane_b32 s3, v1
	s_delay_alu instid0(VALU_DEP_1) | instskip(NEXT) | instid1(SALU_CYCLE_1)
	s_mul_i32 s4, s4, s3
	s_mul_hi_u32 s4, s3, s4
	s_delay_alu instid0(SALU_CYCLE_1) | instskip(SKIP_4) | instid1(SALU_CYCLE_1)
	s_add_i32 s3, s3, s4
	s_mul_i32 s4, s12, s35
	s_mul_hi_u32 s3, s6, s3
	s_sub_i32 s36, s15, s4
	s_mul_i32 s7, s3, s2
	s_sub_i32 s4, s6, s7
	s_add_i32 s6, s3, 1
	s_sub_i32 s7, s4, s2
	s_cmp_ge_u32 s4, s2
	s_cselect_b32 s3, s6, s3
	s_cselect_b32 s4, s7, s4
	s_add_i32 s6, s3, 1
	s_cmp_ge_u32 s4, s2
	s_cselect_b32 s2, s6, s3
	s_abs_i32 s15, s42
	s_xor_b32 s2, s2, s5
	v_cvt_f32_u32_e32 v1, s15
	s_sub_i32 s6, s2, s5
	v_cmp_le_f32_e64 s2, s9, 0
	s_abs_i32 s42, s6
	s_abs_i32 s33, s36
	v_cvt_f32_u32_e32 v2, s42
	v_rcp_iflag_f32_e32 v1, v1
	s_and_b32 vcc_lo, exec_lo, s2
	s_sub_i32 s2, 0, s15
	s_sub_i32 s3, 0, s42
	v_rcp_iflag_f32_e32 v2, v2
	s_abs_i32 s44, s12
	s_waitcnt_depctr 0xfff
	v_dual_mul_f32 v1, 0x4f7ffffe, v1 :: v_dual_mul_f32 v2, 0x4f7ffffe, v2
	s_delay_alu instid0(VALU_DEP_1) | instskip(NEXT) | instid1(VALU_DEP_2)
	v_cvt_u32_f32_e32 v1, v1
	v_cvt_u32_f32_e32 v2, v2
	s_delay_alu instid0(VALU_DEP_2) | instskip(NEXT) | instid1(VALU_DEP_2)
	v_readfirstlane_b32 s5, v1
	v_readfirstlane_b32 s7, v2
	s_delay_alu instid0(VALU_DEP_2) | instskip(NEXT) | instid1(SALU_CYCLE_1)
	s_mul_i32 s2, s2, s5
	s_mul_hi_u32 s2, s5, s2
	s_delay_alu instid0(VALU_DEP_1) | instskip(SKIP_2) | instid1(SALU_CYCLE_1)
	s_mul_i32 s3, s3, s7
	s_add_i32 s5, s5, s2
	s_mul_hi_u32 s3, s7, s3
	s_add_i32 s7, s7, s3
	s_cbranch_vccnz .LBB18_2
; %bb.1:
	s_sub_i32 s2, s36, s40
	s_add_i32 s3, s36, 1
	s_lshl_b32 s2, s2, 1
	v_mov_b32_e32 v1, s10
	s_or_b32 s2, s2, 1
	s_cmp_lt_u32 s36, s40
	s_cselect_b32 vcc_lo, -1, 0
	s_delay_alu instid0(VALU_DEP_1)
	v_cndmask_b32_e32 v3, s11, v1, vcc_lo
	s_and_b32 s4, vcc_lo, exec_lo
	s_cselect_b32 s2, s3, s2
	s_mov_b32 s3, 0x3e76c4e1
	v_cvt_f32_i32_e32 v1, s2
	v_cmp_neq_f32_e32 vcc_lo, 1.0, v3
	s_delay_alu instid0(VALU_DEP_2) | instskip(NEXT) | instid1(VALU_DEP_1)
	v_cndmask_b32_e32 v4, 1.0, v1, vcc_lo
	v_cmp_eq_f32_e32 vcc_lo, 0, v4
	v_cndmask_b32_e64 v5, |v3|, 1.0, vcc_lo
	s_delay_alu instid0(VALU_DEP_1) | instskip(NEXT) | instid1(VALU_DEP_1)
	v_frexp_mant_f32_e32 v1, v5
	v_cmp_gt_f32_e64 s2, 0x3f2aaaab, v1
	s_delay_alu instid0(VALU_DEP_1) | instskip(NEXT) | instid1(VALU_DEP_1)
	v_cndmask_b32_e64 v2, 1.0, 2.0, s2
	v_mul_f32_e32 v1, v1, v2
	s_delay_alu instid0(VALU_DEP_1) | instskip(SKIP_1) | instid1(VALU_DEP_2)
	v_add_f32_e32 v2, 1.0, v1
	v_add_f32_e32 v7, -1.0, v1
	v_rcp_f32_e32 v6, v2
	s_waitcnt_depctr 0xfff
	v_mul_f32_e32 v8, v7, v6
	s_delay_alu instid0(VALU_DEP_1) | instskip(NEXT) | instid1(VALU_DEP_1)
	v_dual_add_f32 v9, -1.0, v2 :: v_dual_mul_f32 v10, v2, v8
	v_sub_f32_e32 v1, v1, v9
	v_cndmask_b32_e64 v3, v3, 1.0, vcc_lo
	s_delay_alu instid0(VALU_DEP_3) | instskip(NEXT) | instid1(VALU_DEP_2)
	v_fma_f32 v2, v8, v2, -v10
	v_cmp_eq_f32_e64 s4, 0, v3
	s_delay_alu instid0(VALU_DEP_2) | instskip(NEXT) | instid1(VALU_DEP_1)
	v_fmac_f32_e32 v2, v8, v1
	v_add_f32_e32 v1, v10, v2
	s_delay_alu instid0(VALU_DEP_1) | instskip(NEXT) | instid1(VALU_DEP_1)
	v_dual_sub_f32 v10, v1, v10 :: v_dual_sub_f32 v9, v7, v1
	v_dual_sub_f32 v2, v10, v2 :: v_dual_sub_f32 v7, v7, v9
	s_delay_alu instid0(VALU_DEP_1) | instskip(NEXT) | instid1(VALU_DEP_1)
	v_sub_f32_e32 v1, v7, v1
	v_add_f32_e32 v1, v2, v1
	s_delay_alu instid0(VALU_DEP_1) | instskip(NEXT) | instid1(VALU_DEP_1)
	v_add_f32_e32 v1, v9, v1
	v_mul_f32_e32 v1, v6, v1
	s_delay_alu instid0(VALU_DEP_1) | instskip(NEXT) | instid1(VALU_DEP_1)
	v_add_f32_e32 v6, v8, v1
	v_sub_f32_e32 v2, v6, v8
	v_mul_f32_e32 v7, v6, v6
	s_delay_alu instid0(VALU_DEP_2) | instskip(NEXT) | instid1(VALU_DEP_2)
	v_sub_f32_e32 v8, v1, v2
	v_fma_f32 v9, v6, v6, -v7
	s_delay_alu instid0(VALU_DEP_2) | instskip(NEXT) | instid1(VALU_DEP_1)
	v_add_f32_e32 v1, v8, v8
	v_fmac_f32_e32 v9, v6, v1
	v_cvt_f64_f32_e32 v[1:2], v5
	s_delay_alu instid0(VALU_DEP_2) | instskip(NEXT) | instid1(VALU_DEP_1)
	v_add_f32_e32 v10, v7, v9
	v_fmaak_f32 v11, s3, v10, 0x3e91f4c4
	v_sub_f32_e32 v7, v10, v7
	v_mul_f32_e32 v14, v6, v10
	s_delay_alu instid0(VALU_DEP_3) | instskip(NEXT) | instid1(VALU_DEP_3)
	v_fmaak_f32 v11, v10, v11, 0x3ecccdef
	v_sub_f32_e32 v7, v9, v7
	s_delay_alu instid0(VALU_DEP_2) | instskip(NEXT) | instid1(VALU_DEP_1)
	v_mul_f32_e32 v12, v10, v11
	v_fma_f32 v9, v10, v11, -v12
	s_delay_alu instid0(VALU_DEP_1) | instskip(NEXT) | instid1(VALU_DEP_1)
	v_fmac_f32_e32 v9, v7, v11
	v_add_f32_e32 v11, v12, v9
	v_frexp_exp_i32_f64_e32 v1, v[1:2]
	s_delay_alu instid0(VALU_DEP_2) | instskip(NEXT) | instid1(VALU_DEP_1)
	v_sub_f32_e32 v12, v11, v12
	v_sub_f32_e32 v2, v9, v12
	v_fma_f32 v12, v10, v6, -v14
	s_delay_alu instid0(VALU_DEP_2) | instskip(NEXT) | instid1(VALU_DEP_2)
	v_add_f32_e32 v2, 0x31739010, v2
	v_dual_add_f32 v13, 0x3f2aaaaa, v11 :: v_dual_fmac_f32 v12, v10, v8
	v_ldexp_f32 v8, v8, 1
	s_delay_alu instid0(VALU_DEP_2) | instskip(NEXT) | instid1(VALU_DEP_1)
	v_dual_add_f32 v9, 0xbf2aaaaa, v13 :: v_dual_fmac_f32 v12, v7, v6
	v_sub_f32_e32 v9, v11, v9
	s_delay_alu instid0(VALU_DEP_1) | instskip(NEXT) | instid1(VALU_DEP_3)
	v_add_f32_e32 v2, v2, v9
	v_add_f32_e32 v9, v14, v12
	s_delay_alu instid0(VALU_DEP_2) | instskip(NEXT) | instid1(VALU_DEP_1)
	v_add_f32_e32 v7, v13, v2
	v_sub_f32_e32 v10, v13, v7
	s_delay_alu instid0(VALU_DEP_3) | instskip(SKIP_2) | instid1(VALU_DEP_4)
	v_mul_f32_e32 v11, v9, v7
	v_sub_f32_e32 v13, v9, v14
	v_subrev_co_ci_u32_e64 v1, s2, 0, v1, s2
	v_add_f32_e32 v2, v2, v10
	s_delay_alu instid0(VALU_DEP_4) | instskip(NEXT) | instid1(VALU_DEP_4)
	v_fma_f32 v10, v9, v7, -v11
	v_sub_f32_e32 v12, v12, v13
	s_delay_alu instid0(VALU_DEP_4) | instskip(NEXT) | instid1(VALU_DEP_3)
	v_cvt_f32_i32_e32 v1, v1
	v_fmac_f32_e32 v10, v9, v2
	v_ldexp_f32 v2, v6, 1
	s_delay_alu instid0(VALU_DEP_2) | instskip(NEXT) | instid1(VALU_DEP_1)
	v_fmac_f32_e32 v10, v12, v7
	v_add_f32_e32 v6, v11, v10
	s_delay_alu instid0(VALU_DEP_1) | instskip(NEXT) | instid1(VALU_DEP_1)
	v_add_f32_e32 v7, v2, v6
	v_dual_sub_f32 v2, v7, v2 :: v_dual_sub_f32 v9, v6, v11
	s_delay_alu instid0(VALU_DEP_1) | instskip(NEXT) | instid1(VALU_DEP_2)
	v_sub_f32_e32 v2, v6, v2
	v_sub_f32_e32 v9, v10, v9
	s_delay_alu instid0(VALU_DEP_1) | instskip(NEXT) | instid1(VALU_DEP_1)
	v_add_f32_e32 v6, v8, v9
	v_dual_mul_f32 v11, 0x3f317218, v1 :: v_dual_add_f32 v2, v6, v2
	s_delay_alu instid0(VALU_DEP_1) | instskip(NEXT) | instid1(VALU_DEP_2)
	v_fma_f32 v10, 0x3f317218, v1, -v11
	v_add_f32_e32 v8, v7, v2
	s_delay_alu instid0(VALU_DEP_1) | instskip(NEXT) | instid1(VALU_DEP_1)
	v_sub_f32_e32 v7, v8, v7
	v_dual_fmamk_f32 v1, v1, 0xb102e308, v10 :: v_dual_sub_f32 v2, v2, v7
	s_delay_alu instid0(VALU_DEP_1) | instskip(NEXT) | instid1(VALU_DEP_1)
	v_add_f32_e32 v6, v11, v1
	v_add_f32_e32 v9, v6, v8
	s_delay_alu instid0(VALU_DEP_1) | instskip(NEXT) | instid1(VALU_DEP_1)
	v_dual_sub_f32 v11, v6, v11 :: v_dual_sub_f32 v10, v9, v6
	v_sub_f32_e32 v12, v9, v10
	s_delay_alu instid0(VALU_DEP_2) | instskip(NEXT) | instid1(VALU_DEP_2)
	v_sub_f32_e32 v1, v1, v11
	v_dual_sub_f32 v7, v8, v10 :: v_dual_sub_f32 v6, v6, v12
	s_delay_alu instid0(VALU_DEP_2) | instskip(NEXT) | instid1(VALU_DEP_2)
	v_add_f32_e32 v8, v1, v2
	v_add_f32_e32 v6, v7, v6
	s_delay_alu instid0(VALU_DEP_1) | instskip(NEXT) | instid1(VALU_DEP_1)
	v_add_f32_e32 v6, v8, v6
	v_dual_sub_f32 v7, v8, v1 :: v_dual_add_f32 v10, v9, v6
	s_delay_alu instid0(VALU_DEP_1) | instskip(SKIP_1) | instid1(VALU_DEP_3)
	v_sub_f32_e32 v8, v8, v7
	v_sub_f32_e32 v2, v2, v7
	;; [unrolled: 1-line block ×3, first 2 shown]
	s_delay_alu instid0(VALU_DEP_3) | instskip(NEXT) | instid1(VALU_DEP_1)
	v_sub_f32_e32 v1, v1, v8
	v_add_f32_e32 v1, v2, v1
	s_delay_alu instid0(VALU_DEP_3) | instskip(NEXT) | instid1(VALU_DEP_1)
	v_sub_f32_e32 v2, v6, v7
	v_add_f32_e32 v1, v1, v2
	s_delay_alu instid0(VALU_DEP_1) | instskip(NEXT) | instid1(VALU_DEP_1)
	v_add_f32_e32 v2, v10, v1
	v_mul_f32_e32 v7, v4, v2
	v_sub_f32_e32 v6, v2, v10
	s_delay_alu instid0(VALU_DEP_2) | instskip(NEXT) | instid1(VALU_DEP_2)
	v_fma_f32 v2, v4, v2, -v7
	v_sub_f32_e32 v1, v1, v6
	v_cmp_class_f32_e64 s2, v7, 0x204
	s_delay_alu instid0(VALU_DEP_2) | instskip(NEXT) | instid1(VALU_DEP_1)
	v_fmac_f32_e32 v2, v4, v1
	v_add_f32_e32 v1, v7, v2
	s_delay_alu instid0(VALU_DEP_1) | instskip(NEXT) | instid1(VALU_DEP_1)
	v_cndmask_b32_e64 v6, v1, v7, s2
	v_cmp_eq_f32_e64 s2, 0x42b17218, v6
	s_delay_alu instid0(VALU_DEP_1) | instskip(SKIP_1) | instid1(VALU_DEP_2)
	v_cndmask_b32_e64 v8, 0, 0x37000000, s2
	v_cmp_neq_f32_e64 s2, 0x7f800000, |v6|
	v_sub_f32_e32 v9, v6, v8
	v_trunc_f32_e32 v6, v4
	s_delay_alu instid0(VALU_DEP_2) | instskip(NEXT) | instid1(VALU_DEP_1)
	v_mul_f32_e32 v10, 0x3fb8aa3b, v9
	v_fma_f32 v11, 0x3fb8aa3b, v9, -v10
	v_rndne_f32_e32 v12, v10
	s_delay_alu instid0(VALU_DEP_1) | instskip(NEXT) | instid1(VALU_DEP_1)
	v_dual_fmamk_f32 v11, v9, 0x32a5705f, v11 :: v_dual_sub_f32 v10, v10, v12
	v_add_f32_e32 v10, v10, v11
	v_sub_f32_e32 v1, v1, v7
	v_cvt_i32_f32_e32 v7, v12
	s_delay_alu instid0(VALU_DEP_3) | instskip(NEXT) | instid1(VALU_DEP_2)
	v_exp_f32_e32 v10, v10
	v_sub_f32_e32 v1, v2, v1
	s_delay_alu instid0(VALU_DEP_1)
	v_cndmask_b32_e64 v1, 0, v1, s2
	v_cmp_ngt_f32_e64 s2, 0xc2ce8ed0, v9
	s_waitcnt_depctr 0xfff
	v_ldexp_f32 v2, v10, v7
	v_mul_f32_e32 v7, 0.5, v4
	v_add_f32_e32 v1, v8, v1
	s_delay_alu instid0(VALU_DEP_3) | instskip(NEXT) | instid1(VALU_DEP_3)
	v_cndmask_b32_e64 v2, 0, v2, s2
	v_trunc_f32_e32 v10, v7
	v_cmp_nlt_f32_e64 s2, 0x42b17218, v9
	s_delay_alu instid0(VALU_DEP_2) | instskip(NEXT) | instid1(VALU_DEP_2)
	v_cmp_neq_f32_e64 s3, v10, v7
	v_cndmask_b32_e64 v2, 0x7f800000, v2, s2
	v_cmp_eq_f32_e64 s2, v6, v4
	s_delay_alu instid0(VALU_DEP_2) | instskip(NEXT) | instid1(VALU_DEP_2)
	v_fma_f32 v1, v2, v1, v2
	s_and_b32 vcc_lo, s2, s3
	v_cmp_class_f32_e64 s3, v2, 0x204
	v_cndmask_b32_e32 v6, 1.0, v3, vcc_lo
	s_delay_alu instid0(VALU_DEP_2) | instskip(SKIP_1) | instid1(VALU_DEP_2)
	v_cndmask_b32_e64 v1, v1, v2, s3
	v_cmp_gt_f32_e64 s3, 0, v4
	v_bfi_b32 v1, 0x7fffffff, v1, v6
	s_delay_alu instid0(VALU_DEP_2)
	s_xor_b32 s3, s3, s4
	v_cndmask_b32_e32 v6, 0, v3, vcc_lo
	v_cndmask_b32_e64 v2, 0x7f800000, 0, s3
	v_cmp_eq_f32_e32 vcc_lo, 0x7f800000, v5
	v_cndmask_b32_e64 v4, 0x7fc00000, v1, s2
	v_cmp_gt_f32_e64 s2, 0, v3
	s_delay_alu instid0(VALU_DEP_4) | instskip(SKIP_1) | instid1(VALU_DEP_2)
	v_bfi_b32 v2, 0x7fffffff, v2, v6
	s_or_b32 vcc_lo, vcc_lo, s4
	v_cndmask_b32_e64 v1, v1, v4, s2
	s_delay_alu instid0(VALU_DEP_1) | instskip(SKIP_1) | instid1(VALU_DEP_2)
	v_cndmask_b32_e32 v1, v1, v2, vcc_lo
	v_cmp_o_f32_e32 vcc_lo, v3, v3
	v_cndmask_b32_e32 v44, 0x7fc00000, v1, vcc_lo
.LBB18_2:
	s_load_b512 s[16:31], s[0:1], 0x0
	v_bfe_u32 v41, v0, 10, 10
	v_and_b32_e32 v42, 0x3ff, v0
	v_mbcnt_lo_u32_b32 v43, -1, 0
	s_mul_hi_u32 s40, s33, s7
	s_mul_hi_u32 s10, s44, s5
	v_cmp_eq_u32_e64 s2, 0, v41
	s_delay_alu instid0(VALU_DEP_1)
	s_and_saveexec_b32 s7, s2
	s_cbranch_execz .LBB18_7
; %bb.3:
	s_load_b128 s[48:51], s[0:1], 0x70
	v_lshlrev_b32_e32 v0, 4, v42
	v_xor_b32_e32 v10, 2, v43
	v_xor_b32_e32 v11, 1, v43
	s_waitcnt lgkmcnt(0)
	s_mul_i32 s3, s12, s50
	s_mul_i32 s4, s13, s48
	;; [unrolled: 1-line block ×3, first 2 shown]
	s_add_i32 s3, s3, s4
	s_delay_alu instid0(SALU_CYCLE_1) | instskip(NEXT) | instid1(SALU_CYCLE_1)
	s_add_i32 s3, s3, s5
	s_ashr_i32 s5, s3, 31
	s_add_u32 s4, s16, s3
	s_addc_u32 s5, s17, s5
	global_load_b128 v[6:9], v0, s[4:5]
	v_xor_b32_e32 v0, 4, v43
	s_delay_alu instid0(VALU_DEP_1) | instskip(SKIP_4) | instid1(VALU_DEP_4)
	v_cmp_gt_i32_e32 vcc_lo, 32, v0
	v_cndmask_b32_e32 v0, v43, v0, vcc_lo
	v_cmp_gt_i32_e32 vcc_lo, 32, v10
	v_cndmask_b32_e32 v10, v43, v10, vcc_lo
	v_cmp_gt_i32_e32 vcc_lo, 32, v11
	v_dual_cndmask_b32 v11, v43, v11 :: v_dual_lshlrev_b32 v0, 2, v0
	s_delay_alu instid0(VALU_DEP_1) | instskip(SKIP_4) | instid1(VALU_DEP_3)
	v_lshlrev_b32_e32 v11, 2, v11
	s_waitcnt vmcnt(0)
	v_mul_f32_e32 v1, s8, v6
	v_dual_mul_f32 v3, s8, v7 :: v_dual_mul_f32 v6, s8, v8
	v_mul_f32_e32 v5, s8, v9
	v_max_f32_e64 v2, |v1|, |v1|
	v_fma_f32 v7, s8, v7, v1
	v_lshlrev_b32_e32 v10, 2, v10
	s_delay_alu instid0(VALU_DEP_3) | instskip(NEXT) | instid1(VALU_DEP_3)
	v_max_f32_e64 v2, v2, |v3|
	v_fmac_f32_e32 v7, s8, v8
	s_delay_alu instid0(VALU_DEP_2) | instskip(NEXT) | instid1(VALU_DEP_2)
	v_max3_f32 v2, v2, |v6|, |v5|
	v_fmac_f32_e32 v7, s8, v9
	s_mov_b32 s8, exec_lo
	ds_bpermute_b32 v4, v0, v2
	ds_bpermute_b32 v0, v0, v7
	s_waitcnt lgkmcnt(1)
	v_max_f32_e32 v4, v4, v4
	s_waitcnt lgkmcnt(0)
	v_add_f32_e32 v0, v7, v0
	s_delay_alu instid0(VALU_DEP_2) | instskip(SKIP_4) | instid1(VALU_DEP_1)
	v_max_f32_e32 v2, v2, v4
	ds_bpermute_b32 v7, v10, v0
	ds_bpermute_b32 v4, v10, v2
	s_waitcnt lgkmcnt(0)
	v_max_f32_e32 v4, v4, v4
	v_max_f32_e32 v2, v2, v4
	ds_bpermute_b32 v4, v11, v2
	s_waitcnt lgkmcnt(0)
	v_max_f32_e32 v4, v4, v4
	s_delay_alu instid0(VALU_DEP_1) | instskip(NEXT) | instid1(VALU_DEP_1)
	v_max_f32_e32 v8, v2, v4
	v_div_scale_f32 v4, null, 0x42fe0000, 0x42fe0000, v8
	v_div_scale_f32 v10, vcc_lo, v8, 0x42fe0000, v8
	s_delay_alu instid0(VALU_DEP_2) | instskip(SKIP_2) | instid1(VALU_DEP_1)
	v_rcp_f32_e32 v9, v4
	s_waitcnt_depctr 0xfff
	v_fma_f32 v2, -v4, v9, 1.0
	v_fmac_f32_e32 v9, v2, v9
	s_delay_alu instid0(VALU_DEP_1) | instskip(NEXT) | instid1(VALU_DEP_1)
	v_mul_f32_e32 v12, v10, v9
	v_fma_f32 v2, -v4, v12, v10
	s_delay_alu instid0(VALU_DEP_1) | instskip(SKIP_1) | instid1(VALU_DEP_2)
	v_fmac_f32_e32 v12, v2, v9
	v_dual_add_f32 v2, v0, v7 :: v_dual_mov_b32 v7, 0
	v_fma_f32 v0, -v4, v12, v10
	ds_bpermute_b32 v4, v11, v2
	v_div_fmas_f32 v0, v0, v9, v12
	s_delay_alu instid0(VALU_DEP_1) | instskip(NEXT) | instid1(VALU_DEP_1)
	v_div_fixup_f32 v0, v0, 0x42fe0000, v8
	v_cmpx_neq_f32_e32 0, v0
	s_cbranch_execz .LBB18_5
; %bb.4:
	v_div_scale_f32 v7, null, v0, v0, v1
	v_div_scale_f32 v8, null, v0, v0, v3
	;; [unrolled: 1-line block ×3, first 2 shown]
	s_delay_alu instid0(VALU_DEP_3) | instskip(SKIP_1) | instid1(VALU_DEP_3)
	v_rcp_f32_e32 v9, v7
	v_div_scale_f32 v11, null, v0, v0, v5
	v_rcp_f32_e32 v12, v8
	s_delay_alu instid0(VALU_DEP_2) | instskip(SKIP_1) | instid1(VALU_DEP_2)
	v_rcp_f32_e32 v13, v10
	v_div_scale_f32 v17, vcc_lo, v1, v0, v1
	v_rcp_f32_e32 v14, v11
	v_fma_f32 v15, -v7, v9, 1.0
	s_delay_alu instid0(TRANS32_DEP_3)
	v_fma_f32 v16, -v8, v12, 1.0
	s_waitcnt_depctr 0xfff
	v_fma_f32 v18, -v10, v13, 1.0
	v_fmac_f32_e32 v9, v15, v9
	v_div_scale_f32 v15, s3, v3, v0, v3
	v_fmac_f32_e32 v12, v16, v12
	v_fma_f32 v19, -v11, v14, 1.0
	v_fmac_f32_e32 v13, v18, v13
	v_div_scale_f32 v16, s4, v6, v0, v6
	s_delay_alu instid0(VALU_DEP_4) | instskip(NEXT) | instid1(VALU_DEP_4)
	v_mul_f32_e32 v20, v15, v12
	v_dual_fmac_f32 v14, v19, v14 :: v_dual_mul_f32 v19, v17, v9
	v_div_scale_f32 v18, s5, v5, v0, v5
	s_delay_alu instid0(VALU_DEP_4) | instskip(NEXT) | instid1(VALU_DEP_4)
	v_mul_f32_e32 v21, v16, v13
	v_fma_f32 v24, -v8, v20, v15
	s_delay_alu instid0(VALU_DEP_4) | instskip(NEXT) | instid1(VALU_DEP_4)
	v_fma_f32 v23, -v7, v19, v17
	v_mul_f32_e32 v22, v18, v14
	s_delay_alu instid0(VALU_DEP_4) | instskip(NEXT) | instid1(VALU_DEP_3)
	v_fma_f32 v25, -v10, v21, v16
	v_dual_fmac_f32 v20, v24, v12 :: v_dual_fmac_f32 v19, v23, v9
	s_delay_alu instid0(VALU_DEP_3) | instskip(NEXT) | instid1(VALU_DEP_3)
	v_fma_f32 v26, -v11, v22, v18
	v_fmac_f32_e32 v21, v25, v13
	s_delay_alu instid0(VALU_DEP_3) | instskip(NEXT) | instid1(VALU_DEP_4)
	v_fma_f32 v8, -v8, v20, v15
	v_fma_f32 v7, -v7, v19, v17
	s_delay_alu instid0(VALU_DEP_4) | instskip(NEXT) | instid1(VALU_DEP_4)
	v_fmac_f32_e32 v22, v26, v14
	v_fma_f32 v10, -v10, v21, v16
	s_delay_alu instid0(VALU_DEP_3) | instskip(SKIP_3) | instid1(VALU_DEP_2)
	v_div_fmas_f32 v7, v7, v9, v19
	s_mov_b32 vcc_lo, s3
	v_div_fmas_f32 v8, v8, v12, v20
	s_mov_b32 vcc_lo, s4
	v_div_fixup_f32 v1, v7, v0, v1
	v_div_fmas_f32 v9, v10, v13, v21
	v_fma_f32 v10, -v11, v22, v18
	s_mov_b32 vcc_lo, s5
	v_div_fixup_f32 v3, v8, v0, v3
	v_trunc_f32_e32 v12, v1
	v_div_fixup_f32 v6, v9, v0, v6
	v_div_fmas_f32 v9, v10, v14, v22
	s_delay_alu instid0(VALU_DEP_2) | instskip(NEXT) | instid1(VALU_DEP_2)
	v_trunc_f32_e32 v8, v6
	v_div_fixup_f32 v5, v9, v0, v5
	v_trunc_f32_e32 v9, v3
	s_delay_alu instid0(VALU_DEP_3) | instskip(NEXT) | instid1(VALU_DEP_3)
	v_sub_f32_e32 v10, v6, v8
	v_trunc_f32_e32 v7, v5
	s_delay_alu instid0(VALU_DEP_3) | instskip(NEXT) | instid1(VALU_DEP_3)
	v_sub_f32_e32 v11, v3, v9
	v_cmp_ge_f32_e64 s3, |v10|, 0.5
	s_delay_alu instid0(VALU_DEP_1) | instskip(NEXT) | instid1(VALU_DEP_3)
	v_cndmask_b32_e64 v10, 0, 1.0, s3
	v_cmp_ge_f32_e64 s3, |v11|, 0.5
	s_delay_alu instid0(VALU_DEP_2) | instskip(SKIP_1) | instid1(VALU_DEP_3)
	v_bfi_b32 v6, 0x7fffffff, v10, v6
	v_sub_f32_e32 v13, v5, v7
	v_cndmask_b32_e64 v11, 0, 1.0, s3
	s_delay_alu instid0(VALU_DEP_3) | instskip(NEXT) | instid1(VALU_DEP_3)
	v_add_f32_e32 v6, v8, v6
	v_cmp_ge_f32_e64 s3, |v13|, 0.5
	s_delay_alu instid0(VALU_DEP_3) | instskip(NEXT) | instid1(VALU_DEP_3)
	v_bfi_b32 v3, 0x7fffffff, v11, v3
	v_cvt_i32_f32_e32 v6, v6
	s_delay_alu instid0(VALU_DEP_3) | instskip(NEXT) | instid1(VALU_DEP_2)
	v_cndmask_b32_e64 v13, 0, 1.0, s3
	v_dual_add_f32 v3, v9, v3 :: v_dual_and_b32 v6, 0xff, v6
	s_delay_alu instid0(VALU_DEP_2) | instskip(SKIP_1) | instid1(VALU_DEP_3)
	v_bfi_b32 v5, 0x7fffffff, v13, v5
	v_sub_f32_e32 v10, v1, v12
	v_cvt_i32_f32_e32 v3, v3
	s_delay_alu instid0(VALU_DEP_3) | instskip(NEXT) | instid1(VALU_DEP_3)
	v_dual_add_f32 v5, v7, v5 :: v_dual_lshlrev_b32 v6, 16, v6
	v_cmp_ge_f32_e64 s3, |v10|, 0.5
	s_delay_alu instid0(VALU_DEP_3) | instskip(NEXT) | instid1(VALU_DEP_3)
	v_and_b32_e32 v3, 0xff, v3
	v_cvt_i32_f32_e32 v5, v5
	s_delay_alu instid0(VALU_DEP_3) | instskip(NEXT) | instid1(VALU_DEP_3)
	v_cndmask_b32_e64 v8, 0, 1.0, s3
	v_lshlrev_b32_e32 v3, 8, v3
	s_delay_alu instid0(VALU_DEP_3) | instskip(NEXT) | instid1(VALU_DEP_3)
	v_lshl_or_b32 v5, v5, 24, v6
	v_bfi_b32 v1, 0x7fffffff, v8, v1
	s_delay_alu instid0(VALU_DEP_1) | instskip(NEXT) | instid1(VALU_DEP_1)
	v_add_f32_e32 v1, v12, v1
	v_cvt_i32_f32_e32 v1, v1
	s_delay_alu instid0(VALU_DEP_1) | instskip(NEXT) | instid1(VALU_DEP_1)
	v_and_b32_e32 v1, 0xff, v1
	v_or3_b32 v7, v5, v3, v1
.LBB18_5:
	s_or_b32 exec_lo, exec_lo, s8
	v_and_b32_e32 v1, 7, v42
	v_lshlrev_b32_e32 v3, 2, v42
	s_delay_alu instid0(VALU_DEP_2)
	v_cmp_eq_u32_e32 vcc_lo, 0, v1
	ds_store_b32 v3, v7
	s_and_b32 exec_lo, exec_lo, vcc_lo
	s_cbranch_execz .LBB18_7
; %bb.6:
	s_waitcnt lgkmcnt(1)
	v_add_f32_e32 v1, v2, v4
	ds_store_b64 v42, v[0:1] offset:128
.LBB18_7:
	s_or_b32 exec_lo, exec_lo, s7
	v_and_b32_e32 v9, 1, v42
	s_waitcnt lgkmcnt(0)
	s_barrier
	buffer_gl0_inv
	s_ashr_i32 s37, s36, 31
	v_dual_mov_b32 v199, 0 :: v_dual_lshlrev_b32 v48, 2, v9
	s_ashr_i32 s3, s6, 31
	s_ashr_i32 s45, s12, 31
	s_cmp_eq_u64 s[26:27], 0
	ds_load_2addr_b32 v[23:24], v48 offset1:2
	ds_load_2addr_b32 v[25:26], v48 offset0:4 offset1:6
	ds_load_2addr_b32 v[27:28], v48 offset0:8 offset1:10
	;; [unrolled: 1-line block ×3, first 2 shown]
	ds_load_b128 v[0:3], v199 offset:128
	ds_load_b128 v[4:7], v199 offset:144
	ds_load_2addr_b32 v[31:32], v48 offset0:16 offset1:18
	ds_load_2addr_b32 v[33:34], v48 offset0:20 offset1:22
	;; [unrolled: 1-line block ×4, first 2 shown]
	s_waitcnt lgkmcnt(0)
	s_barrier
	buffer_gl0_inv
	s_cbranch_scc1 .LBB18_9
; %bb.8:
	s_load_b32 s4, s[0:1], 0xd0
	s_mov_b32 s5, 0
	s_waitcnt lgkmcnt(0)
	s_mul_i32 s4, s4, s12
	s_delay_alu instid0(SALU_CYCLE_1) | instskip(NEXT) | instid1(SALU_CYCLE_1)
	s_add_i32 s4, s4, s13
	s_lshl_b64 s[4:5], s[4:5], 2
	s_delay_alu instid0(SALU_CYCLE_1)
	s_add_u32 s4, s26, s4
	s_addc_u32 s5, s27, s5
	s_load_b32 s38, s[4:5], 0x0
.LBB18_9:
	v_dual_mov_b32 v197, 0 :: v_dual_lshlrev_b32 v8, 5, v41
	v_dual_mov_b32 v198, 0 :: v_dual_lshlrev_b32 v47, 2, v42
	s_lshl_b32 s8, s14, 7
	s_delay_alu instid0(VALU_DEP_2) | instskip(SKIP_3) | instid1(VALU_DEP_1)
	v_dual_mov_b32 v200, 0xfeffffff :: v_dual_add_nc_u32 v45, v8, v42
	s_waitcnt lgkmcnt(0)
	s_cmp_ge_i32 s8, s38
	s_mov_b32 s9, 0
	v_lshlrev_b32_e32 v46, 1, v45
	s_cbranch_scc1 .LBB18_25
; %bb.10:
	s_clause 0x2
	s_load_b128 s[4:7], s[0:1], 0x98
	s_load_b64 s[16:17], s[0:1], 0x8c
	s_load_b64 s[26:27], s[0:1], 0xa8
	s_mul_i32 s39, s40, s42
	s_xor_b32 s46, s37, s3
	s_sub_i32 s50, s33, s39
	s_add_i32 s47, s40, 1
	s_sub_i32 s51, s50, s42
	v_and_b32_e32 v10, 0x7e, v42
	v_bfe_u32 v12, v42, 3, 27
	v_cmp_eq_u32_e64 s3, 0, v9
	s_mul_i32 s48, s10, s15
	s_mul_i32 s49, s13, s43
	v_add_nc_u32_e32 v9, v8, v10
	v_mul_hi_u32_u24_e32 v11, 20, v12
	v_mul_u32_u24_e32 v10, 20, v12
	s_clause 0x1
	s_load_b64 s[10:11], s[0:1], 0xc8
	s_load_b32 s43, s[0:1], 0xd4
	v_and_b32_e32 v13, 12, v47
	v_lshlrev_b32_e32 v18, 1, v9
	v_add_nc_u32_e32 v69, 30, v8
	s_waitcnt lgkmcnt(0)
	s_mul_i32 s5, s12, s5
	s_mul_hi_u32 s39, s12, s4
	s_mul_i32 s52, s45, s4
	s_add_i32 s39, s39, s5
	s_mul_i32 s33, s12, s4
	s_add_i32 s39, s39, s52
	s_cmp_ge_u32 s50, s42
	s_mul_i32 s5, s12, s27
	s_cselect_b32 s4, s47, s40
	s_cselect_b32 s27, s51, s50
	s_add_i32 s40, s4, 1
	s_cmp_ge_u32 s27, s42
	v_mad_u64_u32 v[15:16], null, s12, s26, v[10:11]
	s_cselect_b32 s4, s40, s4
	s_mul_i32 s50, s45, s26
	s_xor_b32 s4, s4, s46
	s_sub_i32 s44, s44, s48
	s_sub_i32 s40, s4, s46
	;; [unrolled: 1-line block ×3, first 2 shown]
	s_mul_i32 s26, s40, s17
	s_mul_i32 s40, s40, s7
	s_ashr_i32 s27, s26, 31
	s_ashr_i32 s42, s40, 31
	s_cmp_ge_u32 s44, s15
	v_mul_lo_u32 v14, v8, s6
	s_cselect_b32 s4, s4, s44
	v_add3_u32 v16, s5, s50, v16
	s_sub_i32 s7, s4, s15
	s_cmp_ge_u32 s4, s15
	v_mul_lo_u32 v73, s6, v69
	s_cselect_b32 s4, s7, s4
	s_ashr_i32 s15, s49, 31
	s_xor_b32 s4, s4, s45
	v_ashrrev_i32_e32 v51, 31, v14
	s_sub_i32 s4, s4, s45
	v_add_nc_u32_e32 v19, s6, v14
	s_ashr_i32 s7, s4, 31
	s_mul_i32 s11, s4, s11
	s_mul_hi_u32 s17, s4, s10
	s_mul_i32 s7, s7, s10
	s_add_i32 s11, s17, s11
	s_mul_i32 s17, s4, s10
	s_add_i32 s45, s11, s7
	s_cmp_lg_u64 s[22:23], 0
	v_ashrrev_i32_e32 v66, 31, v19
	s_cselect_b32 s7, -1, 0
	s_lshl_b32 s4, s43, 7
	s_add_u32 s10, s18, s26
	s_addc_u32 s11, s19, s27
	s_add_u32 s43, s10, s33
	s_addc_u32 s44, s11, s39
	s_lshl_b64 s[46:47], s[8:9], 1
	v_add_nc_u32_e32 v65, s6, v19
	s_add_u32 s17, s17, s46
	s_addc_u32 s45, s45, s47
	s_add_u32 s22, s22, s49
	s_addc_u32 s15, s23, s15
	;; [unrolled: 2-line block ×3, first 2 shown]
	v_add_co_u32 v10, s17, s17, v18
	s_delay_alu instid0(VALU_DEP_1) | instskip(SKIP_1) | instid1(VALU_DEP_3)
	v_add_co_ci_u32_e64 v11, null, s15, 0, s17
	v_ashrrev_i32_e32 v70, 31, v65
	v_add_co_u32 v39, vcc_lo, v10, 2
	s_delay_alu instid0(VALU_DEP_3) | instskip(SKIP_4) | instid1(VALU_DEP_4)
	v_add_co_ci_u32_e32 v40, vcc_lo, 0, v11, vcc_lo
	v_add_co_u32 v18, vcc_lo, v15, v13
	v_add_co_ci_u32_e32 v55, vcc_lo, 0, v16, vcc_lo
	v_add_co_u32 v10, vcc_lo, v15, v14
	;; [unrolled: 2-line block ×3, first 2 shown]
	s_delay_alu instid0(VALU_DEP_4) | instskip(SKIP_4) | instid1(VALU_DEP_4)
	v_add_co_ci_u32_e32 v14, vcc_lo, v55, v51, vcc_lo
	v_add_co_u32 v51, vcc_lo, v15, s40
	v_add_co_ci_u32_e32 v52, vcc_lo, s42, v16, vcc_lo
	v_add_co_u32 v54, vcc_lo, v18, s40
	;; [unrolled: 2-line block ×3, first 2 shown]
	s_delay_alu instid0(VALU_DEP_4) | instskip(NEXT) | instid1(VALU_DEP_4)
	v_add_co_ci_u32_e32 v16, vcc_lo, v52, v66, vcc_lo
	v_add_co_u32 v18, vcc_lo, v54, v19
	v_dual_add_f32 v3, v3, v3 :: v_dual_add_nc_u32 v56, s6, v65
	v_add_co_ci_u32_e32 v19, vcc_lo, v55, v66, vcc_lo
	v_add_co_u32 v67, vcc_lo, v51, v65
	v_add_co_ci_u32_e32 v68, vcc_lo, v52, v70, vcc_lo
	v_add_co_u32 v69, vcc_lo, v54, v65
	v_ashrrev_i32_e32 v108, 31, v56
	v_add_nc_u32_e32 v57, s6, v56
	v_add_co_ci_u32_e32 v70, vcc_lo, v55, v70, vcc_lo
	v_add_co_u32 v110, vcc_lo, v51, v56
	s_delay_alu instid0(VALU_DEP_4) | instskip(NEXT) | instid1(VALU_DEP_4)
	v_add_co_ci_u32_e32 v111, vcc_lo, v52, v108, vcc_lo
	v_ashrrev_i32_e32 v62, 31, v57
	v_add_co_u32 v112, vcc_lo, v54, v56
	v_add_nc_u32_e32 v58, s6, v57
	v_add_co_ci_u32_e32 v108, vcc_lo, v55, v108, vcc_lo
	v_add_co_u32 v113, vcc_lo, v51, v57
	v_add_co_ci_u32_e32 v114, vcc_lo, v52, v62, vcc_lo
	s_delay_alu instid0(VALU_DEP_4)
	v_ashrrev_i32_e32 v61, 31, v58
	v_add_co_u32 v115, vcc_lo, v54, v57
	v_add_nc_u32_e32 v59, s6, v58
	v_add_co_ci_u32_e32 v116, vcc_lo, v55, v62, vcc_lo
	v_add_co_u32 v117, vcc_lo, v51, v58
	v_dual_add_f32 v5, v5, v5 :: v_dual_add_nc_u32 v66, 31, v8
	v_add_co_ci_u32_e32 v118, vcc_lo, v52, v61, vcc_lo
	v_ashrrev_i32_e32 v63, 31, v59
	v_add_co_u32 v119, vcc_lo, v54, v58
	v_add_nc_u32_e32 v60, s6, v59
	v_add_co_ci_u32_e32 v120, vcc_lo, v55, v61, vcc_lo
	v_add_co_u32 v121, vcc_lo, v51, v59
	v_mul_lo_u32 v66, s6, v66
	v_add_co_ci_u32_e32 v122, vcc_lo, v52, v63, vcc_lo
	v_ashrrev_i32_e32 v64, 31, v60
	v_add_co_u32 v123, vcc_lo, v54, v59
	v_add_co_ci_u32_e32 v124, vcc_lo, v55, v63, vcc_lo
	v_add_co_u32 v125, vcc_lo, v51, v60
	v_add_nc_u32_e32 v71, 29, v8
	v_add_co_ci_u32_e32 v126, vcc_lo, v52, v64, vcc_lo
	v_ashrrev_i32_e32 v65, 31, v66
	v_add_co_u32 v127, vcc_lo, v54, v60
	v_add_co_ci_u32_e32 v128, vcc_lo, v55, v64, vcc_lo
	v_add_co_u32 v129, vcc_lo, v54, v66
	v_mul_lo_u32 v71, s6, v71
	v_add_nc_u32_e32 v72, 28, v8
	v_add_co_ci_u32_e32 v130, vcc_lo, v55, v65, vcc_lo
	v_ashrrev_i32_e32 v76, 31, v73
	v_add_co_u32 v131, vcc_lo, v51, v66
	v_add_co_ci_u32_e32 v132, vcc_lo, v52, v65, vcc_lo
	v_add_co_u32 v133, vcc_lo, v54, v73
	v_mul_lo_u32 v72, s6, v72
	;; [unrolled: 7-line block ×4, first 2 shown]
	v_dual_add_f32 v1, v1, v1 :: v_dual_add_nc_u32 v12, s6, v60
	v_add_nc_u32_e32 v78, 25, v8
	v_add_co_ci_u32_e32 v142, vcc_lo, v55, v79, vcc_lo
	v_ashrrev_i32_e32 v82, 31, v74
	v_add_co_u32 v143, vcc_lo, v51, v72
	v_add_co_ci_u32_e32 v144, vcc_lo, v52, v79, vcc_lo
	v_add_co_u32 v145, vcc_lo, v54, v74
	v_add_nc_u32_e32 v17, s6, v12
	v_mul_lo_u32 v78, s6, v78
	v_add_nc_u32_e32 v80, 24, v8
	v_add_co_ci_u32_e32 v146, vcc_lo, v55, v82, vcc_lo
	v_ashrrev_i32_e32 v83, 31, v75
	v_add_co_u32 v147, vcc_lo, v51, v74
	v_add_co_ci_u32_e32 v148, vcc_lo, v52, v82, vcc_lo
	v_add_nc_u32_e32 v20, s6, v17
	v_add_co_u32 v149, vcc_lo, v54, v75
	v_mul_lo_u32 v80, s6, v80
	v_add_nc_u32_e32 v81, 23, v8
	v_add_co_ci_u32_e32 v150, vcc_lo, v55, v83, vcc_lo
	v_ashrrev_i32_e32 v90, 31, v78
	v_add_co_u32 v151, vcc_lo, v51, v75
	v_add_nc_u32_e32 v21, s6, v20
	v_add_co_ci_u32_e32 v152, vcc_lo, v52, v83, vcc_lo
	v_add_co_u32 v153, vcc_lo, v54, v78
	v_mul_lo_u32 v81, s6, v81
	v_add_nc_u32_e32 v84, 22, v8
	v_add_co_ci_u32_e32 v154, vcc_lo, v55, v90, vcc_lo
	v_ashrrev_i32_e32 v91, 31, v80
	v_add_co_u32 v155, vcc_lo, v51, v78
	v_add_nc_u32_e32 v22, s6, v21
	v_add_co_ci_u32_e32 v156, vcc_lo, v52, v90, vcc_lo
	v_add_co_u32 v157, vcc_lo, v54, v80
	v_mul_lo_u32 v84, s6, v84
	v_add_nc_u32_e32 v85, 21, v8
	v_add_co_ci_u32_e32 v158, vcc_lo, v55, v91, vcc_lo
	v_add_nc_u32_e32 v49, s6, v22
	v_ashrrev_i32_e32 v92, 31, v81
	v_add_co_u32 v159, vcc_lo, v51, v80
	v_add_co_ci_u32_e32 v160, vcc_lo, v52, v91, vcc_lo
	v_add_co_u32 v161, vcc_lo, v54, v81
	v_mul_lo_u32 v85, s6, v85
	v_add_nc_u32_e32 v50, s6, v49
	v_add_nc_u32_e32 v86, 20, v8
	v_add_co_ci_u32_e32 v162, vcc_lo, v55, v92, vcc_lo
	v_ashrrev_i32_e32 v94, 31, v84
	v_add_co_u32 v163, vcc_lo, v51, v81
	v_add_co_ci_u32_e32 v164, vcc_lo, v52, v92, vcc_lo
	v_add_co_u32 v165, vcc_lo, v54, v84
	v_add_nc_u32_e32 v53, s6, v50
	v_mul_lo_u32 v86, s6, v86
	v_add_nc_u32_e32 v88, 19, v8
	v_add_co_ci_u32_e32 v166, vcc_lo, v55, v94, vcc_lo
	v_ashrrev_i32_e32 v95, 31, v85
	v_add_co_u32 v167, vcc_lo, v51, v84
	v_add_co_ci_u32_e32 v168, vcc_lo, v52, v94, vcc_lo
	v_add_nc_u32_e32 v87, s6, v53
	v_add_co_u32 v169, vcc_lo, v54, v85
	v_mul_lo_u32 v88, s6, v88
	v_add_co_ci_u32_e32 v170, vcc_lo, v55, v95, vcc_lo
	v_ashrrev_i32_e32 v96, 31, v86
	v_add_co_u32 v171, vcc_lo, v51, v85
	v_add_nc_u32_e32 v89, s6, v87
	v_add_co_ci_u32_e32 v172, vcc_lo, v52, v95, vcc_lo
	v_add_co_u32 v173, vcc_lo, v54, v86
	v_add_co_ci_u32_e32 v174, vcc_lo, v55, v96, vcc_lo
	v_ashrrev_i32_e32 v97, 31, v88
	v_add_co_u32 v175, vcc_lo, v51, v86
	v_add_nc_u32_e32 v93, s6, v89
	v_add_co_ci_u32_e32 v176, vcc_lo, v52, v96, vcc_lo
	v_add_co_u32 v177, vcc_lo, v54, v88
	v_add_co_ci_u32_e32 v178, vcc_lo, v55, v97, vcc_lo
	s_delay_alu instid0(VALU_DEP_4) | instskip(SKIP_3) | instid1(VALU_DEP_4)
	v_ashrrev_i32_e32 v98, 31, v93
	v_add_co_u32 v179, vcc_lo, v51, v88
	v_add_co_ci_u32_e32 v180, vcc_lo, v52, v97, vcc_lo
	v_add_co_u32 v181, vcc_lo, v54, v93
	v_add_co_ci_u32_e32 v182, vcc_lo, v55, v98, vcc_lo
	v_ashrrev_i32_e32 v99, 31, v89
	v_add_co_u32 v183, vcc_lo, v51, v93
	v_add_co_ci_u32_e32 v184, vcc_lo, v52, v98, vcc_lo
	v_add_co_u32 v185, vcc_lo, v54, v89
	s_delay_alu instid0(VALU_DEP_4) | instskip(SKIP_4) | instid1(VALU_DEP_4)
	v_add_co_ci_u32_e32 v186, vcc_lo, v55, v99, vcc_lo
	v_ashrrev_i32_e32 v100, 31, v87
	v_add_co_u32 v187, vcc_lo, v51, v89
	v_add_co_ci_u32_e32 v188, vcc_lo, v52, v99, vcc_lo
	v_add_co_u32 v189, vcc_lo, v54, v87
	v_add_co_ci_u32_e32 v190, vcc_lo, v55, v100, vcc_lo
	v_ashrrev_i32_e32 v101, 31, v53
	v_add_co_u32 v191, vcc_lo, v51, v87
	v_add_co_ci_u32_e32 v192, vcc_lo, v52, v100, vcc_lo
	v_add_co_u32 v193, vcc_lo, v54, v53
	s_delay_alu instid0(VALU_DEP_4) | instskip(SKIP_4) | instid1(VALU_DEP_4)
	v_add_co_ci_u32_e32 v194, vcc_lo, v55, v101, vcc_lo
	;; [unrolled: 11-line block ×4, first 2 shown]
	v_ashrrev_i32_e32 v106, 31, v20
	v_add_co_u32 v21, vcc_lo, v51, v21
	v_add_co_ci_u32_e32 v210, vcc_lo, v52, v105, vcc_lo
	v_add_co_u32 v211, vcc_lo, v54, v20
	v_add_co_ci_u32_e32 v212, vcc_lo, v55, v106, vcc_lo
	v_ashrrev_i32_e32 v107, 31, v17
	v_add_co_u32 v20, vcc_lo, v51, v20
	v_add_co_ci_u32_e32 v213, vcc_lo, v52, v106, vcc_lo
	v_and_b32_e32 v49, 30, v43
	v_add_co_u32 v214, vcc_lo, v54, v17
	v_add_co_ci_u32_e32 v215, vcc_lo, v55, v107, vcc_lo
	v_ashrrev_i32_e32 v109, 31, v12
	v_add_co_u32 v17, vcc_lo, v51, v17
	v_add_nc_u32_e32 v49, 2, v49
	v_xor_b32_e32 v50, 1, v43
	v_add_co_ci_u32_e32 v216, vcc_lo, v52, v107, vcc_lo
	v_add_co_u32 v217, vcc_lo, v54, v12
	v_add_co_ci_u32_e32 v218, vcc_lo, v55, v109, vcc_lo
	s_delay_alu instid0(VALU_DEP_4)
	v_cmp_lt_i32_e32 vcc_lo, v50, v49
	v_xor_b32_e32 v53, 16, v43
	s_mov_b32 s5, s9
	v_add_co_u32 v73, s9, s33, v48
	v_cndmask_b32_e32 v49, v43, v50, vcc_lo
	v_xor_b32_e32 v50, 2, v43
	v_add_co_u32 v12, vcc_lo, v51, v12
	v_add_co_ci_u32_e32 v219, vcc_lo, v52, v109, vcc_lo
	v_xor_b32_e32 v51, 4, v43
	s_delay_alu instid0(VALU_DEP_4)
	v_cmp_gt_i32_e32 vcc_lo, 32, v50
	v_xor_b32_e32 v52, 8, v43
	v_add_co_ci_u32_e64 v74, null, s39, 0, s9
	v_lshlrev_b32_e32 v54, 1, v8
	v_cndmask_b32_e32 v50, v43, v50, vcc_lo
	v_cmp_gt_i32_e32 vcc_lo, 32, v51
	v_lshlrev_b32_e32 v49, 2, v49
	s_mul_i32 s15, s8, s6
	s_mul_i32 s17, s8, s16
	v_dual_cndmask_b32 v51, v43, v51 :: v_dual_lshlrev_b32 v50, 2, v50
	v_cmp_gt_i32_e32 vcc_lo, 32, v52
	s_mul_i32 s6, s4, s6
	s_delay_alu instid0(VALU_DEP_2) | instskip(SKIP_2) | instid1(VALU_DEP_3)
	v_dual_cndmask_b32 v52, v43, v52 :: v_dual_lshlrev_b32 v51, 2, v51
	v_mul_lo_u32 v9, v9, s16
	v_cmp_gt_i32_e32 vcc_lo, 32, v53
	v_dual_cndmask_b32 v53, v43, v53 :: v_dual_lshlrev_b32 v52, 2, v52
	s_delay_alu instid0(VALU_DEP_3) | instskip(NEXT) | instid1(VALU_DEP_2)
	v_add_nc_u32_e32 v57, s16, v9
	v_lshlrev_b32_e32 v53, 2, v53
	s_delay_alu instid0(VALU_DEP_2) | instskip(SKIP_1) | instid1(VALU_DEP_2)
	v_ashrrev_i32_e32 v58, 31, v57
	v_add_co_u32 v55, vcc_lo, v73, v57
	v_add_co_ci_u32_e32 v56, vcc_lo, v74, v58, vcc_lo
	s_delay_alu instid0(VALU_DEP_2) | instskip(NEXT) | instid1(VALU_DEP_2)
	v_add_co_u32 v55, vcc_lo, s10, v55
	v_add_co_ci_u32_e32 v56, vcc_lo, s11, v56, vcc_lo
	v_add_co_u32 v57, vcc_lo, s43, v57
	s_lshl_b64 s[10:11], s[4:5], 1
	s_add_u32 s5, s20, s40
	v_add_co_ci_u32_e32 v58, vcc_lo, s44, v58, vcc_lo
	s_addc_u32 s9, s21, s42
	v_add_co_u32 v8, vcc_lo, s5, v13
	v_add_co_ci_u32_e32 v13, vcc_lo, s9, v14, vcc_lo
	v_add_co_u32 v59, vcc_lo, s5, v10
	v_add_co_ci_u32_e32 v60, vcc_lo, s9, v11, vcc_lo
	s_delay_alu instid0(VALU_DEP_4) | instskip(NEXT) | instid1(VALU_DEP_4)
	v_add_co_u32 v61, vcc_lo, v8, 4
	v_add_co_ci_u32_e32 v62, vcc_lo, 0, v13, vcc_lo
	v_add_co_u32 v8, vcc_lo, v18, s20
	v_add_co_ci_u32_e32 v10, vcc_lo, s21, v19, vcc_lo
	v_add_co_u32 v63, vcc_lo, s20, v15
	v_add_co_ci_u32_e32 v64, vcc_lo, s21, v16, vcc_lo
	s_delay_alu instid0(VALU_DEP_4) | instskip(NEXT) | instid1(VALU_DEP_4)
	v_add_co_u32 v65, vcc_lo, v8, 4
	v_add_co_ci_u32_e32 v66, vcc_lo, 0, v10, vcc_lo
	;; [unrolled: 7-line block ×3, first 2 shown]
	v_add_co_u32 v71, vcc_lo, s20, v110
	v_add_co_ci_u32_e32 v72, vcc_lo, s21, v111, vcc_lo
	v_add_co_u32 v8, vcc_lo, v73, s26
	v_add_co_ci_u32_e32 v10, vcc_lo, s27, v74, vcc_lo
	v_ashrrev_i32_e32 v11, 31, v9
	v_add_co_u32 v13, vcc_lo, v112, s20
	v_add_co_ci_u32_e32 v14, vcc_lo, s21, v108, vcc_lo
	v_add_co_u32 v8, vcc_lo, v8, v9
	s_delay_alu instid0(VALU_DEP_4) | instskip(NEXT) | instid1(VALU_DEP_4)
	v_add_co_ci_u32_e32 v10, vcc_lo, v10, v11, vcc_lo
	v_add_co_u32 v73, vcc_lo, v13, 4
	s_delay_alu instid0(VALU_DEP_4) | instskip(NEXT) | instid1(VALU_DEP_4)
	v_add_co_ci_u32_e32 v74, vcc_lo, 0, v14, vcc_lo
	v_add_co_u32 v75, vcc_lo, s18, v8
	s_delay_alu instid0(VALU_DEP_4) | instskip(SKIP_4) | instid1(VALU_DEP_4)
	v_add_co_ci_u32_e32 v76, vcc_lo, s19, v10, vcc_lo
	v_add_co_u32 v8, vcc_lo, v115, s20
	v_add_co_ci_u32_e32 v10, vcc_lo, s21, v116, vcc_lo
	v_add_co_u32 v77, vcc_lo, s20, v113
	;; [unrolled: 2-line block ×3, first 2 shown]
	s_delay_alu instid0(VALU_DEP_4) | instskip(SKIP_4) | instid1(VALU_DEP_4)
	v_add_co_ci_u32_e32 v80, vcc_lo, 0, v10, vcc_lo
	v_add_co_u32 v8, vcc_lo, v119, s20
	v_add_co_ci_u32_e32 v10, vcc_lo, s21, v120, vcc_lo
	v_add_co_u32 v81, vcc_lo, s20, v117
	;; [unrolled: 2-line block ×3, first 2 shown]
	s_delay_alu instid0(VALU_DEP_4)
	v_add_co_ci_u32_e32 v84, vcc_lo, 0, v10, vcc_lo
	v_add_co_u32 v85, vcc_lo, s20, v121
	v_add_co_ci_u32_e32 v86, vcc_lo, s21, v122, vcc_lo
	s_add_u32 s5, s33, s26
	s_addc_u32 s9, s39, s27
	v_add_co_u32 v8, vcc_lo, v123, s20
	s_add_u32 s5, s18, s5
	v_add_co_ci_u32_e32 v10, vcc_lo, s21, v124, vcc_lo
	s_addc_u32 s9, s19, s9
	v_add_co_u32 v87, vcc_lo, s5, v9
	v_add_co_ci_u32_e32 v88, vcc_lo, s9, v11, vcc_lo
	v_add_co_u32 v89, vcc_lo, v8, 4
	v_add_co_ci_u32_e32 v90, vcc_lo, 0, v10, vcc_lo
	;; [unrolled: 2-line block ×5, first 2 shown]
	s_delay_alu instid0(VALU_DEP_4) | instskip(NEXT) | instid1(VALU_DEP_4)
	v_add_co_u32 v93, vcc_lo, v8, 4
	v_add_co_ci_u32_e32 v94, vcc_lo, 0, v9, vcc_lo
	s_delay_alu instid0(VALU_DEP_4) | instskip(NEXT) | instid1(VALU_DEP_4)
	v_add_co_u32 v95, vcc_lo, v10, 4
	v_add_co_ci_u32_e32 v96, vcc_lo, 0, v11, vcc_lo
	v_mov_b32_e32 v11, 0xfeffffff
	v_add_co_u32 v8, vcc_lo, v133, s20
	v_add_co_ci_u32_e32 v9, vcc_lo, s21, v134, vcc_lo
	v_add_co_u32 v97, vcc_lo, s20, v131
	v_add_co_ci_u32_e32 v98, vcc_lo, s21, v132, vcc_lo
	s_delay_alu instid0(VALU_DEP_4) | instskip(NEXT) | instid1(VALU_DEP_4)
	v_add_co_u32 v99, vcc_lo, v8, 4
	v_add_co_ci_u32_e32 v100, vcc_lo, 0, v9, vcc_lo
	v_add_co_u32 v8, vcc_lo, v137, s20
	v_add_co_ci_u32_e32 v9, vcc_lo, s21, v138, vcc_lo
	v_add_co_u32 v101, vcc_lo, s20, v135
	v_add_co_ci_u32_e32 v102, vcc_lo, s21, v136, vcc_lo
	s_delay_alu instid0(VALU_DEP_4) | instskip(NEXT) | instid1(VALU_DEP_4)
	v_add_co_u32 v103, vcc_lo, v8, 4
	v_add_co_ci_u32_e32 v104, vcc_lo, 0, v9, vcc_lo
	;; [unrolled: 7-line block ×23, first 2 shown]
	v_add_co_u32 v189, vcc_lo, s20, v12
	v_add_co_ci_u32_e32 v190, vcc_lo, s21, v219, vcc_lo
	v_or_b32_e32 v191, 8, v48
	v_or_b32_e32 v192, 16, v48
	;; [unrolled: 1-line block ×3, first 2 shown]
	v_dual_add_f32 v194, v7, v7 :: v_dual_and_b32 v195, 4, v42
	v_dual_mov_b32 v197, 0 :: v_dual_mov_b32 v196, 0
	v_mov_b32_e32 v198, 0
	s_mul_i32 s5, s4, s16
	s_mov_b32 s9, 0xbbbac73d
.LBB18_11:                              ; =>This Inner Loop Header: Depth=1
	v_add_co_u32 v9, vcc_lo, v87, s17
	v_add_co_ci_u32_e32 v10, vcc_lo, 0, v88, vcc_lo
	v_add_co_u32 v7, vcc_lo, v75, s17
	v_add_co_ci_u32_e32 v8, vcc_lo, 0, v76, vcc_lo
	global_load_b32 v12, v[7:8], off offset:6
	s_clause 0x1
	global_load_b32 v13, v[9:10], off
	global_load_u16 v14, v[9:10], off offset:4
	s_waitcnt vmcnt(2)
	v_and_b32_e32 v17, 0xf0f0f0f, v12
	v_lshrrev_b32_e32 v12, 4, v12
	s_waitcnt vmcnt(0)
	v_perm_b32 v14, v13, v14, 0x1000706
	s_delay_alu instid0(VALU_DEP_2) | instskip(NEXT) | instid1(VALU_DEP_2)
	v_and_b32_e32 v12, 0xf0f0f0f, v12
	v_ashrrev_i32_e32 v15, v48, v14
	s_delay_alu instid0(VALU_DEP_1) | instskip(SKIP_3) | instid1(VALU_DEP_4)
	v_lshlrev_b32_e32 v16, 4, v15
	v_lshlrev_b32_e32 v18, 11, v15
	;; [unrolled: 1-line block ×4, first 2 shown]
	v_and_b32_e32 v16, 16, v16
	s_delay_alu instid0(VALU_DEP_4) | instskip(NEXT) | instid1(VALU_DEP_4)
	v_and_b32_e32 v18, 0x1000, v18
	v_and_b32_e32 v19, 0x100000, v19
	s_delay_alu instid0(VALU_DEP_4) | instskip(NEXT) | instid1(VALU_DEP_1)
	v_and_b32_e32 v15, 0x10000000, v15
	v_or3_b32 v15, v15, v17, v19
	v_ashrrev_i32_e32 v17, v191, v14
	s_delay_alu instid0(VALU_DEP_2)
	v_or3_b32 v15, v15, v16, v18
	global_load_b32 v16, v[7:8], off offset:14
	v_lshlrev_b32_e32 v18, 4, v17
	v_lshlrev_b32_e32 v20, 11, v17
	v_lshlrev_b32_e32 v21, 18, v17
	v_lshlrev_b32_e32 v17, 25, v17
	v_dot4_i32_iu8 v15, v15, v23, 0 neg_lo:[1,1,0]
	v_and_b32_e32 v18, 16, v18
	v_and_b32_e32 v20, 0x1000, v20
	;; [unrolled: 1-line block ×4, first 2 shown]
	v_cvt_f32_i32_e32 v15, v15
	s_delay_alu instid0(VALU_DEP_1) | instskip(NEXT) | instid1(VALU_DEP_1)
	v_fma_f32 v15, v0, v15, -v1
	v_fma_mix_f32 v15, v15, v13, 0 op_sel_hi:[0,1,0]
	s_waitcnt vmcnt(0)
	v_and_b32_e32 v19, 0xf0f0f0f, v16
	s_delay_alu instid0(VALU_DEP_1) | instskip(NEXT) | instid1(VALU_DEP_1)
	v_or3_b32 v17, v17, v19, v21
	v_or3_b32 v17, v17, v18, v20
	s_delay_alu instid0(VALU_DEP_1) | instskip(NEXT) | instid1(VALU_DEP_1)
	v_dot4_i32_iu8 v17, v17, v24, 0 neg_lo:[1,1,0]
	v_cvt_f32_i32_e32 v17, v17
	s_delay_alu instid0(VALU_DEP_1) | instskip(NEXT) | instid1(VALU_DEP_1)
	v_fma_f32 v17, v0, v17, -v1
	v_fma_mix_f32 v15, v17, v13, v15 op_sel_hi:[0,1,0]
	v_ashrrev_i32_e32 v17, v192, v14
	v_ashrrev_i32_e32 v14, v193, v14
	s_delay_alu instid0(VALU_DEP_2) | instskip(SKIP_3) | instid1(VALU_DEP_4)
	v_lshlrev_b32_e32 v18, 4, v17
	v_lshlrev_b32_e32 v19, 11, v17
	;; [unrolled: 1-line block ×4, first 2 shown]
	v_and_b32_e32 v18, 16, v18
	s_delay_alu instid0(VALU_DEP_4) | instskip(NEXT) | instid1(VALU_DEP_4)
	v_and_b32_e32 v19, 0x1000, v19
	v_and_b32_e32 v20, 0x100000, v20
	s_delay_alu instid0(VALU_DEP_4) | instskip(NEXT) | instid1(VALU_DEP_1)
	v_and_b32_e32 v17, 0x10000000, v17
	v_or3_b32 v12, v17, v12, v20
	v_lshlrev_b32_e32 v17, 11, v14
	s_delay_alu instid0(VALU_DEP_2) | instskip(SKIP_1) | instid1(VALU_DEP_3)
	v_or3_b32 v12, v12, v18, v19
	v_lshlrev_b32_e32 v18, 18, v14
	v_and_b32_e32 v17, 0x1000, v17
	s_delay_alu instid0(VALU_DEP_3) | instskip(NEXT) | instid1(VALU_DEP_3)
	v_dot4_i32_iu8 v12, v12, v25, 0 neg_lo:[1,1,0]
	v_and_b32_e32 v18, 0x100000, v18
	s_delay_alu instid0(VALU_DEP_2) | instskip(NEXT) | instid1(VALU_DEP_1)
	v_cvt_f32_i32_e32 v12, v12
	v_fma_f32 v12, v0, v12, -v1
	s_delay_alu instid0(VALU_DEP_1) | instskip(SKIP_3) | instid1(VALU_DEP_3)
	v_fma_mix_f32 v12, v12, v13, v15 op_sel_hi:[0,1,0]
	v_lshrrev_b32_e32 v15, 4, v16
	v_lshlrev_b32_e32 v16, 4, v14
	v_lshlrev_b32_e32 v14, 25, v14
	v_and_b32_e32 v15, 0xf0f0f0f, v15
	s_delay_alu instid0(VALU_DEP_3) | instskip(NEXT) | instid1(VALU_DEP_3)
	v_and_b32_e32 v16, 16, v16
	v_and_b32_e32 v14, 0x10000000, v14
	s_delay_alu instid0(VALU_DEP_1) | instskip(NEXT) | instid1(VALU_DEP_1)
	v_or3_b32 v14, v18, v14, v16
	v_or3_b32 v14, v14, v17, v15
	s_delay_alu instid0(VALU_DEP_1) | instskip(NEXT) | instid1(VALU_DEP_1)
	v_dot4_i32_iu8 v14, v14, v26, 0 neg_lo:[1,1,0]
	v_cvt_f32_i32_e32 v14, v14
	s_delay_alu instid0(VALU_DEP_1) | instskip(NEXT) | instid1(VALU_DEP_1)
	v_fma_f32 v14, v0, v14, -v1
	v_fma_mix_f32 v12, v14, v13, v12 op_sel_hi:[0,1,0]
	global_load_b32 v13, v[7:8], off offset:28
	s_clause 0x1
	global_load_b32 v14, v[9:10], off offset:22
	global_load_u16 v15, v[9:10], off offset:26
	s_waitcnt vmcnt(2)
	v_and_b32_e32 v18, 0xf0f0f0f, v13
	v_lshrrev_b32_e32 v13, 4, v13
	s_waitcnt vmcnt(0)
	v_perm_b32 v15, v14, v15, 0x1000706
	s_delay_alu instid0(VALU_DEP_2) | instskip(NEXT) | instid1(VALU_DEP_2)
	v_and_b32_e32 v13, 0xf0f0f0f, v13
	v_ashrrev_i32_e32 v16, v48, v15
	s_delay_alu instid0(VALU_DEP_1) | instskip(SKIP_3) | instid1(VALU_DEP_4)
	v_lshlrev_b32_e32 v17, 4, v16
	v_lshlrev_b32_e32 v19, 11, v16
	;; [unrolled: 1-line block ×4, first 2 shown]
	v_and_b32_e32 v17, 16, v17
	s_delay_alu instid0(VALU_DEP_4) | instskip(NEXT) | instid1(VALU_DEP_4)
	v_and_b32_e32 v19, 0x1000, v19
	v_and_b32_e32 v20, 0x100000, v20
	s_delay_alu instid0(VALU_DEP_4) | instskip(NEXT) | instid1(VALU_DEP_1)
	v_and_b32_e32 v16, 0x10000000, v16
	v_or3_b32 v16, v16, v18, v20
	s_delay_alu instid0(VALU_DEP_1) | instskip(SKIP_1) | instid1(VALU_DEP_2)
	v_or3_b32 v16, v16, v17, v19
	v_ashrrev_i32_e32 v17, v191, v15
	v_dot4_i32_iu8 v16, v16, v27, 0 neg_lo:[1,1,0]
	s_delay_alu instid0(VALU_DEP_2)
	v_lshlrev_b32_e32 v18, 4, v17
	v_lshlrev_b32_e32 v20, 11, v17
	v_lshlrev_b32_e32 v21, 18, v17
	v_lshlrev_b32_e32 v17, 25, v17
	v_cvt_f32_i32_e32 v16, v16
	v_and_b32_e32 v18, 16, v18
	v_and_b32_e32 v20, 0x1000, v20
	;; [unrolled: 1-line block ×4, first 2 shown]
	v_fma_f32 v16, v2, v16, -v3
	s_delay_alu instid0(VALU_DEP_1) | instskip(SKIP_3) | instid1(VALU_DEP_1)
	v_fma_mix_f32 v12, v16, v14, v12 op_sel_hi:[0,1,0]
	global_load_b32 v16, v[7:8], off offset:36
	s_waitcnt vmcnt(0)
	v_and_b32_e32 v19, 0xf0f0f0f, v16
	v_or3_b32 v17, v17, v19, v21
	s_delay_alu instid0(VALU_DEP_1) | instskip(NEXT) | instid1(VALU_DEP_1)
	v_or3_b32 v17, v17, v18, v20
	v_dot4_i32_iu8 v17, v17, v28, 0 neg_lo:[1,1,0]
	s_delay_alu instid0(VALU_DEP_1) | instskip(NEXT) | instid1(VALU_DEP_1)
	v_cvt_f32_i32_e32 v17, v17
	v_fma_f32 v17, v2, v17, -v3
	s_delay_alu instid0(VALU_DEP_1) | instskip(SKIP_2) | instid1(VALU_DEP_2)
	v_fma_mix_f32 v12, v17, v14, v12 op_sel_hi:[0,1,0]
	v_ashrrev_i32_e32 v17, v192, v15
	v_ashrrev_i32_e32 v15, v193, v15
	v_lshlrev_b32_e32 v18, 4, v17
	v_lshlrev_b32_e32 v19, 11, v17
	;; [unrolled: 1-line block ×4, first 2 shown]
	s_delay_alu instid0(VALU_DEP_4) | instskip(NEXT) | instid1(VALU_DEP_4)
	v_and_b32_e32 v18, 16, v18
	v_and_b32_e32 v19, 0x1000, v19
	s_delay_alu instid0(VALU_DEP_4) | instskip(NEXT) | instid1(VALU_DEP_4)
	v_and_b32_e32 v20, 0x100000, v20
	v_and_b32_e32 v17, 0x10000000, v17
	s_delay_alu instid0(VALU_DEP_1) | instskip(SKIP_1) | instid1(VALU_DEP_2)
	v_or3_b32 v13, v17, v13, v20
	v_lshlrev_b32_e32 v17, 11, v15
	v_or3_b32 v13, v13, v18, v19
	v_lshlrev_b32_e32 v18, 18, v15
	s_delay_alu instid0(VALU_DEP_3) | instskip(NEXT) | instid1(VALU_DEP_3)
	v_and_b32_e32 v17, 0x1000, v17
	v_dot4_i32_iu8 v13, v13, v29, 0 neg_lo:[1,1,0]
	s_delay_alu instid0(VALU_DEP_3) | instskip(NEXT) | instid1(VALU_DEP_2)
	v_and_b32_e32 v18, 0x100000, v18
	v_cvt_f32_i32_e32 v13, v13
	s_delay_alu instid0(VALU_DEP_1) | instskip(NEXT) | instid1(VALU_DEP_1)
	v_fma_f32 v13, v2, v13, -v3
	v_fma_mix_f32 v12, v13, v14, v12 op_sel_hi:[0,1,0]
	v_lshrrev_b32_e32 v13, 4, v16
	v_lshlrev_b32_e32 v16, 4, v15
	v_lshlrev_b32_e32 v15, 25, v15
	s_delay_alu instid0(VALU_DEP_3) | instskip(NEXT) | instid1(VALU_DEP_3)
	v_and_b32_e32 v13, 0xf0f0f0f, v13
	v_and_b32_e32 v16, 16, v16
	s_delay_alu instid0(VALU_DEP_3) | instskip(NEXT) | instid1(VALU_DEP_1)
	v_and_b32_e32 v15, 0x10000000, v15
	v_or3_b32 v15, v18, v15, v16
	s_delay_alu instid0(VALU_DEP_1) | instskip(NEXT) | instid1(VALU_DEP_1)
	v_or3_b32 v13, v15, v17, v13
	v_dot4_i32_iu8 v13, v13, v30, 0 neg_lo:[1,1,0]
	s_delay_alu instid0(VALU_DEP_1) | instskip(NEXT) | instid1(VALU_DEP_1)
	v_cvt_f32_i32_e32 v13, v13
	v_fma_f32 v13, v2, v13, -v3
	s_delay_alu instid0(VALU_DEP_1)
	v_fma_mix_f32 v12, v13, v14, v12 op_sel_hi:[0,1,0]
	global_load_b32 v13, v[7:8], off offset:50
	s_clause 0x1
	global_load_b32 v14, v[9:10], off offset:44
	global_load_u16 v15, v[9:10], off offset:48
	s_waitcnt vmcnt(2)
	v_and_b32_e32 v18, 0xf0f0f0f, v13
	v_lshrrev_b32_e32 v13, 4, v13
	s_waitcnt vmcnt(0)
	v_perm_b32 v15, v14, v15, 0x1000706
	s_delay_alu instid0(VALU_DEP_2) | instskip(NEXT) | instid1(VALU_DEP_2)
	v_and_b32_e32 v13, 0xf0f0f0f, v13
	v_ashrrev_i32_e32 v16, v48, v15
	s_delay_alu instid0(VALU_DEP_1) | instskip(SKIP_3) | instid1(VALU_DEP_4)
	v_lshlrev_b32_e32 v17, 4, v16
	v_lshlrev_b32_e32 v19, 11, v16
	;; [unrolled: 1-line block ×4, first 2 shown]
	v_and_b32_e32 v17, 16, v17
	s_delay_alu instid0(VALU_DEP_4) | instskip(NEXT) | instid1(VALU_DEP_4)
	v_and_b32_e32 v19, 0x1000, v19
	v_and_b32_e32 v20, 0x100000, v20
	s_delay_alu instid0(VALU_DEP_4) | instskip(NEXT) | instid1(VALU_DEP_1)
	v_and_b32_e32 v16, 0x10000000, v16
	v_or3_b32 v16, v16, v18, v20
	s_delay_alu instid0(VALU_DEP_1) | instskip(SKIP_1) | instid1(VALU_DEP_2)
	v_or3_b32 v16, v16, v17, v19
	v_ashrrev_i32_e32 v17, v191, v15
	v_dot4_i32_iu8 v16, v16, v31, 0 neg_lo:[1,1,0]
	s_delay_alu instid0(VALU_DEP_2)
	v_lshlrev_b32_e32 v18, 4, v17
	v_lshlrev_b32_e32 v20, 11, v17
	;; [unrolled: 1-line block ×4, first 2 shown]
	v_cvt_f32_i32_e32 v16, v16
	v_and_b32_e32 v18, 16, v18
	v_and_b32_e32 v20, 0x1000, v20
	;; [unrolled: 1-line block ×4, first 2 shown]
	v_fma_f32 v16, v4, v16, -v5
	s_delay_alu instid0(VALU_DEP_1) | instskip(SKIP_3) | instid1(VALU_DEP_1)
	v_fma_mix_f32 v12, v16, v14, v12 op_sel_hi:[0,1,0]
	global_load_b32 v16, v[7:8], off offset:58
	s_waitcnt vmcnt(0)
	v_and_b32_e32 v19, 0xf0f0f0f, v16
	v_or3_b32 v17, v17, v19, v21
	s_delay_alu instid0(VALU_DEP_1) | instskip(NEXT) | instid1(VALU_DEP_1)
	v_or3_b32 v17, v17, v18, v20
	v_dot4_i32_iu8 v17, v17, v32, 0 neg_lo:[1,1,0]
	s_delay_alu instid0(VALU_DEP_1) | instskip(NEXT) | instid1(VALU_DEP_1)
	v_cvt_f32_i32_e32 v17, v17
	v_fma_f32 v17, v4, v17, -v5
	s_delay_alu instid0(VALU_DEP_1) | instskip(SKIP_2) | instid1(VALU_DEP_2)
	v_fma_mix_f32 v12, v17, v14, v12 op_sel_hi:[0,1,0]
	v_ashrrev_i32_e32 v17, v192, v15
	v_ashrrev_i32_e32 v15, v193, v15
	v_lshlrev_b32_e32 v18, 4, v17
	v_lshlrev_b32_e32 v19, 11, v17
	;; [unrolled: 1-line block ×4, first 2 shown]
	s_delay_alu instid0(VALU_DEP_4) | instskip(NEXT) | instid1(VALU_DEP_4)
	v_and_b32_e32 v18, 16, v18
	v_and_b32_e32 v19, 0x1000, v19
	s_delay_alu instid0(VALU_DEP_4) | instskip(NEXT) | instid1(VALU_DEP_4)
	v_and_b32_e32 v20, 0x100000, v20
	v_and_b32_e32 v17, 0x10000000, v17
	s_delay_alu instid0(VALU_DEP_1) | instskip(SKIP_1) | instid1(VALU_DEP_2)
	v_or3_b32 v13, v17, v13, v20
	v_lshlrev_b32_e32 v17, 11, v15
	v_or3_b32 v13, v13, v18, v19
	v_lshlrev_b32_e32 v18, 18, v15
	s_delay_alu instid0(VALU_DEP_3) | instskip(NEXT) | instid1(VALU_DEP_3)
	v_and_b32_e32 v17, 0x1000, v17
	v_dot4_i32_iu8 v13, v13, v33, 0 neg_lo:[1,1,0]
	s_delay_alu instid0(VALU_DEP_3) | instskip(NEXT) | instid1(VALU_DEP_2)
	v_and_b32_e32 v18, 0x100000, v18
	v_cvt_f32_i32_e32 v13, v13
	s_delay_alu instid0(VALU_DEP_1) | instskip(NEXT) | instid1(VALU_DEP_1)
	v_fma_f32 v13, v4, v13, -v5
	v_fma_mix_f32 v12, v13, v14, v12 op_sel_hi:[0,1,0]
	v_lshrrev_b32_e32 v13, 4, v16
	v_lshlrev_b32_e32 v16, 4, v15
	v_lshlrev_b32_e32 v15, 25, v15
	s_delay_alu instid0(VALU_DEP_3) | instskip(NEXT) | instid1(VALU_DEP_3)
	v_and_b32_e32 v13, 0xf0f0f0f, v13
	v_and_b32_e32 v16, 16, v16
	s_delay_alu instid0(VALU_DEP_3) | instskip(NEXT) | instid1(VALU_DEP_1)
	v_and_b32_e32 v15, 0x10000000, v15
	v_or3_b32 v15, v18, v15, v16
	s_delay_alu instid0(VALU_DEP_1) | instskip(NEXT) | instid1(VALU_DEP_1)
	v_or3_b32 v13, v15, v17, v13
	v_dot4_i32_iu8 v13, v13, v34, 0 neg_lo:[1,1,0]
	s_delay_alu instid0(VALU_DEP_1) | instskip(NEXT) | instid1(VALU_DEP_1)
	v_cvt_f32_i32_e32 v13, v13
	v_fma_f32 v13, v4, v13, -v5
	s_delay_alu instid0(VALU_DEP_1)
	v_fma_mix_f32 v13, v13, v14, v12 op_sel_hi:[0,1,0]
	global_load_b32 v14, v[7:8], off offset:72
	s_clause 0x1
	global_load_b32 v12, v[9:10], off offset:66
	global_load_u16 v9, v[9:10], off offset:70
	global_load_b32 v8, v[7:8], off offset:80
	s_waitcnt vmcnt(3)
	v_and_b32_e32 v16, 0xf0f0f0f, v14
	s_waitcnt vmcnt(1)
	v_perm_b32 v9, v12, v9, 0x1000706
	s_delay_alu instid0(VALU_DEP_1) | instskip(SKIP_1) | instid1(VALU_DEP_2)
	v_ashrrev_i32_e32 v10, v48, v9
	v_ashrrev_i32_e32 v7, v191, v9
	v_lshlrev_b32_e32 v15, 4, v10
	v_lshlrev_b32_e32 v17, 11, v10
	;; [unrolled: 1-line block ×4, first 2 shown]
	s_delay_alu instid0(VALU_DEP_4) | instskip(NEXT) | instid1(VALU_DEP_4)
	v_and_b32_e32 v15, 16, v15
	v_and_b32_e32 v17, 0x1000, v17
	s_delay_alu instid0(VALU_DEP_4) | instskip(NEXT) | instid1(VALU_DEP_4)
	v_and_b32_e32 v18, 0x100000, v18
	v_and_b32_e32 v10, 0x10000000, v10
	s_delay_alu instid0(VALU_DEP_1) | instskip(SKIP_1) | instid1(VALU_DEP_2)
	v_or3_b32 v10, v10, v16, v18
	v_lshlrev_b32_e32 v16, 11, v7
	v_or3_b32 v10, v10, v15, v17
	v_lshlrev_b32_e32 v17, 18, v7
	s_waitcnt vmcnt(0)
	v_and_b32_e32 v15, 0xf0f0f0f, v8
	v_and_b32_e32 v16, 0x1000, v16
	v_lshrrev_b32_e32 v8, 4, v8
	v_dot4_i32_iu8 v10, v10, v35, 0 neg_lo:[1,1,0]
	v_and_b32_e32 v17, 0x100000, v17
	s_delay_alu instid0(VALU_DEP_3) | instskip(NEXT) | instid1(VALU_DEP_3)
	v_and_b32_e32 v8, 0xf0f0f0f, v8
	v_cvt_f32_i32_e32 v10, v10
	s_delay_alu instid0(VALU_DEP_1) | instskip(NEXT) | instid1(VALU_DEP_1)
	v_fma_f32 v10, v6, v10, -v194
	v_fma_mix_f32 v10, v10, v12, v13 op_sel_hi:[0,1,0]
	v_lshlrev_b32_e32 v13, 4, v7
	v_lshlrev_b32_e32 v7, 25, v7
	s_delay_alu instid0(VALU_DEP_2) | instskip(NEXT) | instid1(VALU_DEP_2)
	v_and_b32_e32 v13, 16, v13
	v_and_b32_e32 v7, 0x10000000, v7
	s_delay_alu instid0(VALU_DEP_1) | instskip(NEXT) | instid1(VALU_DEP_1)
	v_or3_b32 v7, v7, v15, v17
	v_or3_b32 v7, v7, v13, v16
	v_ashrrev_i32_e32 v13, v192, v9
	v_ashrrev_i32_e32 v9, v193, v9
	s_delay_alu instid0(VALU_DEP_3) | instskip(NEXT) | instid1(VALU_DEP_3)
	v_dot4_i32_iu8 v7, v7, v36, 0 neg_lo:[1,1,0]
	v_lshlrev_b32_e32 v15, 11, v13
	v_lshlrev_b32_e32 v16, 18, v13
	s_delay_alu instid0(VALU_DEP_3) | instskip(NEXT) | instid1(VALU_DEP_3)
	v_cvt_f32_i32_e32 v7, v7
	v_and_b32_e32 v15, 0x1000, v15
	s_delay_alu instid0(VALU_DEP_3) | instskip(NEXT) | instid1(VALU_DEP_3)
	v_and_b32_e32 v16, 0x100000, v16
	v_fma_f32 v7, v6, v7, -v194
	s_delay_alu instid0(VALU_DEP_1) | instskip(SKIP_3) | instid1(VALU_DEP_3)
	v_fma_mix_f32 v7, v7, v12, v10 op_sel_hi:[0,1,0]
	v_lshrrev_b32_e32 v10, 4, v14
	v_lshlrev_b32_e32 v14, 4, v13
	v_lshlrev_b32_e32 v13, 25, v13
	v_and_b32_e32 v10, 0xf0f0f0f, v10
	s_delay_alu instid0(VALU_DEP_3) | instskip(NEXT) | instid1(VALU_DEP_3)
	v_and_b32_e32 v14, 16, v14
	v_and_b32_e32 v13, 0x10000000, v13
	s_delay_alu instid0(VALU_DEP_1) | instskip(SKIP_1) | instid1(VALU_DEP_2)
	v_or3_b32 v10, v13, v10, v16
	v_lshlrev_b32_e32 v13, 11, v9
	v_or3_b32 v10, v10, v14, v15
	v_lshlrev_b32_e32 v14, 18, v9
	s_delay_alu instid0(VALU_DEP_3) | instskip(NEXT) | instid1(VALU_DEP_3)
	v_and_b32_e32 v13, 0x1000, v13
	v_dot4_i32_iu8 v10, v10, v37, 0 neg_lo:[1,1,0]
	s_delay_alu instid0(VALU_DEP_3) | instskip(NEXT) | instid1(VALU_DEP_2)
	v_and_b32_e32 v14, 0x100000, v14
	v_cvt_f32_i32_e32 v10, v10
	s_delay_alu instid0(VALU_DEP_1) | instskip(NEXT) | instid1(VALU_DEP_1)
	v_fma_f32 v10, v6, v10, -v194
	v_fma_mix_f32 v7, v10, v12, v7 op_sel_hi:[0,1,0]
	v_lshlrev_b32_e32 v10, 4, v9
	v_lshlrev_b32_e32 v9, 25, v9
	s_delay_alu instid0(VALU_DEP_2) | instskip(NEXT) | instid1(VALU_DEP_2)
	v_and_b32_e32 v10, 16, v10
	v_and_b32_e32 v9, 0x10000000, v9
	s_delay_alu instid0(VALU_DEP_1) | instskip(NEXT) | instid1(VALU_DEP_1)
	v_or3_b32 v9, v14, v9, v10
	v_or3_b32 v8, v9, v13, v8
	s_delay_alu instid0(VALU_DEP_1) | instskip(NEXT) | instid1(VALU_DEP_1)
	v_dot4_i32_iu8 v8, v8, v38, 0 neg_lo:[1,1,0]
	v_cvt_f32_i32_e32 v8, v8
	s_delay_alu instid0(VALU_DEP_1) | instskip(NEXT) | instid1(VALU_DEP_1)
	v_fma_f32 v8, v6, v8, -v194
	v_fma_mix_f32 v7, v8, v12, v7 op_sel_hi:[0,1,0]
	ds_bpermute_b32 v8, v49, v7
	s_waitcnt lgkmcnt(0)
	v_add_f32_e32 v7, v7, v8
                                        ; implicit-def: $vgpr8
	s_delay_alu instid0(VALU_DEP_1) | instskip(NEXT) | instid1(VALU_DEP_1)
	v_cmp_ngt_f32_e64 s16, 0x3f200000, |v7|
	s_and_saveexec_b32 s18, s16
	s_delay_alu instid0(SALU_CYCLE_1)
	s_xor_b32 s16, exec_lo, s18
	s_cbranch_execz .LBB18_13
; %bb.12:                               ;   in Loop: Header=BB18_11 Depth=1
	v_add_f32_e64 v8, |v7|, |v7|
	s_delay_alu instid0(VALU_DEP_1) | instskip(SKIP_1) | instid1(VALU_DEP_2)
	v_mul_f32_e32 v9, 0x3fb8aa3b, v8
	v_cmp_ngt_f32_e32 vcc_lo, 0xc2ce8ed0, v8
	v_rndne_f32_e32 v10, v9
	v_fma_f32 v12, 0x3fb8aa3b, v8, -v9
	s_delay_alu instid0(VALU_DEP_1) | instskip(SKIP_1) | instid1(VALU_DEP_2)
	v_dual_sub_f32 v9, v9, v10 :: v_dual_fmac_f32 v12, 0x32a5705f, v8
	v_cvt_i32_f32_e32 v10, v10
	v_add_f32_e32 v9, v9, v12
	s_delay_alu instid0(VALU_DEP_1) | instskip(SKIP_2) | instid1(VALU_DEP_1)
	v_exp_f32_e32 v9, v9
	s_waitcnt_depctr 0xfff
	v_ldexp_f32 v9, v9, v10
	v_cndmask_b32_e32 v9, 0, v9, vcc_lo
	v_cmp_nlt_f32_e32 vcc_lo, 0x42b17218, v8
	s_delay_alu instid0(VALU_DEP_2) | instskip(NEXT) | instid1(VALU_DEP_1)
	v_cndmask_b32_e32 v8, 0x7f800000, v9, vcc_lo
	v_add_f32_e32 v8, 1.0, v8
	s_delay_alu instid0(VALU_DEP_1)
	v_rcp_f32_e32 v8, v8
	s_waitcnt_depctr 0xfff
	v_fma_f32 v8, v8, -2.0, 1.0
.LBB18_13:                              ;   in Loop: Header=BB18_11 Depth=1
	s_and_not1_saveexec_b32 s16, s16
; %bb.14:                               ;   in Loop: Header=BB18_11 Depth=1
	v_mul_f32_e32 v8, v7, v7
	s_delay_alu instid0(VALU_DEP_1) | instskip(NEXT) | instid1(VALU_DEP_1)
	v_fmaak_f32 v9, s9, v8, 0x3ca908c9
	v_fmaak_f32 v9, v8, v9, 0xbd5c1c4e
	s_delay_alu instid0(VALU_DEP_1) | instskip(NEXT) | instid1(VALU_DEP_1)
	v_fmaak_f32 v9, v8, v9, 0x3e088382
	v_fmaak_f32 v9, v8, v9, 0xbeaaaa99
	s_delay_alu instid0(VALU_DEP_1) | instskip(NEXT) | instid1(VALU_DEP_1)
	v_mul_f32_e64 v9, |v7|, v9
	v_fma_f32 v8, v8, v9, |v7|
; %bb.15:                               ;   in Loop: Header=BB18_11 Depth=1
	s_or_b32 exec_lo, exec_lo, s16
	s_delay_alu instid0(VALU_DEP_1) | instskip(SKIP_1) | instid1(VALU_DEP_1)
	v_bfi_b32 v7, 0x7fffffff, v8, v7
	s_and_not1_b32 vcc_lo, exec_lo, s7
	v_mul_f32_e32 v12, s41, v7
	s_cbranch_vccnz .LBB18_17
; %bb.16:                               ;   in Loop: Header=BB18_11 Depth=1
	global_load_u16 v7, v[39:40], off offset:-2
	s_waitcnt vmcnt(0)
	v_fma_mix_f32 v12, v44, v7, v12 op_sel_hi:[0,1,0]
.LBB18_17:                              ;   in Loop: Header=BB18_11 Depth=1
	v_add_co_u32 v9, vcc_lo, v57, s17
	v_add_co_ci_u32_e32 v10, vcc_lo, 0, v58, vcc_lo
	v_add_co_u32 v7, vcc_lo, v55, s17
	v_add_co_ci_u32_e32 v8, vcc_lo, 0, v56, vcc_lo
	global_load_b32 v13, v[7:8], off offset:6
	s_clause 0x1
	global_load_b32 v14, v[9:10], off
	global_load_u16 v15, v[9:10], off offset:4
	s_waitcnt vmcnt(2)
	v_and_b32_e32 v18, 0xf0f0f0f, v13
	v_lshrrev_b32_e32 v13, 4, v13
	s_waitcnt vmcnt(0)
	v_perm_b32 v15, v14, v15, 0x1000706
	s_delay_alu instid0(VALU_DEP_2) | instskip(NEXT) | instid1(VALU_DEP_2)
	v_and_b32_e32 v13, 0xf0f0f0f, v13
	v_ashrrev_i32_e32 v16, v48, v15
	s_delay_alu instid0(VALU_DEP_1) | instskip(SKIP_3) | instid1(VALU_DEP_4)
	v_lshlrev_b32_e32 v17, 4, v16
	v_lshlrev_b32_e32 v19, 11, v16
	;; [unrolled: 1-line block ×4, first 2 shown]
	v_and_b32_e32 v17, 16, v17
	s_delay_alu instid0(VALU_DEP_4) | instskip(NEXT) | instid1(VALU_DEP_4)
	v_and_b32_e32 v19, 0x1000, v19
	v_and_b32_e32 v20, 0x100000, v20
	s_delay_alu instid0(VALU_DEP_4) | instskip(NEXT) | instid1(VALU_DEP_1)
	v_and_b32_e32 v16, 0x10000000, v16
	v_or3_b32 v16, v16, v18, v20
	v_ashrrev_i32_e32 v18, v191, v15
	s_delay_alu instid0(VALU_DEP_2)
	v_or3_b32 v16, v16, v17, v19
	global_load_b32 v17, v[7:8], off offset:14
	v_lshlrev_b32_e32 v19, 4, v18
	v_lshlrev_b32_e32 v21, 11, v18
	;; [unrolled: 1-line block ×4, first 2 shown]
	v_dot4_i32_iu8 v16, v16, v23, 0 neg_lo:[1,1,0]
	v_and_b32_e32 v19, 16, v19
	v_and_b32_e32 v21, 0x1000, v21
	;; [unrolled: 1-line block ×4, first 2 shown]
	v_cvt_f32_i32_e32 v16, v16
	s_delay_alu instid0(VALU_DEP_1) | instskip(NEXT) | instid1(VALU_DEP_1)
	v_fma_f32 v16, v0, v16, -v1
	v_fma_mix_f32 v16, v16, v14, 0 op_sel_hi:[0,1,0]
	s_waitcnt vmcnt(0)
	v_and_b32_e32 v20, 0xf0f0f0f, v17
	s_delay_alu instid0(VALU_DEP_1) | instskip(NEXT) | instid1(VALU_DEP_1)
	v_or3_b32 v18, v18, v20, v22
	v_or3_b32 v18, v18, v19, v21
	s_delay_alu instid0(VALU_DEP_1) | instskip(NEXT) | instid1(VALU_DEP_1)
	v_dot4_i32_iu8 v18, v18, v24, 0 neg_lo:[1,1,0]
	v_cvt_f32_i32_e32 v18, v18
	s_delay_alu instid0(VALU_DEP_1) | instskip(NEXT) | instid1(VALU_DEP_1)
	v_fma_f32 v18, v0, v18, -v1
	v_fma_mix_f32 v16, v18, v14, v16 op_sel_hi:[0,1,0]
	v_ashrrev_i32_e32 v18, v192, v15
	v_ashrrev_i32_e32 v15, v193, v15
	s_delay_alu instid0(VALU_DEP_2) | instskip(SKIP_3) | instid1(VALU_DEP_4)
	v_lshlrev_b32_e32 v19, 4, v18
	v_lshlrev_b32_e32 v20, 11, v18
	;; [unrolled: 1-line block ×4, first 2 shown]
	v_and_b32_e32 v19, 16, v19
	s_delay_alu instid0(VALU_DEP_4) | instskip(NEXT) | instid1(VALU_DEP_4)
	v_and_b32_e32 v20, 0x1000, v20
	v_and_b32_e32 v21, 0x100000, v21
	s_delay_alu instid0(VALU_DEP_4) | instskip(NEXT) | instid1(VALU_DEP_1)
	v_and_b32_e32 v18, 0x10000000, v18
	v_or3_b32 v13, v18, v13, v21
	v_lshlrev_b32_e32 v18, 11, v15
	s_delay_alu instid0(VALU_DEP_2) | instskip(SKIP_1) | instid1(VALU_DEP_3)
	v_or3_b32 v13, v13, v19, v20
	v_lshlrev_b32_e32 v19, 18, v15
	v_and_b32_e32 v18, 0x1000, v18
	s_delay_alu instid0(VALU_DEP_3) | instskip(NEXT) | instid1(VALU_DEP_3)
	v_dot4_i32_iu8 v13, v13, v25, 0 neg_lo:[1,1,0]
	v_and_b32_e32 v19, 0x100000, v19
	s_delay_alu instid0(VALU_DEP_2) | instskip(NEXT) | instid1(VALU_DEP_1)
	v_cvt_f32_i32_e32 v13, v13
	v_fma_f32 v13, v0, v13, -v1
	s_delay_alu instid0(VALU_DEP_1) | instskip(SKIP_3) | instid1(VALU_DEP_3)
	v_fma_mix_f32 v13, v13, v14, v16 op_sel_hi:[0,1,0]
	v_lshrrev_b32_e32 v16, 4, v17
	v_lshlrev_b32_e32 v17, 4, v15
	v_lshlrev_b32_e32 v15, 25, v15
	v_and_b32_e32 v16, 0xf0f0f0f, v16
	s_delay_alu instid0(VALU_DEP_3) | instskip(NEXT) | instid1(VALU_DEP_3)
	v_and_b32_e32 v17, 16, v17
	v_and_b32_e32 v15, 0x10000000, v15
	s_delay_alu instid0(VALU_DEP_1) | instskip(NEXT) | instid1(VALU_DEP_1)
	v_or3_b32 v15, v19, v15, v17
	v_or3_b32 v15, v15, v18, v16
	s_delay_alu instid0(VALU_DEP_1) | instskip(NEXT) | instid1(VALU_DEP_1)
	v_dot4_i32_iu8 v15, v15, v26, 0 neg_lo:[1,1,0]
	v_cvt_f32_i32_e32 v15, v15
	s_delay_alu instid0(VALU_DEP_1) | instskip(NEXT) | instid1(VALU_DEP_1)
	v_fma_f32 v15, v0, v15, -v1
	v_fma_mix_f32 v13, v15, v14, v13 op_sel_hi:[0,1,0]
	global_load_b32 v14, v[7:8], off offset:28
	s_clause 0x1
	global_load_b32 v15, v[9:10], off offset:22
	global_load_u16 v16, v[9:10], off offset:26
	s_waitcnt vmcnt(2)
	v_and_b32_e32 v19, 0xf0f0f0f, v14
	v_lshrrev_b32_e32 v14, 4, v14
	s_waitcnt vmcnt(0)
	v_perm_b32 v16, v15, v16, 0x1000706
	s_delay_alu instid0(VALU_DEP_2) | instskip(NEXT) | instid1(VALU_DEP_2)
	v_and_b32_e32 v14, 0xf0f0f0f, v14
	v_ashrrev_i32_e32 v17, v48, v16
	s_delay_alu instid0(VALU_DEP_1) | instskip(SKIP_3) | instid1(VALU_DEP_4)
	v_lshlrev_b32_e32 v18, 4, v17
	v_lshlrev_b32_e32 v20, 11, v17
	;; [unrolled: 1-line block ×4, first 2 shown]
	v_and_b32_e32 v18, 16, v18
	s_delay_alu instid0(VALU_DEP_4) | instskip(NEXT) | instid1(VALU_DEP_4)
	v_and_b32_e32 v20, 0x1000, v20
	v_and_b32_e32 v21, 0x100000, v21
	s_delay_alu instid0(VALU_DEP_4) | instskip(NEXT) | instid1(VALU_DEP_1)
	v_and_b32_e32 v17, 0x10000000, v17
	v_or3_b32 v17, v17, v19, v21
	s_delay_alu instid0(VALU_DEP_1) | instskip(SKIP_1) | instid1(VALU_DEP_2)
	v_or3_b32 v17, v17, v18, v20
	v_ashrrev_i32_e32 v18, v191, v16
	v_dot4_i32_iu8 v17, v17, v27, 0 neg_lo:[1,1,0]
	s_delay_alu instid0(VALU_DEP_2)
	v_lshlrev_b32_e32 v19, 4, v18
	v_lshlrev_b32_e32 v21, 11, v18
	;; [unrolled: 1-line block ×4, first 2 shown]
	v_cvt_f32_i32_e32 v17, v17
	v_and_b32_e32 v19, 16, v19
	v_and_b32_e32 v21, 0x1000, v21
	;; [unrolled: 1-line block ×4, first 2 shown]
	v_fma_f32 v17, v2, v17, -v3
	s_delay_alu instid0(VALU_DEP_1) | instskip(SKIP_3) | instid1(VALU_DEP_1)
	v_fma_mix_f32 v13, v17, v15, v13 op_sel_hi:[0,1,0]
	global_load_b32 v17, v[7:8], off offset:36
	s_waitcnt vmcnt(0)
	v_and_b32_e32 v20, 0xf0f0f0f, v17
	v_or3_b32 v18, v18, v20, v22
	s_delay_alu instid0(VALU_DEP_1) | instskip(NEXT) | instid1(VALU_DEP_1)
	v_or3_b32 v18, v18, v19, v21
	v_dot4_i32_iu8 v18, v18, v28, 0 neg_lo:[1,1,0]
	s_delay_alu instid0(VALU_DEP_1) | instskip(NEXT) | instid1(VALU_DEP_1)
	v_cvt_f32_i32_e32 v18, v18
	v_fma_f32 v18, v2, v18, -v3
	s_delay_alu instid0(VALU_DEP_1) | instskip(SKIP_2) | instid1(VALU_DEP_2)
	v_fma_mix_f32 v13, v18, v15, v13 op_sel_hi:[0,1,0]
	v_ashrrev_i32_e32 v18, v192, v16
	v_ashrrev_i32_e32 v16, v193, v16
	v_lshlrev_b32_e32 v19, 4, v18
	v_lshlrev_b32_e32 v20, 11, v18
	;; [unrolled: 1-line block ×4, first 2 shown]
	s_delay_alu instid0(VALU_DEP_4) | instskip(NEXT) | instid1(VALU_DEP_4)
	v_and_b32_e32 v19, 16, v19
	v_and_b32_e32 v20, 0x1000, v20
	s_delay_alu instid0(VALU_DEP_4) | instskip(NEXT) | instid1(VALU_DEP_4)
	v_and_b32_e32 v21, 0x100000, v21
	v_and_b32_e32 v18, 0x10000000, v18
	s_delay_alu instid0(VALU_DEP_1) | instskip(SKIP_1) | instid1(VALU_DEP_2)
	v_or3_b32 v14, v18, v14, v21
	v_lshlrev_b32_e32 v18, 11, v16
	v_or3_b32 v14, v14, v19, v20
	v_lshlrev_b32_e32 v19, 18, v16
	s_delay_alu instid0(VALU_DEP_3) | instskip(NEXT) | instid1(VALU_DEP_3)
	v_and_b32_e32 v18, 0x1000, v18
	v_dot4_i32_iu8 v14, v14, v29, 0 neg_lo:[1,1,0]
	s_delay_alu instid0(VALU_DEP_3) | instskip(NEXT) | instid1(VALU_DEP_2)
	v_and_b32_e32 v19, 0x100000, v19
	v_cvt_f32_i32_e32 v14, v14
	s_delay_alu instid0(VALU_DEP_1) | instskip(NEXT) | instid1(VALU_DEP_1)
	v_fma_f32 v14, v2, v14, -v3
	v_fma_mix_f32 v13, v14, v15, v13 op_sel_hi:[0,1,0]
	v_lshrrev_b32_e32 v14, 4, v17
	v_lshlrev_b32_e32 v17, 4, v16
	v_lshlrev_b32_e32 v16, 25, v16
	s_delay_alu instid0(VALU_DEP_3) | instskip(NEXT) | instid1(VALU_DEP_3)
	v_and_b32_e32 v14, 0xf0f0f0f, v14
	v_and_b32_e32 v17, 16, v17
	s_delay_alu instid0(VALU_DEP_3) | instskip(NEXT) | instid1(VALU_DEP_1)
	v_and_b32_e32 v16, 0x10000000, v16
	v_or3_b32 v16, v19, v16, v17
	s_delay_alu instid0(VALU_DEP_1) | instskip(NEXT) | instid1(VALU_DEP_1)
	v_or3_b32 v14, v16, v18, v14
	v_dot4_i32_iu8 v14, v14, v30, 0 neg_lo:[1,1,0]
	s_delay_alu instid0(VALU_DEP_1) | instskip(NEXT) | instid1(VALU_DEP_1)
	v_cvt_f32_i32_e32 v14, v14
	v_fma_f32 v14, v2, v14, -v3
	s_delay_alu instid0(VALU_DEP_1)
	v_fma_mix_f32 v13, v14, v15, v13 op_sel_hi:[0,1,0]
	global_load_b32 v14, v[7:8], off offset:50
	s_clause 0x1
	global_load_b32 v15, v[9:10], off offset:44
	global_load_u16 v16, v[9:10], off offset:48
	s_waitcnt vmcnt(2)
	v_and_b32_e32 v19, 0xf0f0f0f, v14
	v_lshrrev_b32_e32 v14, 4, v14
	s_waitcnt vmcnt(0)
	v_perm_b32 v16, v15, v16, 0x1000706
	s_delay_alu instid0(VALU_DEP_2) | instskip(NEXT) | instid1(VALU_DEP_2)
	v_and_b32_e32 v14, 0xf0f0f0f, v14
	v_ashrrev_i32_e32 v17, v48, v16
	s_delay_alu instid0(VALU_DEP_1) | instskip(SKIP_3) | instid1(VALU_DEP_4)
	v_lshlrev_b32_e32 v18, 4, v17
	v_lshlrev_b32_e32 v20, 11, v17
	;; [unrolled: 1-line block ×4, first 2 shown]
	v_and_b32_e32 v18, 16, v18
	s_delay_alu instid0(VALU_DEP_4) | instskip(NEXT) | instid1(VALU_DEP_4)
	v_and_b32_e32 v20, 0x1000, v20
	v_and_b32_e32 v21, 0x100000, v21
	s_delay_alu instid0(VALU_DEP_4) | instskip(NEXT) | instid1(VALU_DEP_1)
	v_and_b32_e32 v17, 0x10000000, v17
	v_or3_b32 v17, v17, v19, v21
	s_delay_alu instid0(VALU_DEP_1) | instskip(SKIP_1) | instid1(VALU_DEP_2)
	v_or3_b32 v17, v17, v18, v20
	v_ashrrev_i32_e32 v18, v191, v16
	v_dot4_i32_iu8 v17, v17, v31, 0 neg_lo:[1,1,0]
	s_delay_alu instid0(VALU_DEP_2)
	v_lshlrev_b32_e32 v19, 4, v18
	v_lshlrev_b32_e32 v21, 11, v18
	;; [unrolled: 1-line block ×4, first 2 shown]
	v_cvt_f32_i32_e32 v17, v17
	v_and_b32_e32 v19, 16, v19
	v_and_b32_e32 v21, 0x1000, v21
	;; [unrolled: 1-line block ×4, first 2 shown]
	v_fma_f32 v17, v4, v17, -v5
	s_delay_alu instid0(VALU_DEP_1) | instskip(SKIP_3) | instid1(VALU_DEP_1)
	v_fma_mix_f32 v13, v17, v15, v13 op_sel_hi:[0,1,0]
	global_load_b32 v17, v[7:8], off offset:58
	s_waitcnt vmcnt(0)
	v_and_b32_e32 v20, 0xf0f0f0f, v17
	v_or3_b32 v18, v18, v20, v22
	s_delay_alu instid0(VALU_DEP_1) | instskip(NEXT) | instid1(VALU_DEP_1)
	v_or3_b32 v18, v18, v19, v21
	v_dot4_i32_iu8 v18, v18, v32, 0 neg_lo:[1,1,0]
	s_delay_alu instid0(VALU_DEP_1) | instskip(NEXT) | instid1(VALU_DEP_1)
	v_cvt_f32_i32_e32 v18, v18
	v_fma_f32 v18, v4, v18, -v5
	s_delay_alu instid0(VALU_DEP_1) | instskip(SKIP_2) | instid1(VALU_DEP_2)
	v_fma_mix_f32 v13, v18, v15, v13 op_sel_hi:[0,1,0]
	v_ashrrev_i32_e32 v18, v192, v16
	v_ashrrev_i32_e32 v16, v193, v16
	v_lshlrev_b32_e32 v19, 4, v18
	v_lshlrev_b32_e32 v20, 11, v18
	v_lshlrev_b32_e32 v21, 18, v18
	v_lshlrev_b32_e32 v18, 25, v18
	s_delay_alu instid0(VALU_DEP_4) | instskip(NEXT) | instid1(VALU_DEP_4)
	v_and_b32_e32 v19, 16, v19
	v_and_b32_e32 v20, 0x1000, v20
	s_delay_alu instid0(VALU_DEP_4) | instskip(NEXT) | instid1(VALU_DEP_4)
	v_and_b32_e32 v21, 0x100000, v21
	v_and_b32_e32 v18, 0x10000000, v18
	s_delay_alu instid0(VALU_DEP_1) | instskip(SKIP_1) | instid1(VALU_DEP_2)
	v_or3_b32 v14, v18, v14, v21
	v_lshlrev_b32_e32 v18, 11, v16
	v_or3_b32 v14, v14, v19, v20
	v_lshlrev_b32_e32 v19, 18, v16
	s_delay_alu instid0(VALU_DEP_3) | instskip(NEXT) | instid1(VALU_DEP_3)
	v_and_b32_e32 v18, 0x1000, v18
	v_dot4_i32_iu8 v14, v14, v33, 0 neg_lo:[1,1,0]
	s_delay_alu instid0(VALU_DEP_3) | instskip(NEXT) | instid1(VALU_DEP_2)
	v_and_b32_e32 v19, 0x100000, v19
	v_cvt_f32_i32_e32 v14, v14
	s_delay_alu instid0(VALU_DEP_1) | instskip(NEXT) | instid1(VALU_DEP_1)
	v_fma_f32 v14, v4, v14, -v5
	v_fma_mix_f32 v13, v14, v15, v13 op_sel_hi:[0,1,0]
	v_lshrrev_b32_e32 v14, 4, v17
	v_lshlrev_b32_e32 v17, 4, v16
	v_lshlrev_b32_e32 v16, 25, v16
	s_delay_alu instid0(VALU_DEP_3) | instskip(NEXT) | instid1(VALU_DEP_3)
	v_and_b32_e32 v14, 0xf0f0f0f, v14
	v_and_b32_e32 v17, 16, v17
	s_delay_alu instid0(VALU_DEP_3) | instskip(NEXT) | instid1(VALU_DEP_1)
	v_and_b32_e32 v16, 0x10000000, v16
	v_or3_b32 v16, v19, v16, v17
	s_delay_alu instid0(VALU_DEP_1) | instskip(NEXT) | instid1(VALU_DEP_1)
	v_or3_b32 v14, v16, v18, v14
	v_dot4_i32_iu8 v14, v14, v34, 0 neg_lo:[1,1,0]
	s_delay_alu instid0(VALU_DEP_1) | instskip(NEXT) | instid1(VALU_DEP_1)
	v_cvt_f32_i32_e32 v14, v14
	v_fma_f32 v14, v4, v14, -v5
	s_delay_alu instid0(VALU_DEP_1)
	v_fma_mix_f32 v14, v14, v15, v13 op_sel_hi:[0,1,0]
	global_load_b32 v15, v[7:8], off offset:72
	s_clause 0x1
	global_load_b32 v13, v[9:10], off offset:66
	global_load_u16 v9, v[9:10], off offset:70
	global_load_b32 v8, v[7:8], off offset:80
	s_waitcnt vmcnt(3)
	v_and_b32_e32 v17, 0xf0f0f0f, v15
	s_waitcnt vmcnt(1)
	v_perm_b32 v9, v13, v9, 0x1000706
	s_delay_alu instid0(VALU_DEP_1) | instskip(SKIP_1) | instid1(VALU_DEP_2)
	v_ashrrev_i32_e32 v10, v48, v9
	v_ashrrev_i32_e32 v7, v191, v9
	v_lshlrev_b32_e32 v16, 4, v10
	v_lshlrev_b32_e32 v18, 11, v10
	;; [unrolled: 1-line block ×4, first 2 shown]
	s_delay_alu instid0(VALU_DEP_4) | instskip(NEXT) | instid1(VALU_DEP_4)
	v_and_b32_e32 v16, 16, v16
	v_and_b32_e32 v18, 0x1000, v18
	s_delay_alu instid0(VALU_DEP_4) | instskip(NEXT) | instid1(VALU_DEP_4)
	v_and_b32_e32 v19, 0x100000, v19
	v_and_b32_e32 v10, 0x10000000, v10
	s_delay_alu instid0(VALU_DEP_1) | instskip(SKIP_1) | instid1(VALU_DEP_2)
	v_or3_b32 v10, v10, v17, v19
	v_lshlrev_b32_e32 v17, 11, v7
	v_or3_b32 v10, v10, v16, v18
	v_lshlrev_b32_e32 v18, 18, v7
	s_waitcnt vmcnt(0)
	v_and_b32_e32 v16, 0xf0f0f0f, v8
	v_and_b32_e32 v17, 0x1000, v17
	v_lshrrev_b32_e32 v8, 4, v8
	v_dot4_i32_iu8 v10, v10, v35, 0 neg_lo:[1,1,0]
	v_and_b32_e32 v18, 0x100000, v18
	s_delay_alu instid0(VALU_DEP_3) | instskip(NEXT) | instid1(VALU_DEP_3)
	v_and_b32_e32 v8, 0xf0f0f0f, v8
	v_cvt_f32_i32_e32 v10, v10
	s_delay_alu instid0(VALU_DEP_1) | instskip(NEXT) | instid1(VALU_DEP_1)
	v_fma_f32 v10, v6, v10, -v194
	v_fma_mix_f32 v10, v10, v13, v14 op_sel_hi:[0,1,0]
	v_lshlrev_b32_e32 v14, 4, v7
	v_lshlrev_b32_e32 v7, 25, v7
	s_delay_alu instid0(VALU_DEP_2) | instskip(NEXT) | instid1(VALU_DEP_2)
	v_and_b32_e32 v14, 16, v14
	v_and_b32_e32 v7, 0x10000000, v7
	s_delay_alu instid0(VALU_DEP_1) | instskip(NEXT) | instid1(VALU_DEP_1)
	v_or3_b32 v7, v7, v16, v18
	v_or3_b32 v7, v7, v14, v17
	v_ashrrev_i32_e32 v14, v192, v9
	v_ashrrev_i32_e32 v9, v193, v9
	s_delay_alu instid0(VALU_DEP_3) | instskip(NEXT) | instid1(VALU_DEP_3)
	v_dot4_i32_iu8 v7, v7, v36, 0 neg_lo:[1,1,0]
	v_lshlrev_b32_e32 v16, 11, v14
	v_lshlrev_b32_e32 v17, 18, v14
	s_delay_alu instid0(VALU_DEP_3) | instskip(NEXT) | instid1(VALU_DEP_3)
	v_cvt_f32_i32_e32 v7, v7
	v_and_b32_e32 v16, 0x1000, v16
	s_delay_alu instid0(VALU_DEP_3) | instskip(NEXT) | instid1(VALU_DEP_3)
	v_and_b32_e32 v17, 0x100000, v17
	v_fma_f32 v7, v6, v7, -v194
	s_delay_alu instid0(VALU_DEP_1) | instskip(SKIP_3) | instid1(VALU_DEP_3)
	v_fma_mix_f32 v7, v7, v13, v10 op_sel_hi:[0,1,0]
	v_lshrrev_b32_e32 v10, 4, v15
	v_lshlrev_b32_e32 v15, 4, v14
	v_lshlrev_b32_e32 v14, 25, v14
	v_and_b32_e32 v10, 0xf0f0f0f, v10
	s_delay_alu instid0(VALU_DEP_3) | instskip(NEXT) | instid1(VALU_DEP_3)
	v_and_b32_e32 v15, 16, v15
	v_and_b32_e32 v14, 0x10000000, v14
	s_delay_alu instid0(VALU_DEP_1) | instskip(SKIP_1) | instid1(VALU_DEP_2)
	v_or3_b32 v10, v14, v10, v17
	v_lshlrev_b32_e32 v14, 11, v9
	v_or3_b32 v10, v10, v15, v16
	v_lshlrev_b32_e32 v15, 18, v9
	s_delay_alu instid0(VALU_DEP_3) | instskip(NEXT) | instid1(VALU_DEP_3)
	v_and_b32_e32 v14, 0x1000, v14
	v_dot4_i32_iu8 v10, v10, v37, 0 neg_lo:[1,1,0]
	s_delay_alu instid0(VALU_DEP_3) | instskip(NEXT) | instid1(VALU_DEP_2)
	v_and_b32_e32 v15, 0x100000, v15
	v_cvt_f32_i32_e32 v10, v10
	s_delay_alu instid0(VALU_DEP_1) | instskip(NEXT) | instid1(VALU_DEP_1)
	v_fma_f32 v10, v6, v10, -v194
	v_fma_mix_f32 v7, v10, v13, v7 op_sel_hi:[0,1,0]
	v_lshlrev_b32_e32 v10, 4, v9
	v_lshlrev_b32_e32 v9, 25, v9
	s_delay_alu instid0(VALU_DEP_2) | instskip(NEXT) | instid1(VALU_DEP_2)
	v_and_b32_e32 v10, 16, v10
	v_and_b32_e32 v9, 0x10000000, v9
	s_delay_alu instid0(VALU_DEP_1) | instskip(NEXT) | instid1(VALU_DEP_1)
	v_or3_b32 v9, v15, v9, v10
	v_or3_b32 v8, v9, v14, v8
	s_delay_alu instid0(VALU_DEP_1) | instskip(NEXT) | instid1(VALU_DEP_1)
	v_dot4_i32_iu8 v8, v8, v38, 0 neg_lo:[1,1,0]
	v_cvt_f32_i32_e32 v8, v8
	s_delay_alu instid0(VALU_DEP_1) | instskip(NEXT) | instid1(VALU_DEP_1)
	v_fma_f32 v8, v6, v8, -v194
	v_fma_mix_f32 v7, v8, v13, v7 op_sel_hi:[0,1,0]
	ds_bpermute_b32 v8, v49, v7
	s_waitcnt lgkmcnt(0)
	v_add_f32_e32 v7, v7, v8
                                        ; implicit-def: $vgpr8
	s_delay_alu instid0(VALU_DEP_1) | instskip(NEXT) | instid1(VALU_DEP_1)
	v_cmp_ngt_f32_e64 s16, 0x3f200000, |v7|
	s_and_saveexec_b32 s18, s16
	s_delay_alu instid0(SALU_CYCLE_1)
	s_xor_b32 s16, exec_lo, s18
	s_cbranch_execz .LBB18_19
; %bb.18:                               ;   in Loop: Header=BB18_11 Depth=1
	v_add_f32_e64 v8, |v7|, |v7|
	s_delay_alu instid0(VALU_DEP_1) | instskip(SKIP_1) | instid1(VALU_DEP_2)
	v_mul_f32_e32 v9, 0x3fb8aa3b, v8
	v_cmp_ngt_f32_e32 vcc_lo, 0xc2ce8ed0, v8
	v_rndne_f32_e32 v10, v9
	v_fma_f32 v13, 0x3fb8aa3b, v8, -v9
	s_delay_alu instid0(VALU_DEP_2) | instskip(NEXT) | instid1(VALU_DEP_2)
	v_sub_f32_e32 v9, v9, v10
	v_fmac_f32_e32 v13, 0x32a5705f, v8
	v_cvt_i32_f32_e32 v10, v10
	s_delay_alu instid0(VALU_DEP_2) | instskip(NEXT) | instid1(VALU_DEP_1)
	v_add_f32_e32 v9, v9, v13
	v_exp_f32_e32 v9, v9
	s_waitcnt_depctr 0xfff
	v_ldexp_f32 v9, v9, v10
	s_delay_alu instid0(VALU_DEP_1) | instskip(SKIP_1) | instid1(VALU_DEP_2)
	v_cndmask_b32_e32 v9, 0, v9, vcc_lo
	v_cmp_nlt_f32_e32 vcc_lo, 0x42b17218, v8
	v_cndmask_b32_e32 v8, 0x7f800000, v9, vcc_lo
	s_delay_alu instid0(VALU_DEP_1) | instskip(NEXT) | instid1(VALU_DEP_1)
	v_add_f32_e32 v8, 1.0, v8
	v_rcp_f32_e32 v8, v8
	s_waitcnt_depctr 0xfff
	v_fma_f32 v8, v8, -2.0, 1.0
.LBB18_19:                              ;   in Loop: Header=BB18_11 Depth=1
	s_and_not1_saveexec_b32 s16, s16
; %bb.20:                               ;   in Loop: Header=BB18_11 Depth=1
	v_mul_f32_e32 v8, v7, v7
	s_delay_alu instid0(VALU_DEP_1) | instskip(NEXT) | instid1(VALU_DEP_1)
	v_fmaak_f32 v9, s9, v8, 0x3ca908c9
	v_fmaak_f32 v9, v8, v9, 0xbd5c1c4e
	s_delay_alu instid0(VALU_DEP_1) | instskip(NEXT) | instid1(VALU_DEP_1)
	v_fmaak_f32 v9, v8, v9, 0x3e088382
	v_fmaak_f32 v9, v8, v9, 0xbeaaaa99
	s_delay_alu instid0(VALU_DEP_1) | instskip(NEXT) | instid1(VALU_DEP_1)
	v_mul_f32_e64 v9, |v7|, v9
	v_fma_f32 v8, v8, v9, |v7|
; %bb.21:                               ;   in Loop: Header=BB18_11 Depth=1
	s_or_b32 exec_lo, exec_lo, s16
	s_delay_alu instid0(VALU_DEP_1) | instskip(SKIP_1) | instid1(VALU_DEP_1)
	v_bfi_b32 v7, 0x7fffffff, v8, v7
	s_and_not1_b32 vcc_lo, exec_lo, s7
	v_mul_f32_e32 v7, s41, v7
	s_cbranch_vccnz .LBB18_23
; %bb.22:                               ;   in Loop: Header=BB18_11 Depth=1
	global_load_u16 v8, v[39:40], off
	s_waitcnt vmcnt(0)
	v_fma_mix_f32 v7, v44, v8, v7 op_sel_hi:[0,1,0]
.LBB18_23:                              ;   in Loop: Header=BB18_11 Depth=1
	s_delay_alu instid0(VALU_DEP_1) | instskip(SKIP_2) | instid1(SALU_CYCLE_1)
	v_dual_add_f32 v8, 0x40051340, v12 :: v_dual_add_f32 v9, 0x40051340, v7
	v_cndmask_b32_e64 v7, v7, v12, s3
	s_add_i32 s8, s8, s4
	s_cmp_ge_i32 s8, s38
	s_delay_alu instid0(VALU_DEP_2) | instskip(SKIP_3) | instid1(VALU_DEP_1)
	v_max3_f32 v8, v11, v8, v9
	ds_bpermute_b32 v9, v50, v8
	s_waitcnt lgkmcnt(0)
	v_max_f32_e32 v9, v9, v9
	v_max_f32_e32 v8, v8, v9
	ds_bpermute_b32 v9, v51, v8
	s_waitcnt lgkmcnt(0)
	v_max_f32_e32 v9, v9, v9
	s_delay_alu instid0(VALU_DEP_1) | instskip(SKIP_3) | instid1(VALU_DEP_1)
	v_max_f32_e32 v8, v8, v9
	ds_bpermute_b32 v9, v52, v8
	s_waitcnt lgkmcnt(0)
	v_max_f32_e32 v9, v9, v9
	v_max_f32_e32 v8, v8, v9
	ds_bpermute_b32 v9, v53, v8
	s_waitcnt lgkmcnt(0)
	v_max_f32_e32 v9, v9, v9
	s_delay_alu instid0(VALU_DEP_1) | instskip(NEXT) | instid1(VALU_DEP_1)
	v_max_f32_e32 v200, v8, v9
	v_sub_f32_e32 v8, v11, v200
	s_delay_alu instid0(VALU_DEP_1) | instskip(SKIP_2) | instid1(VALU_DEP_3)
	v_mul_f32_e32 v9, 0x3fb8aa3b, v8
	v_cmp_ngt_f32_e32 vcc_lo, 0xc2ce8ed0, v8
	v_sub_f32_e32 v7, v7, v200
	v_fma_f32 v10, 0x3fb8aa3b, v8, -v9
	v_rndne_f32_e32 v11, v9
	s_delay_alu instid0(VALU_DEP_1) | instskip(NEXT) | instid1(VALU_DEP_1)
	v_dual_fmac_f32 v10, 0x32a5705f, v8 :: v_dual_sub_f32 v9, v9, v11
	v_add_f32_e32 v9, v9, v10
	v_cvt_i32_f32_e32 v10, v11
	s_delay_alu instid0(VALU_DEP_2) | instskip(SKIP_2) | instid1(VALU_DEP_1)
	v_exp_f32_e32 v9, v9
	s_waitcnt_depctr 0xfff
	v_ldexp_f32 v9, v9, v10
	v_cndmask_b32_e32 v9, 0, v9, vcc_lo
	v_cmp_nlt_f32_e32 vcc_lo, 0x42b17218, v8
	v_mul_f32_e32 v8, 0x3fb8aa3b, v7
	s_delay_alu instid0(VALU_DEP_3) | instskip(NEXT) | instid1(VALU_DEP_2)
	v_cndmask_b32_e32 v201, 0x7f800000, v9, vcc_lo
	v_fma_f32 v9, 0x3fb8aa3b, v7, -v8
	v_rndne_f32_e32 v10, v8
	v_cmp_ngt_f32_e32 vcc_lo, 0xc2ce8ed0, v7
	s_delay_alu instid0(VALU_DEP_2) | instskip(NEXT) | instid1(VALU_DEP_1)
	v_dual_fmac_f32 v9, 0x32a5705f, v7 :: v_dual_sub_f32 v8, v8, v10
	v_add_f32_e32 v8, v8, v9
	v_cvt_i32_f32_e32 v9, v10
	s_delay_alu instid0(VALU_DEP_2) | instskip(SKIP_2) | instid1(VALU_DEP_1)
	v_exp_f32_e32 v8, v8
	s_waitcnt_depctr 0xfff
	v_ldexp_f32 v8, v8, v9
	v_cndmask_b32_e32 v8, 0, v8, vcc_lo
	v_cmp_nlt_f32_e32 vcc_lo, 0x42b17218, v7
	s_delay_alu instid0(VALU_DEP_2) | instskip(SKIP_3) | instid1(VALU_DEP_4)
	v_cndmask_b32_e32 v199, 0x7f800000, v8, vcc_lo
	v_add_co_u32 v202, vcc_lo, v59, s15
	v_add_co_ci_u32_e32 v203, vcc_lo, 0, v60, vcc_lo
	v_add_co_u32 v204, vcc_lo, v61, s15
	v_cvt_f16_f32_e64 v7, v199
	v_add_co_ci_u32_e32 v205, vcc_lo, 0, v62, vcc_lo
	ds_store_b16 v46, v7
	ds_load_b128 v[19:22], v54
	ds_load_b128 v[15:18], v54 offset:16
	ds_load_b128 v[11:14], v54 offset:32
	;; [unrolled: 1-line block ×3, first 2 shown]
	global_load_b32 v204, v[204:205], off
	global_load_b32 v202, v[202:203], off
	s_waitcnt vmcnt(1)
	v_ashrrev_i32_e32 v204, v195, v204
	s_delay_alu instid0(VALU_DEP_1) | instskip(SKIP_3) | instid1(VALU_DEP_4)
	v_lshrrev_b32_e32 v207, 8, v204
	v_and_b32_e32 v205, 15, v204
	v_lshrrev_b32_e32 v208, 16, v204
	v_bfe_u32 v204, v204, 24, 4
	v_and_b32_e32 v207, 15, v207
	s_delay_alu instid0(VALU_DEP_4) | instskip(NEXT) | instid1(VALU_DEP_4)
	v_cvt_f16_u16_e64 v203, v205
	v_and_b32_e32 v208, 15, v208
	s_delay_alu instid0(VALU_DEP_4) | instskip(SKIP_2) | instid1(VALU_DEP_1)
	v_cvt_f16_u16_e64 v204, v204
	v_cvt_f16_f32_e64 v206, v201
	v_cvt_f16_u16_e64 v205, v207
	v_pack_b32_f16 v203, v203, v205
	v_cvt_f16_u16_e64 v205, v208
	s_waitcnt vmcnt(0)
	s_delay_alu instid0(VALU_DEP_2) | instskip(NEXT) | instid1(VALU_DEP_2)
	v_pk_fma_f16 v203, v202, v203, v202 op_sel:[0,0,1] op_sel_hi:[0,1,1]
	v_pack_b32_f16 v204, v205, v204
	s_waitcnt lgkmcnt(3)
	s_delay_alu instid0(VALU_DEP_2) | instskip(NEXT) | instid1(VALU_DEP_2)
	v_pk_mul_f16 v203, v19, v203 op_sel_hi:[0,1]
	v_pk_fma_f16 v202, v202, v204, v202 op_sel:[0,0,1] op_sel_hi:[0,1,1]
	s_delay_alu instid0(VALU_DEP_2) | instskip(NEXT) | instid1(VALU_DEP_2)
	v_pk_fma_f16 v204, v206, v197, v203 op_sel_hi:[0,1,1]
	v_pk_mul_f16 v197, v19, v202 op_sel_hi:[0,1]
	s_delay_alu instid0(VALU_DEP_1)
	v_pk_fma_f16 v205, v206, v198, v197 op_sel_hi:[0,1,1]
	v_add_co_u32 v197, vcc_lo, v63, s15
	v_add_co_ci_u32_e32 v198, vcc_lo, 0, v64, vcc_lo
	v_add_co_u32 v202, vcc_lo, v65, s15
	v_add_co_ci_u32_e32 v203, vcc_lo, 0, v66, vcc_lo
	global_load_b32 v197, v[197:198], off
	global_load_b32 v202, v[202:203], off
	s_waitcnt vmcnt(0)
	v_ashrrev_i32_e32 v202, v195, v202
	s_delay_alu instid0(VALU_DEP_1) | instskip(SKIP_3) | instid1(VALU_DEP_4)
	v_lshrrev_b32_e32 v206, 8, v202
	v_and_b32_e32 v203, 15, v202
	v_lshrrev_b32_e32 v207, 16, v202
	v_bfe_u32 v202, v202, 24, 4
	v_and_b32_e32 v206, 15, v206
	s_delay_alu instid0(VALU_DEP_4) | instskip(NEXT) | instid1(VALU_DEP_4)
	v_cvt_f16_u16_e64 v198, v203
	v_and_b32_e32 v207, 15, v207
	s_delay_alu instid0(VALU_DEP_4) | instskip(NEXT) | instid1(VALU_DEP_4)
	v_cvt_f16_u16_e64 v202, v202
	v_cvt_f16_u16_e64 v203, v206
	s_delay_alu instid0(VALU_DEP_1) | instskip(NEXT) | instid1(VALU_DEP_4)
	v_pack_b32_f16 v198, v198, v203
	v_cvt_f16_u16_e64 v203, v207
	s_delay_alu instid0(VALU_DEP_2) | instskip(NEXT) | instid1(VALU_DEP_2)
	v_pk_fma_f16 v198, v197, v198, v197 op_sel:[0,0,1] op_sel_hi:[0,1,1]
	v_pack_b32_f16 v202, v203, v202
	s_delay_alu instid0(VALU_DEP_2) | instskip(NEXT) | instid1(VALU_DEP_2)
	v_pk_fma_f16 v204, v19, v198, v204 op_sel:[1,0,0]
	v_pk_fma_f16 v197, v197, v202, v197 op_sel:[0,0,1] op_sel_hi:[0,1,1]
	s_delay_alu instid0(VALU_DEP_1)
	v_pk_fma_f16 v19, v19, v197, v205 op_sel:[1,0,0]
	v_add_co_u32 v197, vcc_lo, v67, s15
	v_add_co_ci_u32_e32 v198, vcc_lo, 0, v68, vcc_lo
	v_add_co_u32 v202, vcc_lo, v69, s15
	v_add_co_ci_u32_e32 v203, vcc_lo, 0, v70, vcc_lo
	global_load_b32 v197, v[197:198], off
	global_load_b32 v202, v[202:203], off
	s_waitcnt vmcnt(0)
	v_ashrrev_i32_e32 v202, v195, v202
	s_delay_alu instid0(VALU_DEP_1) | instskip(SKIP_3) | instid1(VALU_DEP_4)
	v_lshrrev_b32_e32 v205, 8, v202
	v_and_b32_e32 v203, 15, v202
	v_lshrrev_b32_e32 v206, 16, v202
	v_bfe_u32 v202, v202, 24, 4
	v_and_b32_e32 v205, 15, v205
	s_delay_alu instid0(VALU_DEP_4) | instskip(NEXT) | instid1(VALU_DEP_4)
	v_cvt_f16_u16_e64 v198, v203
	v_and_b32_e32 v206, 15, v206
	s_delay_alu instid0(VALU_DEP_4) | instskip(SKIP_2) | instid1(VALU_DEP_1)
	v_cvt_f16_u16_e64 v202, v202
	v_fmac_f32_e32 v199, v196, v201
	v_cvt_f16_u16_e64 v203, v205
	v_pack_b32_f16 v198, v198, v203
	v_cvt_f16_u16_e64 v203, v206
	s_delay_alu instid0(VALU_DEP_2) | instskip(NEXT) | instid1(VALU_DEP_2)
	v_pk_fma_f16 v198, v197, v198, v197 op_sel:[0,0,1] op_sel_hi:[0,1,1]
	v_pack_b32_f16 v202, v203, v202
	s_delay_alu instid0(VALU_DEP_2) | instskip(NEXT) | instid1(VALU_DEP_2)
	v_pk_fma_f16 v204, v20, v198, v204 op_sel_hi:[0,1,1]
	v_pk_fma_f16 v197, v197, v202, v197 op_sel:[0,0,1] op_sel_hi:[0,1,1]
	s_delay_alu instid0(VALU_DEP_1)
	v_pk_fma_f16 v19, v20, v197, v19 op_sel_hi:[0,1,1]
	v_add_co_u32 v197, vcc_lo, v71, s15
	v_add_co_ci_u32_e32 v198, vcc_lo, 0, v72, vcc_lo
	v_add_co_u32 v202, vcc_lo, v73, s15
	v_add_co_ci_u32_e32 v203, vcc_lo, 0, v74, vcc_lo
	global_load_b32 v197, v[197:198], off
	global_load_b32 v202, v[202:203], off
	s_waitcnt vmcnt(0)
	v_ashrrev_i32_e32 v202, v195, v202
	s_delay_alu instid0(VALU_DEP_1) | instskip(SKIP_3) | instid1(VALU_DEP_4)
	v_lshrrev_b32_e32 v205, 8, v202
	v_and_b32_e32 v203, 15, v202
	v_lshrrev_b32_e32 v206, 16, v202
	v_bfe_u32 v202, v202, 24, 4
	v_and_b32_e32 v205, 15, v205
	s_delay_alu instid0(VALU_DEP_4) | instskip(NEXT) | instid1(VALU_DEP_4)
	v_cvt_f16_u16_e64 v198, v203
	v_and_b32_e32 v206, 15, v206
	s_delay_alu instid0(VALU_DEP_4) | instskip(NEXT) | instid1(VALU_DEP_4)
	v_cvt_f16_u16_e64 v202, v202
	v_cvt_f16_u16_e64 v203, v205
	s_delay_alu instid0(VALU_DEP_1) | instskip(NEXT) | instid1(VALU_DEP_4)
	v_pack_b32_f16 v198, v198, v203
	v_cvt_f16_u16_e64 v203, v206
	s_delay_alu instid0(VALU_DEP_2) | instskip(NEXT) | instid1(VALU_DEP_2)
	v_pk_fma_f16 v198, v197, v198, v197 op_sel:[0,0,1] op_sel_hi:[0,1,1]
	v_pack_b32_f16 v202, v203, v202
	s_delay_alu instid0(VALU_DEP_1) | instskip(NEXT) | instid1(VALU_DEP_3)
	v_pk_fma_f16 v197, v197, v202, v197 op_sel:[0,0,1] op_sel_hi:[0,1,1]
	v_pk_fma_f16 v202, v20, v198, v204 op_sel:[1,0,0]
	s_delay_alu instid0(VALU_DEP_2)
	v_pk_fma_f16 v203, v20, v197, v19 op_sel:[1,0,0]
	v_add_co_u32 v19, vcc_lo, v77, s15
	v_add_co_ci_u32_e32 v20, vcc_lo, 0, v78, vcc_lo
	v_add_co_u32 v197, vcc_lo, v79, s15
	v_add_co_ci_u32_e32 v198, vcc_lo, 0, v80, vcc_lo
	global_load_b32 v19, v[19:20], off
	global_load_b32 v197, v[197:198], off
	s_waitcnt vmcnt(0)
	v_ashrrev_i32_e32 v197, v195, v197
	s_delay_alu instid0(VALU_DEP_1) | instskip(SKIP_3) | instid1(VALU_DEP_4)
	v_lshrrev_b32_e32 v204, 8, v197
	v_and_b32_e32 v198, 15, v197
	v_lshrrev_b32_e32 v205, 16, v197
	v_bfe_u32 v197, v197, 24, 4
	v_and_b32_e32 v204, 15, v204
	s_delay_alu instid0(VALU_DEP_4) | instskip(NEXT) | instid1(VALU_DEP_4)
	v_cvt_f16_u16_e64 v20, v198
	v_and_b32_e32 v205, 15, v205
	s_delay_alu instid0(VALU_DEP_4) | instskip(NEXT) | instid1(VALU_DEP_4)
	v_cvt_f16_u16_e64 v197, v197
	v_cvt_f16_u16_e64 v198, v204
	s_delay_alu instid0(VALU_DEP_1) | instskip(NEXT) | instid1(VALU_DEP_4)
	v_pack_b32_f16 v20, v20, v198
	v_cvt_f16_u16_e64 v198, v205
	s_delay_alu instid0(VALU_DEP_2) | instskip(NEXT) | instid1(VALU_DEP_2)
	v_pk_fma_f16 v20, v19, v20, v19 op_sel:[0,0,1] op_sel_hi:[0,1,1]
	v_pack_b32_f16 v197, v198, v197
	s_delay_alu instid0(VALU_DEP_2) | instskip(NEXT) | instid1(VALU_DEP_2)
	v_pk_fma_f16 v202, v21, v20, v202 op_sel_hi:[0,1,1]
	v_pk_fma_f16 v19, v19, v197, v19 op_sel:[0,0,1] op_sel_hi:[0,1,1]
	s_delay_alu instid0(VALU_DEP_1)
	v_pk_fma_f16 v203, v21, v19, v203 op_sel_hi:[0,1,1]
	v_add_co_u32 v19, vcc_lo, v81, s15
	v_add_co_ci_u32_e32 v20, vcc_lo, 0, v82, vcc_lo
	v_add_co_u32 v197, vcc_lo, v83, s15
	v_add_co_ci_u32_e32 v198, vcc_lo, 0, v84, vcc_lo
	global_load_b32 v19, v[19:20], off
	global_load_b32 v197, v[197:198], off
	s_waitcnt vmcnt(0)
	v_ashrrev_i32_e32 v197, v195, v197
	s_delay_alu instid0(VALU_DEP_1) | instskip(SKIP_3) | instid1(VALU_DEP_4)
	v_lshrrev_b32_e32 v204, 8, v197
	v_and_b32_e32 v198, 15, v197
	v_lshrrev_b32_e32 v205, 16, v197
	v_bfe_u32 v197, v197, 24, 4
	v_and_b32_e32 v204, 15, v204
	s_delay_alu instid0(VALU_DEP_4) | instskip(NEXT) | instid1(VALU_DEP_4)
	v_cvt_f16_u16_e64 v20, v198
	v_and_b32_e32 v205, 15, v205
	s_delay_alu instid0(VALU_DEP_4) | instskip(NEXT) | instid1(VALU_DEP_4)
	v_cvt_f16_u16_e64 v197, v197
	v_cvt_f16_u16_e64 v198, v204
	s_delay_alu instid0(VALU_DEP_1) | instskip(NEXT) | instid1(VALU_DEP_4)
	v_pack_b32_f16 v20, v20, v198
	v_cvt_f16_u16_e64 v198, v205
	s_delay_alu instid0(VALU_DEP_2) | instskip(NEXT) | instid1(VALU_DEP_2)
	v_pk_fma_f16 v20, v19, v20, v19 op_sel:[0,0,1] op_sel_hi:[0,1,1]
	v_pack_b32_f16 v197, v198, v197
	s_delay_alu instid0(VALU_DEP_2) | instskip(NEXT) | instid1(VALU_DEP_2)
	v_pk_fma_f16 v202, v21, v20, v202 op_sel:[1,0,0]
	v_pk_fma_f16 v19, v19, v197, v19 op_sel:[0,0,1] op_sel_hi:[0,1,1]
	s_delay_alu instid0(VALU_DEP_1)
	v_pk_fma_f16 v21, v21, v19, v203 op_sel:[1,0,0]
	v_add_co_u32 v19, vcc_lo, v85, s15
	v_add_co_ci_u32_e32 v20, vcc_lo, 0, v86, vcc_lo
	v_add_co_u32 v197, vcc_lo, v89, s15
	v_add_co_ci_u32_e32 v198, vcc_lo, 0, v90, vcc_lo
	global_load_b32 v19, v[19:20], off
	global_load_b32 v197, v[197:198], off
	s_waitcnt vmcnt(0)
	v_ashrrev_i32_e32 v197, v195, v197
	s_delay_alu instid0(VALU_DEP_1) | instskip(SKIP_3) | instid1(VALU_DEP_4)
	v_lshrrev_b32_e32 v203, 8, v197
	v_and_b32_e32 v198, 15, v197
	v_lshrrev_b32_e32 v204, 16, v197
	v_bfe_u32 v197, v197, 24, 4
	v_and_b32_e32 v203, 15, v203
	s_delay_alu instid0(VALU_DEP_4) | instskip(NEXT) | instid1(VALU_DEP_4)
	v_cvt_f16_u16_e64 v20, v198
	v_and_b32_e32 v204, 15, v204
	s_delay_alu instid0(VALU_DEP_4) | instskip(NEXT) | instid1(VALU_DEP_4)
	v_cvt_f16_u16_e64 v197, v197
	v_cvt_f16_u16_e64 v198, v203
	s_delay_alu instid0(VALU_DEP_1) | instskip(NEXT) | instid1(VALU_DEP_4)
	v_pack_b32_f16 v20, v20, v198
	v_cvt_f16_u16_e64 v198, v204
	s_delay_alu instid0(VALU_DEP_2) | instskip(NEXT) | instid1(VALU_DEP_2)
	v_pk_fma_f16 v20, v19, v20, v19 op_sel:[0,0,1] op_sel_hi:[0,1,1]
	v_pack_b32_f16 v197, v198, v197
	s_delay_alu instid0(VALU_DEP_2) | instskip(NEXT) | instid1(VALU_DEP_2)
	v_pk_fma_f16 v202, v22, v20, v202 op_sel_hi:[0,1,1]
	v_pk_fma_f16 v19, v19, v197, v19 op_sel:[0,0,1] op_sel_hi:[0,1,1]
	s_delay_alu instid0(VALU_DEP_1)
	v_pk_fma_f16 v21, v22, v19, v21 op_sel_hi:[0,1,1]
	v_add_co_u32 v19, vcc_lo, v91, s15
	v_add_co_ci_u32_e32 v20, vcc_lo, 0, v92, vcc_lo
	v_add_co_u32 v197, vcc_lo, v93, s15
	v_add_co_ci_u32_e32 v198, vcc_lo, 0, v94, vcc_lo
	global_load_b32 v19, v[19:20], off
	global_load_b32 v197, v[197:198], off
	s_waitcnt vmcnt(0)
	v_ashrrev_i32_e32 v197, v195, v197
	s_delay_alu instid0(VALU_DEP_1) | instskip(SKIP_3) | instid1(VALU_DEP_4)
	v_lshrrev_b32_e32 v203, 8, v197
	v_and_b32_e32 v198, 15, v197
	v_lshrrev_b32_e32 v204, 16, v197
	v_bfe_u32 v197, v197, 24, 4
	v_and_b32_e32 v203, 15, v203
	s_delay_alu instid0(VALU_DEP_4) | instskip(NEXT) | instid1(VALU_DEP_4)
	v_cvt_f16_u16_e64 v20, v198
	v_and_b32_e32 v204, 15, v204
	s_delay_alu instid0(VALU_DEP_4) | instskip(NEXT) | instid1(VALU_DEP_4)
	v_cvt_f16_u16_e64 v197, v197
	v_cvt_f16_u16_e64 v198, v203
	s_delay_alu instid0(VALU_DEP_1) | instskip(NEXT) | instid1(VALU_DEP_4)
	v_pack_b32_f16 v20, v20, v198
	v_cvt_f16_u16_e64 v198, v204
	s_delay_alu instid0(VALU_DEP_2) | instskip(NEXT) | instid1(VALU_DEP_2)
	v_pk_fma_f16 v20, v19, v20, v19 op_sel:[0,0,1] op_sel_hi:[0,1,1]
	v_pack_b32_f16 v197, v198, v197
	s_delay_alu instid0(VALU_DEP_1) | instskip(NEXT) | instid1(VALU_DEP_3)
	v_pk_fma_f16 v19, v19, v197, v19 op_sel:[0,0,1] op_sel_hi:[0,1,1]
	v_pk_fma_f16 v197, v22, v20, v202 op_sel:[1,0,0]
	s_delay_alu instid0(VALU_DEP_2)
	v_pk_fma_f16 v198, v22, v19, v21 op_sel:[1,0,0]
	v_add_co_u32 v19, vcc_lo, v189, s15
	v_add_co_ci_u32_e32 v20, vcc_lo, 0, v190, vcc_lo
	v_add_co_u32 v21, vcc_lo, v187, s15
	v_add_co_ci_u32_e32 v22, vcc_lo, 0, v188, vcc_lo
	global_load_b32 v19, v[19:20], off
	global_load_b32 v21, v[21:22], off
	s_waitcnt vmcnt(0)
	v_ashrrev_i32_e32 v21, v195, v21
	s_delay_alu instid0(VALU_DEP_1) | instskip(SKIP_3) | instid1(VALU_DEP_4)
	v_lshrrev_b32_e32 v202, 8, v21
	v_and_b32_e32 v22, 15, v21
	v_lshrrev_b32_e32 v203, 16, v21
	v_bfe_u32 v21, v21, 24, 4
	v_and_b32_e32 v202, 15, v202
	s_delay_alu instid0(VALU_DEP_4) | instskip(NEXT) | instid1(VALU_DEP_4)
	v_cvt_f16_u16_e32 v20, v22
	v_and_b32_e32 v203, 15, v203
	s_delay_alu instid0(VALU_DEP_4) | instskip(NEXT) | instid1(VALU_DEP_4)
	v_cvt_f16_u16_e32 v21, v21
	v_cvt_f16_u16_e64 v22, v202
	s_delay_alu instid0(VALU_DEP_1) | instskip(NEXT) | instid1(VALU_DEP_4)
	v_pack_b32_f16 v20, v20, v22
	v_cvt_f16_u16_e64 v22, v203
	s_delay_alu instid0(VALU_DEP_2) | instskip(NEXT) | instid1(VALU_DEP_2)
	v_pk_fma_f16 v20, v19, v20, v19 op_sel:[0,0,1] op_sel_hi:[0,1,1]
	v_pack_b32_f16 v21, v22, v21
	s_waitcnt lgkmcnt(2)
	s_delay_alu instid0(VALU_DEP_2) | instskip(NEXT) | instid1(VALU_DEP_2)
	v_pk_fma_f16 v197, v15, v20, v197 op_sel_hi:[0,1,1]
	v_pk_fma_f16 v19, v19, v21, v19 op_sel:[0,0,1] op_sel_hi:[0,1,1]
	s_delay_alu instid0(VALU_DEP_1)
	v_pk_fma_f16 v198, v15, v19, v198 op_sel_hi:[0,1,1]
	v_add_co_u32 v19, vcc_lo, v185, s15
	v_add_co_ci_u32_e32 v20, vcc_lo, 0, v186, vcc_lo
	v_add_co_u32 v21, vcc_lo, v183, s15
	v_add_co_ci_u32_e32 v22, vcc_lo, 0, v184, vcc_lo
	global_load_b32 v19, v[19:20], off
	global_load_b32 v21, v[21:22], off
	s_waitcnt vmcnt(0)
	v_ashrrev_i32_e32 v21, v195, v21
	s_delay_alu instid0(VALU_DEP_1) | instskip(SKIP_3) | instid1(VALU_DEP_4)
	v_lshrrev_b32_e32 v202, 8, v21
	v_and_b32_e32 v22, 15, v21
	v_lshrrev_b32_e32 v203, 16, v21
	v_bfe_u32 v21, v21, 24, 4
	v_and_b32_e32 v202, 15, v202
	s_delay_alu instid0(VALU_DEP_4) | instskip(NEXT) | instid1(VALU_DEP_4)
	v_cvt_f16_u16_e32 v20, v22
	v_and_b32_e32 v203, 15, v203
	s_delay_alu instid0(VALU_DEP_4) | instskip(NEXT) | instid1(VALU_DEP_4)
	v_cvt_f16_u16_e32 v21, v21
	v_cvt_f16_u16_e64 v22, v202
	s_delay_alu instid0(VALU_DEP_1) | instskip(NEXT) | instid1(VALU_DEP_4)
	v_pack_b32_f16 v20, v20, v22
	v_cvt_f16_u16_e64 v22, v203
	s_delay_alu instid0(VALU_DEP_2) | instskip(NEXT) | instid1(VALU_DEP_2)
	v_pk_fma_f16 v20, v19, v20, v19 op_sel:[0,0,1] op_sel_hi:[0,1,1]
	v_pack_b32_f16 v21, v22, v21
	s_delay_alu instid0(VALU_DEP_2) | instskip(NEXT) | instid1(VALU_DEP_2)
	v_pk_fma_f16 v197, v15, v20, v197 op_sel:[1,0,0]
	v_pk_fma_f16 v19, v19, v21, v19 op_sel:[0,0,1] op_sel_hi:[0,1,1]
	s_delay_alu instid0(VALU_DEP_1)
	v_pk_fma_f16 v15, v15, v19, v198 op_sel:[1,0,0]
	v_add_co_u32 v19, vcc_lo, v181, s15
	v_add_co_ci_u32_e32 v20, vcc_lo, 0, v182, vcc_lo
	v_add_co_u32 v21, vcc_lo, v179, s15
	v_add_co_ci_u32_e32 v22, vcc_lo, 0, v180, vcc_lo
	global_load_b32 v19, v[19:20], off
	global_load_b32 v21, v[21:22], off
	s_waitcnt vmcnt(0)
	v_ashrrev_i32_e32 v21, v195, v21
	s_delay_alu instid0(VALU_DEP_1) | instskip(SKIP_3) | instid1(VALU_DEP_4)
	v_lshrrev_b32_e32 v198, 8, v21
	v_and_b32_e32 v22, 15, v21
	v_lshrrev_b32_e32 v202, 16, v21
	v_bfe_u32 v21, v21, 24, 4
	v_and_b32_e32 v198, 15, v198
	s_delay_alu instid0(VALU_DEP_4) | instskip(NEXT) | instid1(VALU_DEP_4)
	v_cvt_f16_u16_e32 v20, v22
	v_and_b32_e32 v202, 15, v202
	s_delay_alu instid0(VALU_DEP_4) | instskip(NEXT) | instid1(VALU_DEP_4)
	v_cvt_f16_u16_e32 v21, v21
	v_cvt_f16_u16_e64 v22, v198
	s_delay_alu instid0(VALU_DEP_1) | instskip(NEXT) | instid1(VALU_DEP_4)
	v_pack_b32_f16 v20, v20, v22
	v_cvt_f16_u16_e64 v22, v202
	s_delay_alu instid0(VALU_DEP_2) | instskip(NEXT) | instid1(VALU_DEP_2)
	v_pk_fma_f16 v20, v19, v20, v19 op_sel:[0,0,1] op_sel_hi:[0,1,1]
	v_pack_b32_f16 v21, v22, v21
	s_delay_alu instid0(VALU_DEP_2) | instskip(NEXT) | instid1(VALU_DEP_2)
	v_pk_fma_f16 v197, v16, v20, v197 op_sel_hi:[0,1,1]
	v_pk_fma_f16 v19, v19, v21, v19 op_sel:[0,0,1] op_sel_hi:[0,1,1]
	s_delay_alu instid0(VALU_DEP_1)
	v_pk_fma_f16 v15, v16, v19, v15 op_sel_hi:[0,1,1]
	v_add_co_u32 v19, vcc_lo, v177, s15
	v_add_co_ci_u32_e32 v20, vcc_lo, 0, v178, vcc_lo
	v_add_co_u32 v21, vcc_lo, v175, s15
	v_add_co_ci_u32_e32 v22, vcc_lo, 0, v176, vcc_lo
	global_load_b32 v19, v[19:20], off
	global_load_b32 v21, v[21:22], off
	s_waitcnt vmcnt(0)
	v_ashrrev_i32_e32 v21, v195, v21
	s_delay_alu instid0(VALU_DEP_1) | instskip(SKIP_3) | instid1(VALU_DEP_4)
	v_lshrrev_b32_e32 v198, 8, v21
	v_and_b32_e32 v22, 15, v21
	v_lshrrev_b32_e32 v202, 16, v21
	v_bfe_u32 v21, v21, 24, 4
	v_and_b32_e32 v198, 15, v198
	s_delay_alu instid0(VALU_DEP_4) | instskip(NEXT) | instid1(VALU_DEP_4)
	v_cvt_f16_u16_e32 v20, v22
	v_and_b32_e32 v202, 15, v202
	s_delay_alu instid0(VALU_DEP_4) | instskip(NEXT) | instid1(VALU_DEP_4)
	v_cvt_f16_u16_e32 v21, v21
	v_cvt_f16_u16_e64 v22, v198
	s_delay_alu instid0(VALU_DEP_1) | instskip(NEXT) | instid1(VALU_DEP_4)
	v_pack_b32_f16 v20, v20, v22
	v_cvt_f16_u16_e64 v22, v202
	s_delay_alu instid0(VALU_DEP_2) | instskip(NEXT) | instid1(VALU_DEP_2)
	v_pk_fma_f16 v20, v19, v20, v19 op_sel:[0,0,1] op_sel_hi:[0,1,1]
	v_pack_b32_f16 v21, v22, v21
	s_delay_alu instid0(VALU_DEP_1) | instskip(NEXT) | instid1(VALU_DEP_3)
	v_pk_fma_f16 v19, v19, v21, v19 op_sel:[0,0,1] op_sel_hi:[0,1,1]
	v_pk_fma_f16 v21, v16, v20, v197 op_sel:[1,0,0]
	s_delay_alu instid0(VALU_DEP_2)
	v_pk_fma_f16 v22, v16, v19, v15 op_sel:[1,0,0]
	v_add_co_u32 v15, vcc_lo, v173, s15
	v_add_co_ci_u32_e32 v16, vcc_lo, 0, v174, vcc_lo
	v_add_co_u32 v19, vcc_lo, v171, s15
	v_add_co_ci_u32_e32 v20, vcc_lo, 0, v172, vcc_lo
	global_load_b32 v15, v[15:16], off
	global_load_b32 v19, v[19:20], off
	s_waitcnt vmcnt(0)
	v_ashrrev_i32_e32 v19, v195, v19
	s_delay_alu instid0(VALU_DEP_1) | instskip(SKIP_3) | instid1(VALU_DEP_4)
	v_lshrrev_b32_e32 v197, 8, v19
	v_and_b32_e32 v20, 15, v19
	v_lshrrev_b32_e32 v198, 16, v19
	v_bfe_u32 v19, v19, 24, 4
	v_and_b32_e32 v197, 15, v197
	s_delay_alu instid0(VALU_DEP_4) | instskip(NEXT) | instid1(VALU_DEP_4)
	v_cvt_f16_u16_e32 v16, v20
	v_and_b32_e32 v198, 15, v198
	s_delay_alu instid0(VALU_DEP_4) | instskip(NEXT) | instid1(VALU_DEP_4)
	v_cvt_f16_u16_e32 v19, v19
	v_cvt_f16_u16_e64 v20, v197
	s_delay_alu instid0(VALU_DEP_1) | instskip(NEXT) | instid1(VALU_DEP_4)
	v_pack_b32_f16 v16, v16, v20
	v_cvt_f16_u16_e64 v20, v198
	s_delay_alu instid0(VALU_DEP_2) | instskip(NEXT) | instid1(VALU_DEP_2)
	v_pk_fma_f16 v16, v15, v16, v15 op_sel:[0,0,1] op_sel_hi:[0,1,1]
	v_pack_b32_f16 v19, v20, v19
	s_delay_alu instid0(VALU_DEP_2) | instskip(NEXT) | instid1(VALU_DEP_2)
	v_pk_fma_f16 v21, v17, v16, v21 op_sel_hi:[0,1,1]
	v_pk_fma_f16 v15, v15, v19, v15 op_sel:[0,0,1] op_sel_hi:[0,1,1]
	s_delay_alu instid0(VALU_DEP_1)
	v_pk_fma_f16 v22, v17, v15, v22 op_sel_hi:[0,1,1]
	v_add_co_u32 v15, vcc_lo, v169, s15
	v_add_co_ci_u32_e32 v16, vcc_lo, 0, v170, vcc_lo
	v_add_co_u32 v19, vcc_lo, v167, s15
	v_add_co_ci_u32_e32 v20, vcc_lo, 0, v168, vcc_lo
	global_load_b32 v15, v[15:16], off
	global_load_b32 v19, v[19:20], off
	s_waitcnt vmcnt(0)
	v_ashrrev_i32_e32 v19, v195, v19
	s_delay_alu instid0(VALU_DEP_1) | instskip(SKIP_3) | instid1(VALU_DEP_4)
	v_lshrrev_b32_e32 v197, 8, v19
	v_and_b32_e32 v20, 15, v19
	v_lshrrev_b32_e32 v198, 16, v19
	v_bfe_u32 v19, v19, 24, 4
	v_and_b32_e32 v197, 15, v197
	s_delay_alu instid0(VALU_DEP_4) | instskip(NEXT) | instid1(VALU_DEP_4)
	v_cvt_f16_u16_e32 v16, v20
	v_and_b32_e32 v198, 15, v198
	s_delay_alu instid0(VALU_DEP_4) | instskip(NEXT) | instid1(VALU_DEP_4)
	v_cvt_f16_u16_e32 v19, v19
	v_cvt_f16_u16_e64 v20, v197
	s_delay_alu instid0(VALU_DEP_1) | instskip(NEXT) | instid1(VALU_DEP_4)
	v_pack_b32_f16 v16, v16, v20
	v_cvt_f16_u16_e64 v20, v198
	s_delay_alu instid0(VALU_DEP_2) | instskip(NEXT) | instid1(VALU_DEP_2)
	v_pk_fma_f16 v16, v15, v16, v15 op_sel:[0,0,1] op_sel_hi:[0,1,1]
	v_pack_b32_f16 v19, v20, v19
	s_delay_alu instid0(VALU_DEP_2) | instskip(NEXT) | instid1(VALU_DEP_2)
	v_pk_fma_f16 v21, v17, v16, v21 op_sel:[1,0,0]
	v_pk_fma_f16 v15, v15, v19, v15 op_sel:[0,0,1] op_sel_hi:[0,1,1]
	s_delay_alu instid0(VALU_DEP_1)
	v_pk_fma_f16 v17, v17, v15, v22 op_sel:[1,0,0]
	v_add_co_u32 v15, vcc_lo, v165, s15
	v_add_co_ci_u32_e32 v16, vcc_lo, 0, v166, vcc_lo
	v_add_co_u32 v19, vcc_lo, v163, s15
	v_add_co_ci_u32_e32 v20, vcc_lo, 0, v164, vcc_lo
	global_load_b32 v15, v[15:16], off
	global_load_b32 v19, v[19:20], off
	s_waitcnt vmcnt(0)
	v_ashrrev_i32_e32 v19, v195, v19
	s_delay_alu instid0(VALU_DEP_1) | instskip(SKIP_3) | instid1(VALU_DEP_4)
	v_lshrrev_b32_e32 v22, 8, v19
	v_and_b32_e32 v20, 15, v19
	v_lshrrev_b32_e32 v197, 16, v19
	v_bfe_u32 v19, v19, 24, 4
	v_and_b32_e32 v22, 15, v22
	s_delay_alu instid0(VALU_DEP_4) | instskip(NEXT) | instid1(VALU_DEP_4)
	v_cvt_f16_u16_e32 v16, v20
	v_and_b32_e32 v197, 15, v197
	s_delay_alu instid0(VALU_DEP_4) | instskip(NEXT) | instid1(VALU_DEP_4)
	v_cvt_f16_u16_e32 v19, v19
	v_cvt_f16_u16_e32 v20, v22
	s_delay_alu instid0(VALU_DEP_1) | instskip(NEXT) | instid1(VALU_DEP_4)
	v_pack_b32_f16 v16, v16, v20
	v_cvt_f16_u16_e64 v20, v197
	s_delay_alu instid0(VALU_DEP_2) | instskip(NEXT) | instid1(VALU_DEP_2)
	v_pk_fma_f16 v16, v15, v16, v15 op_sel:[0,0,1] op_sel_hi:[0,1,1]
	v_pack_b32_f16 v19, v20, v19
	s_delay_alu instid0(VALU_DEP_2) | instskip(NEXT) | instid1(VALU_DEP_2)
	v_pk_fma_f16 v21, v18, v16, v21 op_sel_hi:[0,1,1]
	v_pk_fma_f16 v15, v15, v19, v15 op_sel:[0,0,1] op_sel_hi:[0,1,1]
	s_delay_alu instid0(VALU_DEP_1)
	v_pk_fma_f16 v17, v18, v15, v17 op_sel_hi:[0,1,1]
	v_add_co_u32 v15, vcc_lo, v161, s15
	v_add_co_ci_u32_e32 v16, vcc_lo, 0, v162, vcc_lo
	v_add_co_u32 v19, vcc_lo, v159, s15
	v_add_co_ci_u32_e32 v20, vcc_lo, 0, v160, vcc_lo
	global_load_b32 v15, v[15:16], off
	global_load_b32 v19, v[19:20], off
	s_waitcnt vmcnt(0)
	v_ashrrev_i32_e32 v19, v195, v19
	s_delay_alu instid0(VALU_DEP_1) | instskip(SKIP_3) | instid1(VALU_DEP_4)
	v_lshrrev_b32_e32 v22, 8, v19
	v_and_b32_e32 v20, 15, v19
	v_lshrrev_b32_e32 v197, 16, v19
	v_bfe_u32 v19, v19, 24, 4
	v_and_b32_e32 v22, 15, v22
	s_delay_alu instid0(VALU_DEP_4) | instskip(NEXT) | instid1(VALU_DEP_4)
	v_cvt_f16_u16_e32 v16, v20
	v_and_b32_e32 v197, 15, v197
	s_delay_alu instid0(VALU_DEP_4) | instskip(NEXT) | instid1(VALU_DEP_4)
	v_cvt_f16_u16_e32 v19, v19
	v_cvt_f16_u16_e32 v20, v22
	s_delay_alu instid0(VALU_DEP_1) | instskip(NEXT) | instid1(VALU_DEP_4)
	v_pack_b32_f16 v16, v16, v20
	v_cvt_f16_u16_e64 v20, v197
	s_delay_alu instid0(VALU_DEP_2) | instskip(NEXT) | instid1(VALU_DEP_2)
	v_pk_fma_f16 v16, v15, v16, v15 op_sel:[0,0,1] op_sel_hi:[0,1,1]
	v_pack_b32_f16 v19, v20, v19
	s_delay_alu instid0(VALU_DEP_1) | instskip(NEXT) | instid1(VALU_DEP_3)
	v_pk_fma_f16 v15, v15, v19, v15 op_sel:[0,0,1] op_sel_hi:[0,1,1]
	v_pk_fma_f16 v19, v18, v16, v21 op_sel:[1,0,0]
	s_delay_alu instid0(VALU_DEP_2)
	v_pk_fma_f16 v20, v18, v15, v17 op_sel:[1,0,0]
	v_add_co_u32 v15, vcc_lo, v157, s15
	v_add_co_ci_u32_e32 v16, vcc_lo, 0, v158, vcc_lo
	v_add_co_u32 v17, vcc_lo, v155, s15
	v_add_co_ci_u32_e32 v18, vcc_lo, 0, v156, vcc_lo
	global_load_b32 v15, v[15:16], off
	global_load_b32 v17, v[17:18], off
	s_waitcnt vmcnt(0)
	v_ashrrev_i32_e32 v17, v195, v17
	s_delay_alu instid0(VALU_DEP_1) | instskip(SKIP_3) | instid1(VALU_DEP_4)
	v_lshrrev_b32_e32 v21, 8, v17
	v_and_b32_e32 v18, 15, v17
	v_lshrrev_b32_e32 v22, 16, v17
	v_bfe_u32 v17, v17, 24, 4
	v_and_b32_e32 v21, 15, v21
	s_delay_alu instid0(VALU_DEP_4) | instskip(NEXT) | instid1(VALU_DEP_4)
	v_cvt_f16_u16_e32 v16, v18
	v_and_b32_e32 v22, 15, v22
	s_delay_alu instid0(VALU_DEP_4) | instskip(NEXT) | instid1(VALU_DEP_4)
	v_cvt_f16_u16_e32 v17, v17
	v_cvt_f16_u16_e32 v18, v21
	s_delay_alu instid0(VALU_DEP_1) | instskip(NEXT) | instid1(VALU_DEP_4)
	v_pack_b32_f16 v16, v16, v18
	v_cvt_f16_u16_e32 v18, v22
	s_delay_alu instid0(VALU_DEP_2) | instskip(NEXT) | instid1(VALU_DEP_2)
	v_pk_fma_f16 v16, v15, v16, v15 op_sel:[0,0,1] op_sel_hi:[0,1,1]
	v_pack_b32_f16 v17, v18, v17
	s_waitcnt lgkmcnt(1)
	s_delay_alu instid0(VALU_DEP_2) | instskip(NEXT) | instid1(VALU_DEP_2)
	v_pk_fma_f16 v19, v11, v16, v19 op_sel_hi:[0,1,1]
	v_pk_fma_f16 v15, v15, v17, v15 op_sel:[0,0,1] op_sel_hi:[0,1,1]
	s_delay_alu instid0(VALU_DEP_1)
	v_pk_fma_f16 v20, v11, v15, v20 op_sel_hi:[0,1,1]
	v_add_co_u32 v15, vcc_lo, v153, s15
	v_add_co_ci_u32_e32 v16, vcc_lo, 0, v154, vcc_lo
	v_add_co_u32 v17, vcc_lo, v151, s15
	v_add_co_ci_u32_e32 v18, vcc_lo, 0, v152, vcc_lo
	global_load_b32 v15, v[15:16], off
	global_load_b32 v17, v[17:18], off
	s_waitcnt vmcnt(0)
	v_ashrrev_i32_e32 v17, v195, v17
	s_delay_alu instid0(VALU_DEP_1) | instskip(SKIP_3) | instid1(VALU_DEP_4)
	v_lshrrev_b32_e32 v21, 8, v17
	v_and_b32_e32 v18, 15, v17
	v_lshrrev_b32_e32 v22, 16, v17
	v_bfe_u32 v17, v17, 24, 4
	v_and_b32_e32 v21, 15, v21
	s_delay_alu instid0(VALU_DEP_4) | instskip(NEXT) | instid1(VALU_DEP_4)
	v_cvt_f16_u16_e32 v16, v18
	v_and_b32_e32 v22, 15, v22
	s_delay_alu instid0(VALU_DEP_4) | instskip(NEXT) | instid1(VALU_DEP_4)
	v_cvt_f16_u16_e32 v17, v17
	v_cvt_f16_u16_e32 v18, v21
	s_delay_alu instid0(VALU_DEP_1) | instskip(NEXT) | instid1(VALU_DEP_4)
	v_pack_b32_f16 v16, v16, v18
	v_cvt_f16_u16_e32 v18, v22
	s_delay_alu instid0(VALU_DEP_2) | instskip(NEXT) | instid1(VALU_DEP_2)
	v_pk_fma_f16 v16, v15, v16, v15 op_sel:[0,0,1] op_sel_hi:[0,1,1]
	v_pack_b32_f16 v17, v18, v17
	s_delay_alu instid0(VALU_DEP_2) | instskip(NEXT) | instid1(VALU_DEP_2)
	v_pk_fma_f16 v19, v11, v16, v19 op_sel:[1,0,0]
	v_pk_fma_f16 v15, v15, v17, v15 op_sel:[0,0,1] op_sel_hi:[0,1,1]
	s_delay_alu instid0(VALU_DEP_1)
	v_pk_fma_f16 v11, v11, v15, v20 op_sel:[1,0,0]
	v_add_co_u32 v15, vcc_lo, v149, s15
	v_add_co_ci_u32_e32 v16, vcc_lo, 0, v150, vcc_lo
	v_add_co_u32 v17, vcc_lo, v147, s15
	v_add_co_ci_u32_e32 v18, vcc_lo, 0, v148, vcc_lo
	global_load_b32 v15, v[15:16], off
	global_load_b32 v17, v[17:18], off
	s_waitcnt vmcnt(0)
	v_ashrrev_i32_e32 v17, v195, v17
	s_delay_alu instid0(VALU_DEP_1) | instskip(SKIP_3) | instid1(VALU_DEP_4)
	v_lshrrev_b32_e32 v20, 8, v17
	v_and_b32_e32 v18, 15, v17
	v_lshrrev_b32_e32 v21, 16, v17
	v_bfe_u32 v17, v17, 24, 4
	v_and_b32_e32 v20, 15, v20
	s_delay_alu instid0(VALU_DEP_4) | instskip(NEXT) | instid1(VALU_DEP_4)
	v_cvt_f16_u16_e32 v16, v18
	v_and_b32_e32 v21, 15, v21
	s_delay_alu instid0(VALU_DEP_4) | instskip(NEXT) | instid1(VALU_DEP_4)
	v_cvt_f16_u16_e32 v17, v17
	v_cvt_f16_u16_e32 v18, v20
	s_delay_alu instid0(VALU_DEP_1) | instskip(NEXT) | instid1(VALU_DEP_4)
	v_pack_b32_f16 v16, v16, v18
	v_cvt_f16_u16_e32 v18, v21
	s_delay_alu instid0(VALU_DEP_2) | instskip(NEXT) | instid1(VALU_DEP_2)
	v_pk_fma_f16 v16, v15, v16, v15 op_sel:[0,0,1] op_sel_hi:[0,1,1]
	v_pack_b32_f16 v17, v18, v17
	s_delay_alu instid0(VALU_DEP_2) | instskip(NEXT) | instid1(VALU_DEP_2)
	v_pk_fma_f16 v19, v12, v16, v19 op_sel_hi:[0,1,1]
	v_pk_fma_f16 v15, v15, v17, v15 op_sel:[0,0,1] op_sel_hi:[0,1,1]
	s_delay_alu instid0(VALU_DEP_1)
	v_pk_fma_f16 v11, v12, v15, v11 op_sel_hi:[0,1,1]
	v_add_co_u32 v15, vcc_lo, v145, s15
	v_add_co_ci_u32_e32 v16, vcc_lo, 0, v146, vcc_lo
	v_add_co_u32 v17, vcc_lo, v143, s15
	v_add_co_ci_u32_e32 v18, vcc_lo, 0, v144, vcc_lo
	global_load_b32 v15, v[15:16], off
	global_load_b32 v17, v[17:18], off
	s_waitcnt vmcnt(0)
	v_ashrrev_i32_e32 v17, v195, v17
	s_delay_alu instid0(VALU_DEP_1) | instskip(SKIP_3) | instid1(VALU_DEP_4)
	v_lshrrev_b32_e32 v20, 8, v17
	v_and_b32_e32 v18, 15, v17
	v_lshrrev_b32_e32 v21, 16, v17
	v_bfe_u32 v17, v17, 24, 4
	v_and_b32_e32 v20, 15, v20
	s_delay_alu instid0(VALU_DEP_4) | instskip(NEXT) | instid1(VALU_DEP_4)
	v_cvt_f16_u16_e32 v16, v18
	v_and_b32_e32 v21, 15, v21
	s_delay_alu instid0(VALU_DEP_4) | instskip(NEXT) | instid1(VALU_DEP_4)
	v_cvt_f16_u16_e32 v17, v17
	v_cvt_f16_u16_e32 v18, v20
	s_delay_alu instid0(VALU_DEP_1) | instskip(NEXT) | instid1(VALU_DEP_4)
	v_pack_b32_f16 v16, v16, v18
	v_cvt_f16_u16_e32 v18, v21
	s_delay_alu instid0(VALU_DEP_2) | instskip(NEXT) | instid1(VALU_DEP_2)
	v_pk_fma_f16 v16, v15, v16, v15 op_sel:[0,0,1] op_sel_hi:[0,1,1]
	v_pack_b32_f16 v17, v18, v17
	s_delay_alu instid0(VALU_DEP_1) | instskip(NEXT) | instid1(VALU_DEP_3)
	v_pk_fma_f16 v15, v15, v17, v15 op_sel:[0,0,1] op_sel_hi:[0,1,1]
	v_pk_fma_f16 v17, v12, v16, v19 op_sel:[1,0,0]
	s_delay_alu instid0(VALU_DEP_2)
	v_pk_fma_f16 v18, v12, v15, v11 op_sel:[1,0,0]
	v_add_co_u32 v11, vcc_lo, v141, s15
	v_add_co_ci_u32_e32 v12, vcc_lo, 0, v142, vcc_lo
	v_add_co_u32 v15, vcc_lo, v139, s15
	v_add_co_ci_u32_e32 v16, vcc_lo, 0, v140, vcc_lo
	global_load_b32 v11, v[11:12], off
	global_load_b32 v15, v[15:16], off
	s_waitcnt vmcnt(0)
	v_ashrrev_i32_e32 v15, v195, v15
	s_delay_alu instid0(VALU_DEP_1) | instskip(SKIP_3) | instid1(VALU_DEP_4)
	v_lshrrev_b32_e32 v19, 8, v15
	v_and_b32_e32 v16, 15, v15
	v_lshrrev_b32_e32 v20, 16, v15
	v_bfe_u32 v15, v15, 24, 4
	v_and_b32_e32 v19, 15, v19
	s_delay_alu instid0(VALU_DEP_4) | instskip(NEXT) | instid1(VALU_DEP_4)
	v_cvt_f16_u16_e32 v12, v16
	v_and_b32_e32 v20, 15, v20
	s_delay_alu instid0(VALU_DEP_4) | instskip(NEXT) | instid1(VALU_DEP_4)
	v_cvt_f16_u16_e32 v15, v15
	v_cvt_f16_u16_e32 v16, v19
	s_delay_alu instid0(VALU_DEP_1) | instskip(NEXT) | instid1(VALU_DEP_4)
	v_pack_b32_f16 v12, v12, v16
	v_cvt_f16_u16_e32 v16, v20
	s_delay_alu instid0(VALU_DEP_2) | instskip(NEXT) | instid1(VALU_DEP_2)
	v_pk_fma_f16 v12, v11, v12, v11 op_sel:[0,0,1] op_sel_hi:[0,1,1]
	v_pack_b32_f16 v15, v16, v15
	s_delay_alu instid0(VALU_DEP_2) | instskip(NEXT) | instid1(VALU_DEP_2)
	v_pk_fma_f16 v17, v13, v12, v17 op_sel_hi:[0,1,1]
	v_pk_fma_f16 v11, v11, v15, v11 op_sel:[0,0,1] op_sel_hi:[0,1,1]
	s_delay_alu instid0(VALU_DEP_1)
	v_pk_fma_f16 v18, v13, v11, v18 op_sel_hi:[0,1,1]
	v_add_co_u32 v11, vcc_lo, v137, s15
	v_add_co_ci_u32_e32 v12, vcc_lo, 0, v138, vcc_lo
	v_add_co_u32 v15, vcc_lo, v135, s15
	v_add_co_ci_u32_e32 v16, vcc_lo, 0, v136, vcc_lo
	global_load_b32 v11, v[11:12], off
	global_load_b32 v15, v[15:16], off
	s_waitcnt vmcnt(0)
	v_ashrrev_i32_e32 v15, v195, v15
	s_delay_alu instid0(VALU_DEP_1) | instskip(SKIP_3) | instid1(VALU_DEP_4)
	v_lshrrev_b32_e32 v19, 8, v15
	v_and_b32_e32 v16, 15, v15
	v_lshrrev_b32_e32 v20, 16, v15
	v_bfe_u32 v15, v15, 24, 4
	v_and_b32_e32 v19, 15, v19
	s_delay_alu instid0(VALU_DEP_4) | instskip(NEXT) | instid1(VALU_DEP_4)
	v_cvt_f16_u16_e32 v12, v16
	v_and_b32_e32 v20, 15, v20
	s_delay_alu instid0(VALU_DEP_4) | instskip(NEXT) | instid1(VALU_DEP_4)
	v_cvt_f16_u16_e32 v15, v15
	v_cvt_f16_u16_e32 v16, v19
	s_delay_alu instid0(VALU_DEP_1) | instskip(NEXT) | instid1(VALU_DEP_4)
	v_pack_b32_f16 v12, v12, v16
	v_cvt_f16_u16_e32 v16, v20
	s_delay_alu instid0(VALU_DEP_2) | instskip(NEXT) | instid1(VALU_DEP_2)
	v_pk_fma_f16 v12, v11, v12, v11 op_sel:[0,0,1] op_sel_hi:[0,1,1]
	v_pack_b32_f16 v15, v16, v15
	s_delay_alu instid0(VALU_DEP_2) | instskip(NEXT) | instid1(VALU_DEP_2)
	v_pk_fma_f16 v17, v13, v12, v17 op_sel:[1,0,0]
	v_pk_fma_f16 v11, v11, v15, v11 op_sel:[0,0,1] op_sel_hi:[0,1,1]
	s_delay_alu instid0(VALU_DEP_1)
	v_pk_fma_f16 v13, v13, v11, v18 op_sel:[1,0,0]
	v_add_co_u32 v11, vcc_lo, v133, s15
	v_add_co_ci_u32_e32 v12, vcc_lo, 0, v134, vcc_lo
	v_add_co_u32 v15, vcc_lo, v131, s15
	v_add_co_ci_u32_e32 v16, vcc_lo, 0, v132, vcc_lo
	global_load_b32 v11, v[11:12], off
	global_load_b32 v15, v[15:16], off
	s_waitcnt vmcnt(0)
	v_ashrrev_i32_e32 v15, v195, v15
	s_delay_alu instid0(VALU_DEP_1) | instskip(SKIP_3) | instid1(VALU_DEP_4)
	v_lshrrev_b32_e32 v18, 8, v15
	v_and_b32_e32 v16, 15, v15
	v_lshrrev_b32_e32 v19, 16, v15
	v_bfe_u32 v15, v15, 24, 4
	v_and_b32_e32 v18, 15, v18
	s_delay_alu instid0(VALU_DEP_4) | instskip(NEXT) | instid1(VALU_DEP_4)
	v_cvt_f16_u16_e32 v12, v16
	v_and_b32_e32 v19, 15, v19
	s_delay_alu instid0(VALU_DEP_4) | instskip(NEXT) | instid1(VALU_DEP_4)
	v_cvt_f16_u16_e32 v15, v15
	v_cvt_f16_u16_e32 v16, v18
	s_delay_alu instid0(VALU_DEP_1) | instskip(NEXT) | instid1(VALU_DEP_4)
	v_pack_b32_f16 v12, v12, v16
	v_cvt_f16_u16_e32 v16, v19
	s_delay_alu instid0(VALU_DEP_2) | instskip(NEXT) | instid1(VALU_DEP_2)
	v_pk_fma_f16 v12, v11, v12, v11 op_sel:[0,0,1] op_sel_hi:[0,1,1]
	v_pack_b32_f16 v15, v16, v15
	s_delay_alu instid0(VALU_DEP_2) | instskip(NEXT) | instid1(VALU_DEP_2)
	v_pk_fma_f16 v17, v14, v12, v17 op_sel_hi:[0,1,1]
	v_pk_fma_f16 v11, v11, v15, v11 op_sel:[0,0,1] op_sel_hi:[0,1,1]
	s_delay_alu instid0(VALU_DEP_1)
	v_pk_fma_f16 v13, v14, v11, v13 op_sel_hi:[0,1,1]
	v_add_co_u32 v11, vcc_lo, v129, s15
	v_add_co_ci_u32_e32 v12, vcc_lo, 0, v130, vcc_lo
	v_add_co_u32 v15, vcc_lo, v127, s15
	v_add_co_ci_u32_e32 v16, vcc_lo, 0, v128, vcc_lo
	global_load_b32 v11, v[11:12], off
	global_load_b32 v15, v[15:16], off
	s_waitcnt vmcnt(0)
	v_ashrrev_i32_e32 v15, v195, v15
	s_delay_alu instid0(VALU_DEP_1) | instskip(SKIP_3) | instid1(VALU_DEP_4)
	v_lshrrev_b32_e32 v18, 8, v15
	v_and_b32_e32 v16, 15, v15
	v_lshrrev_b32_e32 v19, 16, v15
	v_bfe_u32 v15, v15, 24, 4
	v_and_b32_e32 v18, 15, v18
	s_delay_alu instid0(VALU_DEP_4) | instskip(NEXT) | instid1(VALU_DEP_4)
	v_cvt_f16_u16_e32 v12, v16
	v_and_b32_e32 v19, 15, v19
	s_delay_alu instid0(VALU_DEP_4) | instskip(NEXT) | instid1(VALU_DEP_4)
	v_cvt_f16_u16_e32 v15, v15
	v_cvt_f16_u16_e32 v16, v18
	s_delay_alu instid0(VALU_DEP_1) | instskip(NEXT) | instid1(VALU_DEP_4)
	v_pack_b32_f16 v12, v12, v16
	v_cvt_f16_u16_e32 v16, v19
	s_delay_alu instid0(VALU_DEP_2) | instskip(NEXT) | instid1(VALU_DEP_2)
	v_pk_fma_f16 v12, v11, v12, v11 op_sel:[0,0,1] op_sel_hi:[0,1,1]
	v_pack_b32_f16 v15, v16, v15
	s_delay_alu instid0(VALU_DEP_1) | instskip(NEXT) | instid1(VALU_DEP_3)
	v_pk_fma_f16 v11, v11, v15, v11 op_sel:[0,0,1] op_sel_hi:[0,1,1]
	v_pk_fma_f16 v15, v14, v12, v17 op_sel:[1,0,0]
	s_delay_alu instid0(VALU_DEP_2)
	v_pk_fma_f16 v16, v14, v11, v13 op_sel:[1,0,0]
	v_add_co_u32 v11, vcc_lo, v125, s15
	v_add_co_ci_u32_e32 v12, vcc_lo, 0, v126, vcc_lo
	v_add_co_u32 v13, vcc_lo, v123, s15
	v_add_co_ci_u32_e32 v14, vcc_lo, 0, v124, vcc_lo
	global_load_b32 v11, v[11:12], off
	global_load_b32 v13, v[13:14], off
	s_waitcnt vmcnt(0)
	v_ashrrev_i32_e32 v13, v195, v13
	s_delay_alu instid0(VALU_DEP_1) | instskip(SKIP_3) | instid1(VALU_DEP_4)
	v_lshrrev_b32_e32 v17, 8, v13
	v_and_b32_e32 v14, 15, v13
	v_lshrrev_b32_e32 v18, 16, v13
	v_bfe_u32 v13, v13, 24, 4
	v_and_b32_e32 v17, 15, v17
	s_delay_alu instid0(VALU_DEP_4) | instskip(NEXT) | instid1(VALU_DEP_4)
	v_cvt_f16_u16_e32 v12, v14
	v_and_b32_e32 v18, 15, v18
	s_delay_alu instid0(VALU_DEP_4) | instskip(NEXT) | instid1(VALU_DEP_4)
	v_cvt_f16_u16_e32 v13, v13
	v_cvt_f16_u16_e32 v14, v17
	s_delay_alu instid0(VALU_DEP_1) | instskip(NEXT) | instid1(VALU_DEP_4)
	v_pack_b32_f16 v12, v12, v14
	v_cvt_f16_u16_e32 v14, v18
	s_delay_alu instid0(VALU_DEP_2) | instskip(NEXT) | instid1(VALU_DEP_2)
	v_pk_fma_f16 v12, v11, v12, v11 op_sel:[0,0,1] op_sel_hi:[0,1,1]
	v_pack_b32_f16 v13, v14, v13
	s_waitcnt lgkmcnt(0)
	s_delay_alu instid0(VALU_DEP_2) | instskip(NEXT) | instid1(VALU_DEP_2)
	v_pk_fma_f16 v15, v7, v12, v15 op_sel_hi:[0,1,1]
	v_pk_fma_f16 v11, v11, v13, v11 op_sel:[0,0,1] op_sel_hi:[0,1,1]
	s_delay_alu instid0(VALU_DEP_1)
	v_pk_fma_f16 v16, v7, v11, v16 op_sel_hi:[0,1,1]
	v_add_co_u32 v11, vcc_lo, v121, s15
	v_add_co_ci_u32_e32 v12, vcc_lo, 0, v122, vcc_lo
	v_add_co_u32 v13, vcc_lo, v119, s15
	v_add_co_ci_u32_e32 v14, vcc_lo, 0, v120, vcc_lo
	global_load_b32 v11, v[11:12], off
	global_load_b32 v13, v[13:14], off
	s_waitcnt vmcnt(0)
	v_ashrrev_i32_e32 v13, v195, v13
	s_delay_alu instid0(VALU_DEP_1) | instskip(SKIP_3) | instid1(VALU_DEP_4)
	v_lshrrev_b32_e32 v17, 8, v13
	v_and_b32_e32 v14, 15, v13
	v_lshrrev_b32_e32 v18, 16, v13
	v_bfe_u32 v13, v13, 24, 4
	v_and_b32_e32 v17, 15, v17
	s_delay_alu instid0(VALU_DEP_4) | instskip(NEXT) | instid1(VALU_DEP_4)
	v_cvt_f16_u16_e32 v12, v14
	v_and_b32_e32 v18, 15, v18
	s_delay_alu instid0(VALU_DEP_4) | instskip(NEXT) | instid1(VALU_DEP_4)
	v_cvt_f16_u16_e32 v13, v13
	v_cvt_f16_u16_e32 v14, v17
	s_delay_alu instid0(VALU_DEP_1) | instskip(NEXT) | instid1(VALU_DEP_4)
	v_pack_b32_f16 v12, v12, v14
	v_cvt_f16_u16_e32 v14, v18
	s_delay_alu instid0(VALU_DEP_2) | instskip(NEXT) | instid1(VALU_DEP_2)
	v_pk_fma_f16 v12, v11, v12, v11 op_sel:[0,0,1] op_sel_hi:[0,1,1]
	v_pack_b32_f16 v13, v14, v13
	s_delay_alu instid0(VALU_DEP_2) | instskip(NEXT) | instid1(VALU_DEP_2)
	v_pk_fma_f16 v15, v7, v12, v15 op_sel:[1,0,0]
	v_pk_fma_f16 v11, v11, v13, v11 op_sel:[0,0,1] op_sel_hi:[0,1,1]
	s_delay_alu instid0(VALU_DEP_1)
	v_pk_fma_f16 v7, v7, v11, v16 op_sel:[1,0,0]
	v_add_co_u32 v11, vcc_lo, v117, s15
	v_add_co_ci_u32_e32 v12, vcc_lo, 0, v118, vcc_lo
	v_add_co_u32 v13, vcc_lo, v115, s15
	v_add_co_ci_u32_e32 v14, vcc_lo, 0, v116, vcc_lo
	global_load_b32 v11, v[11:12], off
	global_load_b32 v13, v[13:14], off
	s_waitcnt vmcnt(0)
	v_ashrrev_i32_e32 v13, v195, v13
	s_delay_alu instid0(VALU_DEP_1) | instskip(SKIP_3) | instid1(VALU_DEP_4)
	v_lshrrev_b32_e32 v16, 8, v13
	v_and_b32_e32 v14, 15, v13
	v_lshrrev_b32_e32 v17, 16, v13
	v_bfe_u32 v13, v13, 24, 4
	v_and_b32_e32 v16, 15, v16
	s_delay_alu instid0(VALU_DEP_4) | instskip(NEXT) | instid1(VALU_DEP_4)
	v_cvt_f16_u16_e32 v12, v14
	v_and_b32_e32 v17, 15, v17
	s_delay_alu instid0(VALU_DEP_4) | instskip(NEXT) | instid1(VALU_DEP_4)
	v_cvt_f16_u16_e32 v13, v13
	v_cvt_f16_u16_e32 v14, v16
	s_delay_alu instid0(VALU_DEP_1) | instskip(NEXT) | instid1(VALU_DEP_4)
	v_pack_b32_f16 v12, v12, v14
	v_cvt_f16_u16_e32 v14, v17
	s_delay_alu instid0(VALU_DEP_2) | instskip(NEXT) | instid1(VALU_DEP_2)
	v_pk_fma_f16 v12, v11, v12, v11 op_sel:[0,0,1] op_sel_hi:[0,1,1]
	v_pack_b32_f16 v13, v14, v13
	s_delay_alu instid0(VALU_DEP_2) | instskip(NEXT) | instid1(VALU_DEP_2)
	v_pk_fma_f16 v15, v8, v12, v15 op_sel_hi:[0,1,1]
	v_pk_fma_f16 v11, v11, v13, v11 op_sel:[0,0,1] op_sel_hi:[0,1,1]
	s_delay_alu instid0(VALU_DEP_1)
	v_pk_fma_f16 v7, v8, v11, v7 op_sel_hi:[0,1,1]
	v_add_co_u32 v11, vcc_lo, v113, s15
	v_add_co_ci_u32_e32 v12, vcc_lo, 0, v114, vcc_lo
	v_add_co_u32 v13, vcc_lo, v111, s15
	v_add_co_ci_u32_e32 v14, vcc_lo, 0, v112, vcc_lo
	global_load_b32 v11, v[11:12], off
	global_load_b32 v13, v[13:14], off
	s_waitcnt vmcnt(0)
	v_ashrrev_i32_e32 v13, v195, v13
	s_delay_alu instid0(VALU_DEP_1) | instskip(SKIP_3) | instid1(VALU_DEP_4)
	v_lshrrev_b32_e32 v16, 8, v13
	v_and_b32_e32 v14, 15, v13
	v_lshrrev_b32_e32 v17, 16, v13
	v_bfe_u32 v13, v13, 24, 4
	v_and_b32_e32 v16, 15, v16
	s_delay_alu instid0(VALU_DEP_4) | instskip(NEXT) | instid1(VALU_DEP_4)
	v_cvt_f16_u16_e32 v12, v14
	v_and_b32_e32 v17, 15, v17
	s_delay_alu instid0(VALU_DEP_4) | instskip(NEXT) | instid1(VALU_DEP_4)
	v_cvt_f16_u16_e32 v13, v13
	v_cvt_f16_u16_e32 v14, v16
	s_delay_alu instid0(VALU_DEP_1) | instskip(NEXT) | instid1(VALU_DEP_4)
	v_pack_b32_f16 v12, v12, v14
	v_cvt_f16_u16_e32 v14, v17
	s_delay_alu instid0(VALU_DEP_2) | instskip(NEXT) | instid1(VALU_DEP_2)
	v_pk_fma_f16 v12, v11, v12, v11 op_sel:[0,0,1] op_sel_hi:[0,1,1]
	v_pack_b32_f16 v13, v14, v13
	s_delay_alu instid0(VALU_DEP_1) | instskip(NEXT) | instid1(VALU_DEP_3)
	v_pk_fma_f16 v11, v11, v13, v11 op_sel:[0,0,1] op_sel_hi:[0,1,1]
	v_pk_fma_f16 v13, v8, v12, v15 op_sel:[1,0,0]
	s_delay_alu instid0(VALU_DEP_2)
	v_pk_fma_f16 v14, v8, v11, v7 op_sel:[1,0,0]
	v_add_co_u32 v7, vcc_lo, v109, s15
	v_add_co_ci_u32_e32 v8, vcc_lo, 0, v110, vcc_lo
	v_add_co_u32 v11, vcc_lo, v107, s15
	v_add_co_ci_u32_e32 v12, vcc_lo, 0, v108, vcc_lo
	global_load_b32 v7, v[7:8], off
	global_load_b32 v11, v[11:12], off
	s_waitcnt vmcnt(0)
	v_ashrrev_i32_e32 v11, v195, v11
	s_delay_alu instid0(VALU_DEP_1) | instskip(SKIP_3) | instid1(VALU_DEP_4)
	v_lshrrev_b32_e32 v15, 8, v11
	v_and_b32_e32 v12, 15, v11
	v_lshrrev_b32_e32 v16, 16, v11
	v_bfe_u32 v11, v11, 24, 4
	v_and_b32_e32 v15, 15, v15
	s_delay_alu instid0(VALU_DEP_4) | instskip(NEXT) | instid1(VALU_DEP_4)
	v_cvt_f16_u16_e32 v8, v12
	v_and_b32_e32 v16, 15, v16
	s_delay_alu instid0(VALU_DEP_4) | instskip(NEXT) | instid1(VALU_DEP_4)
	v_cvt_f16_u16_e32 v11, v11
	v_cvt_f16_u16_e32 v12, v15
	s_delay_alu instid0(VALU_DEP_1) | instskip(NEXT) | instid1(VALU_DEP_4)
	v_pack_b32_f16 v8, v8, v12
	v_cvt_f16_u16_e32 v12, v16
	s_delay_alu instid0(VALU_DEP_2) | instskip(NEXT) | instid1(VALU_DEP_2)
	v_pk_fma_f16 v8, v7, v8, v7 op_sel:[0,0,1] op_sel_hi:[0,1,1]
	v_pack_b32_f16 v11, v12, v11
	s_delay_alu instid0(VALU_DEP_2) | instskip(NEXT) | instid1(VALU_DEP_2)
	v_pk_fma_f16 v13, v9, v8, v13 op_sel_hi:[0,1,1]
	v_pk_fma_f16 v7, v7, v11, v7 op_sel:[0,0,1] op_sel_hi:[0,1,1]
	s_delay_alu instid0(VALU_DEP_1)
	v_pk_fma_f16 v14, v9, v7, v14 op_sel_hi:[0,1,1]
	v_add_co_u32 v7, vcc_lo, v105, s15
	v_add_co_ci_u32_e32 v8, vcc_lo, 0, v106, vcc_lo
	v_add_co_u32 v11, vcc_lo, v103, s15
	v_add_co_ci_u32_e32 v12, vcc_lo, 0, v104, vcc_lo
	global_load_b32 v7, v[7:8], off
	global_load_b32 v11, v[11:12], off
	s_waitcnt vmcnt(0)
	v_ashrrev_i32_e32 v11, v195, v11
	s_delay_alu instid0(VALU_DEP_1) | instskip(SKIP_3) | instid1(VALU_DEP_4)
	v_lshrrev_b32_e32 v15, 8, v11
	v_and_b32_e32 v12, 15, v11
	v_lshrrev_b32_e32 v16, 16, v11
	v_bfe_u32 v11, v11, 24, 4
	v_and_b32_e32 v15, 15, v15
	s_delay_alu instid0(VALU_DEP_4) | instskip(NEXT) | instid1(VALU_DEP_4)
	v_cvt_f16_u16_e32 v8, v12
	v_and_b32_e32 v16, 15, v16
	s_delay_alu instid0(VALU_DEP_4) | instskip(NEXT) | instid1(VALU_DEP_4)
	v_cvt_f16_u16_e32 v11, v11
	v_cvt_f16_u16_e32 v12, v15
	s_delay_alu instid0(VALU_DEP_1) | instskip(NEXT) | instid1(VALU_DEP_4)
	v_pack_b32_f16 v8, v8, v12
	v_cvt_f16_u16_e32 v12, v16
	s_delay_alu instid0(VALU_DEP_2) | instskip(NEXT) | instid1(VALU_DEP_2)
	v_pk_fma_f16 v8, v7, v8, v7 op_sel:[0,0,1] op_sel_hi:[0,1,1]
	v_pack_b32_f16 v11, v12, v11
	s_delay_alu instid0(VALU_DEP_2) | instskip(NEXT) | instid1(VALU_DEP_2)
	v_pk_fma_f16 v13, v9, v8, v13 op_sel:[1,0,0]
	v_pk_fma_f16 v7, v7, v11, v7 op_sel:[0,0,1] op_sel_hi:[0,1,1]
	s_delay_alu instid0(VALU_DEP_1)
	v_pk_fma_f16 v9, v9, v7, v14 op_sel:[1,0,0]
	v_add_co_u32 v7, vcc_lo, v101, s15
	v_add_co_ci_u32_e32 v8, vcc_lo, 0, v102, vcc_lo
	v_add_co_u32 v11, vcc_lo, v99, s15
	v_add_co_ci_u32_e32 v12, vcc_lo, 0, v100, vcc_lo
	global_load_b32 v7, v[7:8], off
	global_load_b32 v11, v[11:12], off
	s_waitcnt vmcnt(0)
	v_ashrrev_i32_e32 v11, v195, v11
	s_delay_alu instid0(VALU_DEP_1) | instskip(SKIP_3) | instid1(VALU_DEP_4)
	v_lshrrev_b32_e32 v14, 8, v11
	v_and_b32_e32 v12, 15, v11
	v_lshrrev_b32_e32 v15, 16, v11
	v_bfe_u32 v11, v11, 24, 4
	v_and_b32_e32 v14, 15, v14
	s_delay_alu instid0(VALU_DEP_4) | instskip(NEXT) | instid1(VALU_DEP_4)
	v_cvt_f16_u16_e32 v8, v12
	v_and_b32_e32 v15, 15, v15
	s_delay_alu instid0(VALU_DEP_4) | instskip(NEXT) | instid1(VALU_DEP_4)
	v_cvt_f16_u16_e32 v11, v11
	v_cvt_f16_u16_e32 v12, v14
	v_add_co_u32 v14, vcc_lo, v97, s15
	s_delay_alu instid0(VALU_DEP_2) | instskip(SKIP_2) | instid1(VALU_DEP_3)
	v_pack_b32_f16 v8, v8, v12
	v_cvt_f16_u16_e32 v12, v15
	v_add_co_ci_u32_e32 v15, vcc_lo, 0, v98, vcc_lo
	v_pk_fma_f16 v8, v7, v8, v7 op_sel:[0,0,1] op_sel_hi:[0,1,1]
	s_delay_alu instid0(VALU_DEP_3) | instskip(SKIP_3) | instid1(VALU_DEP_2)
	v_pack_b32_f16 v11, v12, v11
	global_load_b32 v14, v[14:15], off
	v_pk_fma_f16 v11, v7, v11, v7 op_sel:[0,0,1] op_sel_hi:[0,1,1]
	v_pk_fma_f16 v7, v10, v8, v13 op_sel_hi:[0,1,1]
	v_pk_fma_f16 v8, v10, v11, v9 op_sel_hi:[0,1,1]
	v_add_co_u32 v11, vcc_lo, v95, s15
	v_add_co_ci_u32_e32 v12, vcc_lo, 0, v96, vcc_lo
	v_add_co_u32 v55, vcc_lo, v55, s5
	v_add_co_ci_u32_e32 v56, vcc_lo, 0, v56, vcc_lo
	global_load_b32 v9, v[11:12], off
	v_add_co_u32 v57, vcc_lo, v57, s5
	v_add_co_ci_u32_e32 v58, vcc_lo, 0, v58, vcc_lo
	v_add_co_u32 v39, vcc_lo, v39, s10
	v_add_co_ci_u32_e32 v40, vcc_lo, s11, v40, vcc_lo
	;; [unrolled: 2-line block ×68, first 2 shown]
	s_waitcnt vmcnt(0)
	v_ashrrev_i32_e32 v11, v195, v9
	s_delay_alu instid0(VALU_DEP_1) | instskip(SKIP_1) | instid1(VALU_DEP_2)
	v_lshrrev_b32_e32 v9, 8, v11
	v_and_b32_e32 v12, 15, v11
	v_and_b32_e32 v13, 15, v9
	v_lshrrev_b32_e32 v9, 16, v11
	v_bfe_u32 v11, v11, 24, 4
	s_delay_alu instid0(VALU_DEP_4) | instskip(NEXT) | instid1(VALU_DEP_4)
	v_cvt_f16_u16_e32 v12, v12
	v_cvt_f16_u16_e32 v13, v13
	s_delay_alu instid0(VALU_DEP_4) | instskip(NEXT) | instid1(VALU_DEP_4)
	v_and_b32_e32 v9, 15, v9
	v_cvt_f16_u16_e32 v11, v11
	s_delay_alu instid0(VALU_DEP_3) | instskip(NEXT) | instid1(VALU_DEP_3)
	v_pack_b32_f16 v12, v12, v13
	v_cvt_f16_u16_e32 v9, v9
	s_delay_alu instid0(VALU_DEP_2) | instskip(NEXT) | instid1(VALU_DEP_2)
	v_pk_fma_f16 v12, v14, v12, v14 op_sel:[0,0,1] op_sel_hi:[0,1,1]
	v_pack_b32_f16 v9, v9, v11
	s_delay_alu instid0(VALU_DEP_2) | instskip(NEXT) | instid1(VALU_DEP_2)
	v_pk_fma_f16 v197, v10, v12, v7 op_sel:[1,0,0]
	v_pk_fma_f16 v9, v14, v9, v14 op_sel:[0,0,1] op_sel_hi:[0,1,1]
	s_delay_alu instid0(VALU_DEP_1)
	v_pk_fma_f16 v198, v10, v9, v8 op_sel:[1,0,0]
	s_cbranch_scc1 .LBB18_25
; %bb.24:                               ;   in Loop: Header=BB18_11 Depth=1
	v_dual_mov_b32 v11, v200 :: v_dual_mov_b32 v196, v199
	s_branch .LBB18_11
.LBB18_25:
	v_or_b32_e32 v0, s14, v41
	s_cmp_lg_u64 s[24:25], 0
	s_cselect_b32 s3, -1, 0
	s_delay_alu instid0(VALU_DEP_1) | instskip(SKIP_1) | instid1(SALU_CYCLE_1)
	v_cmp_eq_u32_e32 vcc_lo, 0, v0
	s_and_b32 s4, vcc_lo, s3
	s_and_saveexec_b32 s3, s4
	s_cbranch_execz .LBB18_27
; %bb.26:
	s_lshl_b64 s[4:5], s[36:37], 2
	v_max_f32_e32 v0, v200, v200
	s_add_u32 s4, s24, s4
	s_addc_u32 s5, s25, s5
	s_load_b32 s4, s[4:5], 0x0
	s_waitcnt lgkmcnt(0)
	v_max_f32_e64 v1, s4, s4
	s_delay_alu instid0(VALU_DEP_1) | instskip(NEXT) | instid1(VALU_DEP_1)
	v_max_f32_e32 v0, v1, v0
	v_sub_f32_e32 v1, s4, v0
	s_delay_alu instid0(VALU_DEP_1) | instskip(NEXT) | instid1(VALU_DEP_1)
	v_mul_f32_e32 v3, 0x3fb8aa3b, v1
	v_fma_f32 v5, 0x3fb8aa3b, v1, -v3
	v_rndne_f32_e32 v6, v3
	s_delay_alu instid0(VALU_DEP_2) | instskip(NEXT) | instid1(VALU_DEP_2)
	v_dual_fmac_f32 v5, 0x32a5705f, v1 :: v_dual_sub_f32 v2, v200, v0
	v_dual_sub_f32 v3, v3, v6 :: v_dual_mov_b32 v200, v0
	s_delay_alu instid0(VALU_DEP_2) | instskip(SKIP_1) | instid1(VALU_DEP_2)
	v_mul_f32_e32 v4, 0x3fb8aa3b, v2
	v_cmp_ngt_f32_e32 vcc_lo, 0xc2ce8ed0, v1
	v_fma_f32 v7, 0x3fb8aa3b, v2, -v4
	v_rndne_f32_e32 v8, v4
	s_delay_alu instid0(VALU_DEP_1) | instskip(SKIP_3) | instid1(VALU_DEP_4)
	v_dual_fmac_f32 v7, 0x32a5705f, v2 :: v_dual_sub_f32 v4, v4, v8
	v_add_f32_e32 v3, v3, v5
	v_cvt_i32_f32_e32 v5, v6
	v_cvt_i32_f32_e32 v6, v8
	v_add_f32_e32 v4, v4, v7
	s_delay_alu instid0(VALU_DEP_4) | instskip(NEXT) | instid1(VALU_DEP_1)
	v_exp_f32_e32 v3, v3
	v_exp_f32_e32 v4, v4
	s_waitcnt_depctr 0xfff
	v_ldexp_f32 v3, v3, v5
	v_ldexp_f32 v4, v4, v6
	s_delay_alu instid0(VALU_DEP_2) | instskip(SKIP_1) | instid1(VALU_DEP_3)
	v_cndmask_b32_e32 v3, 0, v3, vcc_lo
	v_cmp_ngt_f32_e32 vcc_lo, 0xc2ce8ed0, v2
	v_cndmask_b32_e32 v4, 0, v4, vcc_lo
	v_cmp_nlt_f32_e32 vcc_lo, 0x42b17218, v1
	s_delay_alu instid0(VALU_DEP_4) | instskip(SKIP_1) | instid1(VALU_DEP_4)
	v_cndmask_b32_e32 v1, 0x7f800000, v3, vcc_lo
	v_cmp_nlt_f32_e32 vcc_lo, 0x42b17218, v2
	v_cndmask_b32_e32 v2, 0x7f800000, v4, vcc_lo
	v_cmp_eq_u32_e32 vcc_lo, 0, v42
	s_delay_alu instid0(VALU_DEP_4) | instskip(NEXT) | instid1(VALU_DEP_1)
	v_cndmask_b32_e32 v1, 0, v1, vcc_lo
	v_fmac_f32_e32 v1, v199, v2
	s_delay_alu instid0(VALU_DEP_1) | instskip(SKIP_1) | instid1(VALU_DEP_1)
	v_mov_b32_e32 v199, v1
	v_cvt_f16_f32_e32 v3, v2
	v_pk_mul_f16 v197, v3, v197 op_sel_hi:[0,1]
	v_pk_mul_f16 v198, v3, v198 op_sel_hi:[0,1]
.LBB18_27:
	s_or_b32 exec_lo, exec_lo, s3
	s_and_saveexec_b32 s3, s2
	s_cbranch_execz .LBB18_29
; %bb.28:
	v_dual_mov_b32 v0, 0xfeffffff :: v_dual_mov_b32 v1, 0
	v_add_nc_u32_e32 v2, 0x400, v47
	ds_store_2addr_b32 v2, v0, v1 offset1:32
.LBB18_29:
	s_or_b32 exec_lo, exec_lo, s3
	v_cmp_eq_u32_e32 vcc_lo, 0, v42
	v_lshlrev_b32_e32 v2, 2, v41
	s_waitcnt lgkmcnt(0)
	s_barrier
	buffer_gl0_inv
	s_and_saveexec_b32 s2, vcc_lo
	s_cbranch_execz .LBB18_31
; %bb.30:
	ds_store_b32 v2, v200 offset:1024
.LBB18_31:
	s_or_b32 exec_lo, exec_lo, s2
	s_waitcnt lgkmcnt(0)
	s_barrier
	buffer_gl0_inv
	ds_load_b32 v0, v47 offset:1024
	v_xor_b32_e32 v1, 16, v43
	v_xor_b32_e32 v4, 8, v43
	v_lshlrev_b32_e32 v11, 3, v42
	s_delay_alu instid0(VALU_DEP_3) | instskip(NEXT) | instid1(VALU_DEP_2)
	v_cmp_gt_i32_e64 s2, 32, v1
	v_lshl_add_u32 v11, v41, 8, v11
	s_delay_alu instid0(VALU_DEP_2) | instskip(SKIP_1) | instid1(VALU_DEP_2)
	v_cndmask_b32_e64 v1, v43, v1, s2
	v_cmp_gt_i32_e64 s2, 32, v4
	v_lshlrev_b32_e32 v1, 2, v1
	s_delay_alu instid0(VALU_DEP_2) | instskip(SKIP_4) | instid1(VALU_DEP_1)
	v_cndmask_b32_e64 v4, v43, v4, s2
	s_waitcnt lgkmcnt(0)
	ds_bpermute_b32 v3, v1, v0
	s_waitcnt lgkmcnt(0)
	v_dual_max_f32 v0, v0, v0 :: v_dual_max_f32 v5, v3, v3
	v_dual_max_f32 v0, v0, v5 :: v_dual_lshlrev_b32 v3, 2, v4
	v_xor_b32_e32 v5, 4, v43
	ds_bpermute_b32 v4, v3, v0
	v_cmp_gt_i32_e64 s2, 32, v5
	s_delay_alu instid0(VALU_DEP_1) | instskip(SKIP_2) | instid1(VALU_DEP_2)
	v_cndmask_b32_e64 v5, v43, v5, s2
	s_waitcnt lgkmcnt(0)
	v_max_f32_e32 v6, v4, v4
	v_lshlrev_b32_e32 v4, 2, v5
	s_delay_alu instid0(VALU_DEP_2) | instskip(SKIP_3) | instid1(VALU_DEP_1)
	v_max_f32_e32 v0, v0, v6
	v_xor_b32_e32 v6, 2, v43
	ds_bpermute_b32 v5, v4, v0
	v_cmp_gt_i32_e64 s2, 32, v6
	v_cndmask_b32_e64 v6, v43, v6, s2
	s_waitcnt lgkmcnt(0)
	v_max_f32_e32 v7, v5, v5
	s_delay_alu instid0(VALU_DEP_1) | instskip(SKIP_3) | instid1(VALU_DEP_1)
	v_dual_max_f32 v0, v0, v7 :: v_dual_lshlrev_b32 v5, 2, v6
	v_xor_b32_e32 v7, 1, v43
	ds_bpermute_b32 v6, v5, v0
	v_cmp_gt_i32_e64 s2, 32, v7
	v_cndmask_b32_e64 v7, v43, v7, s2
	s_waitcnt lgkmcnt(0)
	v_max_f32_e32 v8, v6, v6
	s_delay_alu instid0(VALU_DEP_2) | instskip(NEXT) | instid1(VALU_DEP_2)
	v_lshlrev_b32_e32 v6, 2, v7
	v_max_f32_e32 v0, v0, v8
	ds_bpermute_b32 v7, v6, v0
	s_waitcnt lgkmcnt(0)
	v_max_f32_e32 v7, v7, v7
	s_delay_alu instid0(VALU_DEP_1) | instskip(NEXT) | instid1(VALU_DEP_1)
	v_max_f32_e32 v0, v0, v7
	v_sub_f32_e32 v7, v200, v0
	s_delay_alu instid0(VALU_DEP_1) | instskip(SKIP_1) | instid1(VALU_DEP_2)
	v_mul_f32_e32 v8, 0x3fb8aa3b, v7
	v_cmp_ngt_f32_e64 s2, 0xc2ce8ed0, v7
	v_fma_f32 v9, 0x3fb8aa3b, v7, -v8
	v_rndne_f32_e32 v10, v8
	s_delay_alu instid0(VALU_DEP_1) | instskip(NEXT) | instid1(VALU_DEP_1)
	v_dual_fmamk_f32 v9, v7, 0x32a5705f, v9 :: v_dual_sub_f32 v8, v8, v10
	v_add_f32_e32 v8, v8, v9
	v_cvt_i32_f32_e32 v9, v10
	s_delay_alu instid0(VALU_DEP_2) | instskip(SKIP_2) | instid1(VALU_DEP_1)
	v_exp_f32_e32 v8, v8
	s_waitcnt_depctr 0xfff
	v_ldexp_f32 v8, v8, v9
	v_cndmask_b32_e64 v8, 0, v8, s2
	v_cmp_nlt_f32_e64 s2, 0x42b17218, v7
	s_delay_alu instid0(VALU_DEP_1) | instskip(NEXT) | instid1(VALU_DEP_1)
	v_cndmask_b32_e64 v9, 0x7f800000, v8, s2
	v_mul_f32_e32 v7, v199, v9
	v_cvt_f16_f32_e32 v10, v9
	ds_bpermute_b32 v7, v1, v7
	s_waitcnt lgkmcnt(0)
	v_fmac_f32_e32 v7, v199, v9
	v_pk_mul_f16 v9, v10, v197 op_sel_hi:[0,1]
	v_pk_mul_f16 v10, v10, v198 op_sel_hi:[0,1]
	ds_bpermute_b32 v8, v3, v7
	ds_store_b64 v11, v[9:10]
	s_waitcnt lgkmcnt(1)
	v_add_f32_e32 v7, v7, v8
	ds_bpermute_b32 v8, v4, v7
	s_waitcnt lgkmcnt(0)
	v_add_f32_e32 v7, v7, v8
	ds_bpermute_b32 v8, v5, v7
	;; [unrolled: 3-line block ×3, first 2 shown]
	s_and_saveexec_b32 s2, vcc_lo
	s_cbranch_execz .LBB18_33
; %bb.32:
	s_waitcnt lgkmcnt(0)
	v_add_f32_e32 v7, v7, v8
	ds_store_b32 v2, v7 offset:1152
.LBB18_33:
	s_or_b32 exec_lo, exec_lo, s2
	s_waitcnt lgkmcnt(0)
	s_barrier
	buffer_gl0_inv
	ds_load_b32 v2, v47 offset:1152
	ds_load_u16 v7, v46 offset:768
	s_mov_b32 s3, 0
	s_waitcnt lgkmcnt(1)
	ds_bpermute_b32 v1, v1, v2
	s_waitcnt lgkmcnt(0)
	v_add_f32_e32 v1, v2, v1
	ds_bpermute_b32 v2, v3, v1
	s_waitcnt lgkmcnt(0)
	v_add_f32_e32 v1, v1, v2
	ds_bpermute_b32 v2, v4, v1
	s_waitcnt lgkmcnt(0)
	v_add_f32_e32 v1, v1, v2
	ds_bpermute_b32 v2, v5, v1
	ds_load_u16 v3, v46
	ds_load_u16 v4, v46 offset:256
	ds_load_u16 v5, v46 offset:512
	s_load_b32 s1, s[0:1], 0xd4
	s_mul_i32 s0, s12, s34
	s_waitcnt lgkmcnt(0)
	v_cvt_f32_f16_e32 v4, v4
	v_add_f32_e32 v1, v1, v2
	v_cvt_f32_f16_e32 v2, v3
	v_cvt_f32_f16_e32 v5, v5
	s_cmp_eq_u32 s1, 1
	ds_bpermute_b32 v3, v6, v1
	v_add_f32_e32 v2, 0, v2
	s_delay_alu instid0(VALU_DEP_1) | instskip(SKIP_1) | instid1(VALU_DEP_2)
	v_add_f32_e32 v2, v2, v4
	v_cvt_f32_f16_e32 v4, v7
	v_add_f32_e32 v2, v2, v5
	s_waitcnt lgkmcnt(0)
	s_delay_alu instid0(VALU_DEP_1) | instskip(NEXT) | instid1(VALU_DEP_1)
	v_dual_add_f32 v6, v2, v4 :: v_dual_add_f32 v1, v1, v3
	v_div_scale_f32 v2, null, v1, v1, v6
	v_div_scale_f32 v5, vcc_lo, v6, v1, v6
	s_delay_alu instid0(VALU_DEP_2) | instskip(SKIP_2) | instid1(VALU_DEP_1)
	v_rcp_f32_e32 v3, v2
	s_waitcnt_depctr 0xfff
	v_fma_f32 v4, -v2, v3, 1.0
	v_fmac_f32_e32 v3, v4, v3
	s_delay_alu instid0(VALU_DEP_1) | instskip(NEXT) | instid1(VALU_DEP_1)
	v_mul_f32_e32 v4, v5, v3
	v_fma_f32 v7, -v2, v4, v5
	s_delay_alu instid0(VALU_DEP_1) | instskip(NEXT) | instid1(VALU_DEP_1)
	v_fmac_f32_e32 v4, v7, v3
	v_fma_f32 v2, -v2, v4, v5
	s_delay_alu instid0(VALU_DEP_1) | instskip(SKIP_3) | instid1(SALU_CYCLE_1)
	v_div_fmas_f32 v2, v2, v3, v4
	v_mov_b32_e32 v3, 0
	s_cselect_b32 vcc_lo, -1, 0
	s_add_i32 s0, s0, s13
	s_mul_i32 s0, s0, s35
	v_div_fixup_f32 v7, v2, v1, v6
	s_add_i32 s0, s0, s36
	s_delay_alu instid0(SALU_CYCLE_1) | instskip(NEXT) | instid1(SALU_CYCLE_1)
	s_mul_i32 s0, s1, s0
	s_add_i32 s2, s0, s14
	v_cmp_eq_u32_e64 s0, 0, v45
	v_lshl_or_b32 v2, s2, 7, v45
	s_cmp_lg_u32 s1, 1
	s_cselect_b32 s1, -1, 0
	s_delay_alu instid0(VALU_DEP_1) | instskip(SKIP_2) | instid1(VALU_DEP_2)
	v_lshlrev_b64 v[4:5], 2, v[2:3]
	v_cndmask_b32_e32 v2, v6, v7, vcc_lo
	s_and_b32 s0, s0, s1
	v_add_co_u32 v4, vcc_lo, s28, v4
	s_delay_alu instid0(VALU_DEP_3)
	v_add_co_ci_u32_e32 v5, vcc_lo, s29, v5, vcc_lo
	global_store_b32 v[4:5], v2, off
	s_and_saveexec_b32 s1, s0
	s_cbranch_execz .LBB18_35
; %bb.34:
	s_lshl_b64 s[0:1], s[2:3], 3
	s_delay_alu instid0(SALU_CYCLE_1)
	s_add_u32 s0, s30, s0
	s_addc_u32 s1, s31, s1
	global_store_b64 v3, v[0:1], s[0:1]
.LBB18_35:
	s_nop 0
	s_sendmsg sendmsg(MSG_DEALLOC_VGPRS)
	s_endpgm
	.section	.rodata,"a",@progbits
	.p2align	6, 0x0
	.amdhsa_kernel _ZL18flash_attn_ext_vecILi128ELi1EL9ggml_type6ELS0_3ELb1EEvPKcS2_S2_S2_S2_PKiPfP15HIP_vector_typeIfLj2EEffffjfiS6_IjLj3EEiiiiiiiiiiiliiliiiiil
		.amdhsa_group_segment_fixed_size 1280
		.amdhsa_private_segment_fixed_size 0
		.amdhsa_kernarg_size 464
		.amdhsa_user_sgpr_count 13
		.amdhsa_user_sgpr_dispatch_ptr 0
		.amdhsa_user_sgpr_queue_ptr 0
		.amdhsa_user_sgpr_kernarg_segment_ptr 1
		.amdhsa_user_sgpr_dispatch_id 0
		.amdhsa_user_sgpr_private_segment_size 0
		.amdhsa_wavefront_size32 1
		.amdhsa_uses_dynamic_stack 0
		.amdhsa_enable_private_segment 0
		.amdhsa_system_sgpr_workgroup_id_x 1
		.amdhsa_system_sgpr_workgroup_id_y 1
		.amdhsa_system_sgpr_workgroup_id_z 1
		.amdhsa_system_sgpr_workgroup_info 0
		.amdhsa_system_vgpr_workitem_id 1
		.amdhsa_next_free_vgpr 220
		.amdhsa_next_free_sgpr 53
		.amdhsa_reserve_vcc 1
		.amdhsa_float_round_mode_32 0
		.amdhsa_float_round_mode_16_64 0
		.amdhsa_float_denorm_mode_32 3
		.amdhsa_float_denorm_mode_16_64 3
		.amdhsa_dx10_clamp 1
		.amdhsa_ieee_mode 1
		.amdhsa_fp16_overflow 0
		.amdhsa_workgroup_processor_mode 1
		.amdhsa_memory_ordered 1
		.amdhsa_forward_progress 0
		.amdhsa_shared_vgpr_count 0
		.amdhsa_exception_fp_ieee_invalid_op 0
		.amdhsa_exception_fp_denorm_src 0
		.amdhsa_exception_fp_ieee_div_zero 0
		.amdhsa_exception_fp_ieee_overflow 0
		.amdhsa_exception_fp_ieee_underflow 0
		.amdhsa_exception_fp_ieee_inexact 0
		.amdhsa_exception_int_div_zero 0
	.end_amdhsa_kernel
	.section	.text._ZL18flash_attn_ext_vecILi128ELi1EL9ggml_type6ELS0_3ELb1EEvPKcS2_S2_S2_S2_PKiPfP15HIP_vector_typeIfLj2EEffffjfiS6_IjLj3EEiiiiiiiiiiiliiliiiiil,"axG",@progbits,_ZL18flash_attn_ext_vecILi128ELi1EL9ggml_type6ELS0_3ELb1EEvPKcS2_S2_S2_S2_PKiPfP15HIP_vector_typeIfLj2EEffffjfiS6_IjLj3EEiiiiiiiiiiiliiliiiiil,comdat
.Lfunc_end18:
	.size	_ZL18flash_attn_ext_vecILi128ELi1EL9ggml_type6ELS0_3ELb1EEvPKcS2_S2_S2_S2_PKiPfP15HIP_vector_typeIfLj2EEffffjfiS6_IjLj3EEiiiiiiiiiiiliiliiiiil, .Lfunc_end18-_ZL18flash_attn_ext_vecILi128ELi1EL9ggml_type6ELS0_3ELb1EEvPKcS2_S2_S2_S2_PKiPfP15HIP_vector_typeIfLj2EEffffjfiS6_IjLj3EEiiiiiiiiiiiliiliiiiil
                                        ; -- End function
	.section	.AMDGPU.csdata,"",@progbits
; Kernel info:
; codeLenInByte = 19528
; NumSgprs: 55
; NumVgprs: 220
; ScratchSize: 0
; MemoryBound: 0
; FloatMode: 240
; IeeeMode: 1
; LDSByteSize: 1280 bytes/workgroup (compile time only)
; SGPRBlocks: 6
; VGPRBlocks: 27
; NumSGPRsForWavesPerEU: 55
; NumVGPRsForWavesPerEU: 220
; Occupancy: 6
; WaveLimiterHint : 0
; COMPUTE_PGM_RSRC2:SCRATCH_EN: 0
; COMPUTE_PGM_RSRC2:USER_SGPR: 13
; COMPUTE_PGM_RSRC2:TRAP_HANDLER: 0
; COMPUTE_PGM_RSRC2:TGID_X_EN: 1
; COMPUTE_PGM_RSRC2:TGID_Y_EN: 1
; COMPUTE_PGM_RSRC2:TGID_Z_EN: 1
; COMPUTE_PGM_RSRC2:TIDIG_COMP_CNT: 1
	.section	.text._ZL18flash_attn_ext_vecILi128ELi2EL9ggml_type6ELS0_3ELb0EEvPKcS2_S2_S2_S2_PKiPfP15HIP_vector_typeIfLj2EEffffjfiS6_IjLj3EEiiiiiiiiiiiliiliiiiil,"axG",@progbits,_ZL18flash_attn_ext_vecILi128ELi2EL9ggml_type6ELS0_3ELb0EEvPKcS2_S2_S2_S2_PKiPfP15HIP_vector_typeIfLj2EEffffjfiS6_IjLj3EEiiiiiiiiiiiliiliiiiil,comdat
	.globl	_ZL18flash_attn_ext_vecILi128ELi2EL9ggml_type6ELS0_3ELb0EEvPKcS2_S2_S2_S2_PKiPfP15HIP_vector_typeIfLj2EEffffjfiS6_IjLj3EEiiiiiiiiiiiliiliiiiil ; -- Begin function _ZL18flash_attn_ext_vecILi128ELi2EL9ggml_type6ELS0_3ELb0EEvPKcS2_S2_S2_S2_PKiPfP15HIP_vector_typeIfLj2EEffffjfiS6_IjLj3EEiiiiiiiiiiiliiliiiiil
	.p2align	8
	.type	_ZL18flash_attn_ext_vecILi128ELi2EL9ggml_type6ELS0_3ELb0EEvPKcS2_S2_S2_S2_PKiPfP15HIP_vector_typeIfLj2EEffffjfiS6_IjLj3EEiiiiiiiiiiiliiliiiiil,@function
_ZL18flash_attn_ext_vecILi128ELi2EL9ggml_type6ELS0_3ELb0EEvPKcS2_S2_S2_S2_PKiPfP15HIP_vector_typeIfLj2EEffffjfiS6_IjLj3EEiiiiiiiiiiiliiliiiiil: ; @_ZL18flash_attn_ext_vecILi128ELi2EL9ggml_type6ELS0_3ELb0EEvPKcS2_S2_S2_S2_PKiPfP15HIP_vector_typeIfLj2EEffffjfiS6_IjLj3EEiiiiiiiiiiiliiliiiiil
; %bb.0:
	s_clause 0x2
	s_load_b64 s[34:35], s[2:3], 0x64
	s_load_b64 s[36:37], s[2:3], 0x80
	;; [unrolled: 1-line block ×3, first 2 shown]
	v_mov_b32_e32 v67, 1.0
	s_waitcnt lgkmcnt(0)
	v_cvt_f32_u32_e32 v1, s35
	s_sub_i32 s5, 0, s35
	s_delay_alu instid0(VALU_DEP_1) | instskip(SKIP_2) | instid1(VALU_DEP_1)
	v_rcp_iflag_f32_e32 v1, v1
	s_waitcnt_depctr 0xfff
	v_mul_f32_e32 v1, 0x4f7ffffe, v1
	v_cvt_u32_f32_e32 v1, v1
	s_delay_alu instid0(VALU_DEP_1) | instskip(NEXT) | instid1(VALU_DEP_1)
	v_readfirstlane_b32 s4, v1
	s_mul_i32 s5, s5, s4
	s_delay_alu instid0(SALU_CYCLE_1) | instskip(NEXT) | instid1(SALU_CYCLE_1)
	s_mul_hi_u32 s5, s4, s5
	s_add_i32 s4, s4, s5
	s_delay_alu instid0(SALU_CYCLE_1) | instskip(NEXT) | instid1(SALU_CYCLE_1)
	s_mul_hi_u32 s4, s15, s4
	s_mul_i32 s5, s4, s35
	s_add_i32 s6, s4, 1
	s_sub_i32 s5, s15, s5
	s_delay_alu instid0(SALU_CYCLE_1)
	s_sub_i32 s7, s5, s35
	s_cmp_ge_u32 s5, s35
	s_cselect_b32 s4, s6, s4
	s_cselect_b32 s5, s7, s5
	s_add_i32 s6, s4, 1
	s_cmp_ge_u32 s5, s35
	s_cselect_b32 s33, s6, s4
	s_abs_i32 s4, s37
	s_abs_i32 s8, s35
	v_cvt_f32_u32_e32 v1, s4
	s_sub_i32 s6, 0, s4
	s_xor_b32 s7, s35, s37
	s_delay_alu instid0(SALU_CYCLE_1) | instskip(NEXT) | instid1(VALU_DEP_1)
	s_ashr_i32 s7, s7, 31
	v_rcp_iflag_f32_e32 v1, v1
	s_waitcnt_depctr 0xfff
	v_mul_f32_e32 v1, 0x4f7ffffe, v1
	s_delay_alu instid0(VALU_DEP_1) | instskip(NEXT) | instid1(VALU_DEP_1)
	v_cvt_u32_f32_e32 v1, v1
	v_readfirstlane_b32 s5, v1
	s_delay_alu instid0(VALU_DEP_1) | instskip(NEXT) | instid1(SALU_CYCLE_1)
	s_mul_i32 s6, s6, s5
	s_mul_hi_u32 s6, s5, s6
	s_delay_alu instid0(SALU_CYCLE_1) | instskip(SKIP_4) | instid1(SALU_CYCLE_1)
	s_add_i32 s5, s5, s6
	s_mul_i32 s6, s33, s35
	s_mul_hi_u32 s5, s8, s5
	s_sub_i32 s12, s15, s6
	s_mul_i32 s9, s5, s4
	s_sub_i32 s6, s8, s9
	s_add_i32 s8, s5, 1
	s_sub_i32 s9, s6, s4
	s_cmp_ge_u32 s6, s4
	s_cselect_b32 s5, s8, s5
	s_cselect_b32 s6, s9, s6
	s_add_i32 s8, s5, 1
	s_cmp_ge_u32 s6, s4
	s_cselect_b32 s4, s8, s5
	s_abs_i32 s38, s38
	s_xor_b32 s4, s4, s7
	v_cvt_f32_u32_e32 v1, s38
	s_sub_i32 s41, s4, s7
	s_clause 0x1
	s_load_b128 s[8:11], s[2:3], 0x40
	s_load_b32 s4, s[2:3], 0x50
	s_abs_i32 s40, s41
	v_rcp_iflag_f32_e32 v1, v1
	v_cvt_f32_u32_e32 v2, s40
	s_delay_alu instid0(VALU_DEP_1) | instskip(SKIP_2) | instid1(VALU_DEP_1)
	v_rcp_iflag_f32_e32 v2, v2
	s_waitcnt_depctr 0xfff
	v_mul_f32_e32 v1, 0x4f7ffffe, v1
	v_cvt_u32_f32_e32 v1, v1
	v_mul_f32_e32 v2, 0x4f7ffffe, v2
	s_waitcnt lgkmcnt(0)
	v_cmp_le_f32_e64 s5, s9, 0
	s_delay_alu instid0(VALU_DEP_3) | instskip(NEXT) | instid1(VALU_DEP_3)
	v_readfirstlane_b32 s9, v1
	v_cvt_u32_f32_e32 v2, v2
	s_delay_alu instid0(VALU_DEP_3) | instskip(NEXT) | instid1(VALU_DEP_1)
	s_and_b32 vcc_lo, exec_lo, s5
	v_readfirstlane_b32 s42, v2
	s_cbranch_vccnz .LBB19_2
; %bb.1:
	s_sub_i32 s5, s12, s4
	s_add_i32 s6, s12, 1
	s_lshl_b32 s5, s5, 1
	v_mov_b32_e32 v1, s10
	s_or_b32 s5, s5, 1
	s_cmp_lt_u32 s12, s4
	s_cselect_b32 vcc_lo, -1, 0
	s_delay_alu instid0(VALU_DEP_1)
	v_cndmask_b32_e32 v3, s11, v1, vcc_lo
	s_and_b32 s4, vcc_lo, exec_lo
	s_cselect_b32 s4, s6, s5
	s_mov_b32 s5, 0x3e76c4e1
	v_cvt_f32_i32_e32 v1, s4
	v_cmp_neq_f32_e32 vcc_lo, 1.0, v3
	s_delay_alu instid0(VALU_DEP_2) | instskip(NEXT) | instid1(VALU_DEP_1)
	v_cndmask_b32_e32 v4, 1.0, v1, vcc_lo
	v_cmp_eq_f32_e32 vcc_lo, 0, v4
	v_cndmask_b32_e64 v5, |v3|, 1.0, vcc_lo
	s_delay_alu instid0(VALU_DEP_1) | instskip(NEXT) | instid1(VALU_DEP_1)
	v_frexp_mant_f32_e32 v1, v5
	v_cmp_gt_f32_e64 s4, 0x3f2aaaab, v1
	s_delay_alu instid0(VALU_DEP_1) | instskip(NEXT) | instid1(VALU_DEP_1)
	v_cndmask_b32_e64 v2, 1.0, 2.0, s4
	v_mul_f32_e32 v1, v1, v2
	s_delay_alu instid0(VALU_DEP_1) | instskip(SKIP_1) | instid1(VALU_DEP_2)
	v_add_f32_e32 v2, 1.0, v1
	v_add_f32_e32 v7, -1.0, v1
	v_rcp_f32_e32 v6, v2
	s_waitcnt_depctr 0xfff
	v_mul_f32_e32 v8, v7, v6
	s_delay_alu instid0(VALU_DEP_1) | instskip(NEXT) | instid1(VALU_DEP_1)
	v_dual_add_f32 v9, -1.0, v2 :: v_dual_mul_f32 v10, v2, v8
	v_sub_f32_e32 v1, v1, v9
	v_cndmask_b32_e64 v3, v3, 1.0, vcc_lo
	s_delay_alu instid0(VALU_DEP_3) | instskip(NEXT) | instid1(VALU_DEP_2)
	v_fma_f32 v2, v8, v2, -v10
	v_cmp_eq_f32_e64 s6, 0, v3
	s_delay_alu instid0(VALU_DEP_2) | instskip(NEXT) | instid1(VALU_DEP_1)
	v_fmac_f32_e32 v2, v8, v1
	v_add_f32_e32 v1, v10, v2
	s_delay_alu instid0(VALU_DEP_1) | instskip(NEXT) | instid1(VALU_DEP_1)
	v_dual_sub_f32 v10, v1, v10 :: v_dual_sub_f32 v9, v7, v1
	v_dual_sub_f32 v2, v10, v2 :: v_dual_sub_f32 v7, v7, v9
	s_delay_alu instid0(VALU_DEP_1) | instskip(NEXT) | instid1(VALU_DEP_1)
	v_sub_f32_e32 v1, v7, v1
	v_add_f32_e32 v1, v2, v1
	s_delay_alu instid0(VALU_DEP_1) | instskip(NEXT) | instid1(VALU_DEP_1)
	v_add_f32_e32 v1, v9, v1
	v_mul_f32_e32 v1, v6, v1
	s_delay_alu instid0(VALU_DEP_1) | instskip(NEXT) | instid1(VALU_DEP_1)
	v_add_f32_e32 v6, v8, v1
	v_sub_f32_e32 v2, v6, v8
	v_mul_f32_e32 v7, v6, v6
	s_delay_alu instid0(VALU_DEP_2) | instskip(NEXT) | instid1(VALU_DEP_2)
	v_sub_f32_e32 v8, v1, v2
	v_fma_f32 v9, v6, v6, -v7
	s_delay_alu instid0(VALU_DEP_2) | instskip(NEXT) | instid1(VALU_DEP_1)
	v_add_f32_e32 v1, v8, v8
	v_fmac_f32_e32 v9, v6, v1
	v_cvt_f64_f32_e32 v[1:2], v5
	s_delay_alu instid0(VALU_DEP_2) | instskip(NEXT) | instid1(VALU_DEP_1)
	v_add_f32_e32 v10, v7, v9
	v_fmaak_f32 v11, s5, v10, 0x3e91f4c4
	v_sub_f32_e32 v7, v10, v7
	v_mul_f32_e32 v14, v6, v10
	s_delay_alu instid0(VALU_DEP_3) | instskip(NEXT) | instid1(VALU_DEP_3)
	v_fmaak_f32 v11, v10, v11, 0x3ecccdef
	v_sub_f32_e32 v7, v9, v7
	s_delay_alu instid0(VALU_DEP_2) | instskip(NEXT) | instid1(VALU_DEP_1)
	v_mul_f32_e32 v12, v10, v11
	v_fma_f32 v9, v10, v11, -v12
	s_delay_alu instid0(VALU_DEP_1) | instskip(NEXT) | instid1(VALU_DEP_1)
	v_fmac_f32_e32 v9, v7, v11
	v_add_f32_e32 v11, v12, v9
	v_frexp_exp_i32_f64_e32 v1, v[1:2]
	s_delay_alu instid0(VALU_DEP_2) | instskip(NEXT) | instid1(VALU_DEP_1)
	v_sub_f32_e32 v12, v11, v12
	v_sub_f32_e32 v2, v9, v12
	v_fma_f32 v12, v10, v6, -v14
	s_delay_alu instid0(VALU_DEP_2) | instskip(NEXT) | instid1(VALU_DEP_2)
	v_add_f32_e32 v2, 0x31739010, v2
	v_dual_add_f32 v13, 0x3f2aaaaa, v11 :: v_dual_fmac_f32 v12, v10, v8
	v_ldexp_f32 v8, v8, 1
	s_delay_alu instid0(VALU_DEP_2) | instskip(NEXT) | instid1(VALU_DEP_1)
	v_dual_add_f32 v9, 0xbf2aaaaa, v13 :: v_dual_fmac_f32 v12, v7, v6
	v_sub_f32_e32 v9, v11, v9
	s_delay_alu instid0(VALU_DEP_1) | instskip(NEXT) | instid1(VALU_DEP_3)
	v_add_f32_e32 v2, v2, v9
	v_add_f32_e32 v9, v14, v12
	s_delay_alu instid0(VALU_DEP_2) | instskip(NEXT) | instid1(VALU_DEP_1)
	v_add_f32_e32 v7, v13, v2
	v_sub_f32_e32 v10, v13, v7
	s_delay_alu instid0(VALU_DEP_3) | instskip(SKIP_2) | instid1(VALU_DEP_4)
	v_mul_f32_e32 v11, v9, v7
	v_sub_f32_e32 v13, v9, v14
	v_subrev_co_ci_u32_e64 v1, s4, 0, v1, s4
	v_add_f32_e32 v2, v2, v10
	s_delay_alu instid0(VALU_DEP_4) | instskip(NEXT) | instid1(VALU_DEP_4)
	v_fma_f32 v10, v9, v7, -v11
	v_sub_f32_e32 v12, v12, v13
	s_delay_alu instid0(VALU_DEP_4) | instskip(NEXT) | instid1(VALU_DEP_3)
	v_cvt_f32_i32_e32 v1, v1
	v_fmac_f32_e32 v10, v9, v2
	v_ldexp_f32 v2, v6, 1
	s_delay_alu instid0(VALU_DEP_2) | instskip(NEXT) | instid1(VALU_DEP_1)
	v_fmac_f32_e32 v10, v12, v7
	v_add_f32_e32 v6, v11, v10
	s_delay_alu instid0(VALU_DEP_1) | instskip(NEXT) | instid1(VALU_DEP_1)
	v_add_f32_e32 v7, v2, v6
	v_dual_sub_f32 v2, v7, v2 :: v_dual_sub_f32 v9, v6, v11
	s_delay_alu instid0(VALU_DEP_1) | instskip(NEXT) | instid1(VALU_DEP_2)
	v_sub_f32_e32 v2, v6, v2
	v_sub_f32_e32 v9, v10, v9
	s_delay_alu instid0(VALU_DEP_1) | instskip(NEXT) | instid1(VALU_DEP_1)
	v_add_f32_e32 v6, v8, v9
	v_dual_mul_f32 v11, 0x3f317218, v1 :: v_dual_add_f32 v2, v6, v2
	s_delay_alu instid0(VALU_DEP_1) | instskip(NEXT) | instid1(VALU_DEP_2)
	v_fma_f32 v10, 0x3f317218, v1, -v11
	v_add_f32_e32 v8, v7, v2
	s_delay_alu instid0(VALU_DEP_1) | instskip(NEXT) | instid1(VALU_DEP_1)
	v_sub_f32_e32 v7, v8, v7
	v_dual_fmamk_f32 v1, v1, 0xb102e308, v10 :: v_dual_sub_f32 v2, v2, v7
	s_delay_alu instid0(VALU_DEP_1) | instskip(NEXT) | instid1(VALU_DEP_1)
	v_add_f32_e32 v6, v11, v1
	v_add_f32_e32 v9, v6, v8
	s_delay_alu instid0(VALU_DEP_1) | instskip(NEXT) | instid1(VALU_DEP_1)
	v_dual_sub_f32 v11, v6, v11 :: v_dual_sub_f32 v10, v9, v6
	v_sub_f32_e32 v12, v9, v10
	s_delay_alu instid0(VALU_DEP_2) | instskip(NEXT) | instid1(VALU_DEP_2)
	v_sub_f32_e32 v1, v1, v11
	v_dual_sub_f32 v7, v8, v10 :: v_dual_sub_f32 v6, v6, v12
	s_delay_alu instid0(VALU_DEP_2) | instskip(NEXT) | instid1(VALU_DEP_2)
	v_add_f32_e32 v8, v1, v2
	v_add_f32_e32 v6, v7, v6
	s_delay_alu instid0(VALU_DEP_1) | instskip(NEXT) | instid1(VALU_DEP_1)
	v_add_f32_e32 v6, v8, v6
	v_dual_sub_f32 v7, v8, v1 :: v_dual_add_f32 v10, v9, v6
	s_delay_alu instid0(VALU_DEP_1) | instskip(SKIP_1) | instid1(VALU_DEP_3)
	v_sub_f32_e32 v8, v8, v7
	v_sub_f32_e32 v2, v2, v7
	;; [unrolled: 1-line block ×3, first 2 shown]
	s_delay_alu instid0(VALU_DEP_3) | instskip(NEXT) | instid1(VALU_DEP_1)
	v_sub_f32_e32 v1, v1, v8
	v_add_f32_e32 v1, v2, v1
	s_delay_alu instid0(VALU_DEP_3) | instskip(NEXT) | instid1(VALU_DEP_1)
	v_sub_f32_e32 v2, v6, v7
	v_add_f32_e32 v1, v1, v2
	s_delay_alu instid0(VALU_DEP_1) | instskip(NEXT) | instid1(VALU_DEP_1)
	v_add_f32_e32 v2, v10, v1
	v_mul_f32_e32 v7, v4, v2
	v_sub_f32_e32 v6, v2, v10
	s_delay_alu instid0(VALU_DEP_2) | instskip(NEXT) | instid1(VALU_DEP_2)
	v_fma_f32 v2, v4, v2, -v7
	v_sub_f32_e32 v1, v1, v6
	v_cmp_class_f32_e64 s4, v7, 0x204
	s_delay_alu instid0(VALU_DEP_2) | instskip(NEXT) | instid1(VALU_DEP_1)
	v_fmac_f32_e32 v2, v4, v1
	v_add_f32_e32 v1, v7, v2
	s_delay_alu instid0(VALU_DEP_1) | instskip(NEXT) | instid1(VALU_DEP_1)
	v_cndmask_b32_e64 v6, v1, v7, s4
	v_cmp_eq_f32_e64 s4, 0x42b17218, v6
	s_delay_alu instid0(VALU_DEP_1) | instskip(SKIP_1) | instid1(VALU_DEP_2)
	v_cndmask_b32_e64 v8, 0, 0x37000000, s4
	v_cmp_neq_f32_e64 s4, 0x7f800000, |v6|
	v_sub_f32_e32 v9, v6, v8
	v_trunc_f32_e32 v6, v4
	s_delay_alu instid0(VALU_DEP_2) | instskip(NEXT) | instid1(VALU_DEP_1)
	v_mul_f32_e32 v10, 0x3fb8aa3b, v9
	v_fma_f32 v11, 0x3fb8aa3b, v9, -v10
	v_rndne_f32_e32 v12, v10
	s_delay_alu instid0(VALU_DEP_1) | instskip(NEXT) | instid1(VALU_DEP_1)
	v_dual_fmamk_f32 v11, v9, 0x32a5705f, v11 :: v_dual_sub_f32 v10, v10, v12
	v_add_f32_e32 v10, v10, v11
	v_sub_f32_e32 v1, v1, v7
	v_cvt_i32_f32_e32 v7, v12
	s_delay_alu instid0(VALU_DEP_3) | instskip(NEXT) | instid1(VALU_DEP_2)
	v_exp_f32_e32 v10, v10
	v_sub_f32_e32 v1, v2, v1
	s_delay_alu instid0(VALU_DEP_1)
	v_cndmask_b32_e64 v1, 0, v1, s4
	v_cmp_ngt_f32_e64 s4, 0xc2ce8ed0, v9
	s_waitcnt_depctr 0xfff
	v_ldexp_f32 v2, v10, v7
	v_mul_f32_e32 v7, 0.5, v4
	v_add_f32_e32 v1, v8, v1
	s_delay_alu instid0(VALU_DEP_3) | instskip(NEXT) | instid1(VALU_DEP_3)
	v_cndmask_b32_e64 v2, 0, v2, s4
	v_trunc_f32_e32 v10, v7
	v_cmp_nlt_f32_e64 s4, 0x42b17218, v9
	s_delay_alu instid0(VALU_DEP_2) | instskip(NEXT) | instid1(VALU_DEP_2)
	v_cmp_neq_f32_e64 s5, v10, v7
	v_cndmask_b32_e64 v2, 0x7f800000, v2, s4
	v_cmp_eq_f32_e64 s4, v6, v4
	s_delay_alu instid0(VALU_DEP_2) | instskip(NEXT) | instid1(VALU_DEP_2)
	v_fma_f32 v1, v2, v1, v2
	s_and_b32 vcc_lo, s4, s5
	v_cmp_class_f32_e64 s5, v2, 0x204
	v_cndmask_b32_e32 v6, 1.0, v3, vcc_lo
	s_delay_alu instid0(VALU_DEP_2) | instskip(SKIP_1) | instid1(VALU_DEP_2)
	v_cndmask_b32_e64 v1, v1, v2, s5
	v_cmp_gt_f32_e64 s5, 0, v4
	v_bfi_b32 v1, 0x7fffffff, v1, v6
	v_cndmask_b32_e32 v6, 0, v3, vcc_lo
	s_delay_alu instid0(VALU_DEP_3)
	s_xor_b32 s5, s5, s6
	v_cmp_eq_f32_e32 vcc_lo, 0x7f800000, v5
	v_cndmask_b32_e64 v2, 0x7f800000, 0, s5
	v_cndmask_b32_e64 v4, 0x7fc00000, v1, s4
	v_cmp_gt_f32_e64 s4, 0, v3
	s_or_b32 vcc_lo, vcc_lo, s6
	s_delay_alu instid0(VALU_DEP_3) | instskip(NEXT) | instid1(VALU_DEP_2)
	v_bfi_b32 v2, 0x7fffffff, v2, v6
	v_cndmask_b32_e64 v1, v1, v4, s4
	s_delay_alu instid0(VALU_DEP_1) | instskip(SKIP_1) | instid1(VALU_DEP_2)
	v_cndmask_b32_e32 v1, v1, v2, vcc_lo
	v_cmp_o_f32_e32 vcc_lo, v3, v3
	v_cndmask_b32_e32 v67, 0x7fc00000, v1, vcc_lo
.LBB19_2:
	s_load_b64 s[0:1], s[0:1], 0x4
	v_bfe_u32 v61, v0, 10, 10
	v_and_b32_e32 v60, 0x3ff, v0
	s_load_b512 s[16:31], s[2:3], 0x0
	v_bfe_u32 v0, v0, 20, 10
	s_lshl_b32 s15, s13, 1
	v_lshlrev_b32_e32 v62, 8, v61
	s_mov_b32 s6, exec_lo
	s_waitcnt lgkmcnt(0)
	v_mul_u32_u24_e32 v1, s1, v61
	s_lshr_b32 s0, s0, 16
	s_delay_alu instid0(SALU_CYCLE_1)
	s_mul_i32 s0, s0, s1
	s_delay_alu instid0(VALU_DEP_1) | instid1(SALU_CYCLE_1)
	v_mad_u32_u24 v1, s0, v60, v1
	v_cmp_lt_u32_e64 s0, 1, v61
	s_delay_alu instid0(VALU_DEP_2) | instskip(NEXT) | instid1(VALU_DEP_1)
	v_add_lshl_u32 v17, v1, v0, 4
	v_dual_mov_b32 v12, 0 :: v_dual_add_nc_u32 v1, 0x400, v17
	v_add_nc_u32_e32 v0, 0x604, v17
	ds_store_2addr_b32 v0, v12, v12 offset1:1
	ds_store_2addr_b32 v1, v12, v12 offset0:128 offset1:131
	v_cmpx_gt_u32_e32 2, v61
	s_cbranch_execz .LBB19_13
; %bb.3:
	v_or_b32_e32 v0, s15, v61
	v_lshl_add_u32 v1, v60, 2, v62
	s_mov_b32 s1, exec_lo
	s_delay_alu instid0(VALU_DEP_2)
	v_cmpx_le_i32_e64 s34, v0
	s_xor_b32 s1, exec_lo, s1
	s_cbranch_execz .LBB19_7
; %bb.4:
	v_mov_b32_e32 v0, 0
	s_mov_b32 s4, exec_lo
	ds_store_b32 v1, v0
	v_cmpx_gt_u32_e32 4, v60
	s_cbranch_execz .LBB19_6
; %bb.5:
	v_lshl_add_u32 v2, v60, 2, v1
	v_mov_b32_e32 v1, v0
	ds_store_b64 v2, v[0:1] offset:128
.LBB19_6:
	s_or_b32 exec_lo, exec_lo, s4
                                        ; implicit-def: $vgpr1
.LBB19_7:
	s_and_not1_saveexec_b32 s1, s1
	s_cbranch_execz .LBB19_13
; %bb.8:
	s_load_b128 s[44:47], s[2:3], 0x70
	v_lshlrev_b32_e32 v2, 4, v60
	s_mov_b32 s7, exec_lo
	s_waitcnt lgkmcnt(0)
	v_mul_lo_u32 v0, v61, s44
	s_mul_i32 s1, s33, s46
	s_mul_i32 s4, s15, s44
	;; [unrolled: 1-line block ×3, first 2 shown]
	s_add_i32 s1, s1, s4
	s_delay_alu instid0(SALU_CYCLE_1) | instskip(NEXT) | instid1(SALU_CYCLE_1)
	s_add_i32 s1, s1, s5
	s_ashr_i32 s4, s1, 31
	s_delay_alu instid0(VALU_DEP_1) | instskip(SKIP_3) | instid1(VALU_DEP_2)
	v_ashrrev_i32_e32 v3, 31, v0
	s_add_u32 s1, s16, s1
	s_addc_u32 s4, s17, s4
	v_add_co_u32 v0, vcc_lo, s1, v0
	v_add_co_ci_u32_e32 v3, vcc_lo, s4, v3, vcc_lo
	s_delay_alu instid0(VALU_DEP_2) | instskip(NEXT) | instid1(VALU_DEP_2)
	v_add_co_u32 v2, vcc_lo, v0, v2
	v_add_co_ci_u32_e32 v3, vcc_lo, 0, v3, vcc_lo
	v_mbcnt_lo_u32_b32 v0, -1, 0
	global_load_b128 v[7:10], v[2:3], off
	v_xor_b32_e32 v4, 4, v0
	v_xor_b32_e32 v13, 2, v0
	;; [unrolled: 1-line block ×3, first 2 shown]
	s_delay_alu instid0(VALU_DEP_3) | instskip(SKIP_1) | instid1(VALU_DEP_4)
	v_cmp_gt_i32_e32 vcc_lo, 32, v4
	v_cndmask_b32_e32 v4, v0, v4, vcc_lo
	v_cmp_gt_i32_e32 vcc_lo, 32, v13
	v_cndmask_b32_e32 v13, v0, v13, vcc_lo
	;; [unrolled: 2-line block ×3, first 2 shown]
	s_waitcnt vmcnt(0)
	s_delay_alu instid0(VALU_DEP_1) | instskip(SKIP_2) | instid1(VALU_DEP_2)
	v_dual_mul_f32 v5, s8, v10 :: v_dual_lshlrev_b32 v0, 2, v0
	v_dual_mul_f32 v2, s8, v7 :: v_dual_mul_f32 v3, s8, v8
	v_dual_mul_f32 v7, s8, v9 :: v_dual_lshlrev_b32 v4, 2, v4
	v_max_f32_e64 v6, |v2|, |v2|
	v_fma_f32 v8, s8, v8, v2
	s_delay_alu instid0(VALU_DEP_2) | instskip(NEXT) | instid1(VALU_DEP_1)
	v_max_f32_e64 v6, v6, |v3|
	v_max3_f32 v6, v6, |v7|, |v5|
	ds_bpermute_b32 v11, v4, v6
	s_waitcnt lgkmcnt(0)
	v_max_f32_e32 v11, v11, v11
	s_delay_alu instid0(VALU_DEP_1) | instskip(SKIP_3) | instid1(VALU_DEP_1)
	v_dual_max_f32 v6, v6, v11 :: v_dual_lshlrev_b32 v13, 2, v13
	ds_bpermute_b32 v11, v13, v6
	s_waitcnt lgkmcnt(0)
	v_max_f32_e32 v11, v11, v11
	v_max_f32_e32 v6, v6, v11
	ds_bpermute_b32 v11, v0, v6
	s_waitcnt lgkmcnt(0)
	v_dual_fmac_f32 v8, s8, v9 :: v_dual_max_f32 v9, v11, v11
	s_delay_alu instid0(VALU_DEP_1) | instskip(SKIP_2) | instid1(VALU_DEP_1)
	v_dual_fmac_f32 v8, s8, v10 :: v_dual_max_f32 v9, v6, v9
	ds_bpermute_b32 v4, v4, v8
	v_div_scale_f32 v6, null, 0x42fe0000, 0x42fe0000, v9
	v_rcp_f32_e32 v10, v6
	s_waitcnt lgkmcnt(0)
	v_add_f32_e32 v4, v8, v4
	s_waitcnt_depctr 0xfff
	v_fma_f32 v8, -v6, v10, 1.0
	ds_bpermute_b32 v11, v13, v4
	v_div_scale_f32 v13, vcc_lo, v9, 0x42fe0000, v9
	v_fmac_f32_e32 v10, v8, v10
	s_delay_alu instid0(VALU_DEP_1) | instskip(NEXT) | instid1(VALU_DEP_1)
	v_mul_f32_e32 v8, v13, v10
	v_fma_f32 v14, -v6, v8, v13
	s_delay_alu instid0(VALU_DEP_1) | instskip(SKIP_2) | instid1(VALU_DEP_2)
	v_fmac_f32_e32 v8, v14, v10
	s_waitcnt lgkmcnt(0)
	v_add_f32_e32 v4, v4, v11
	v_fma_f32 v11, -v6, v8, v13
	ds_bpermute_b32 v6, v0, v4
	v_div_fmas_f32 v0, v11, v10, v8
	v_mov_b32_e32 v8, 0
	s_delay_alu instid0(VALU_DEP_2) | instskip(NEXT) | instid1(VALU_DEP_1)
	v_div_fixup_f32 v0, v0, 0x42fe0000, v9
	v_cmpx_neq_f32_e32 0, v0
	s_cbranch_execz .LBB19_10
; %bb.9:
	v_div_scale_f32 v8, null, v0, v0, v2
	v_div_scale_f32 v9, null, v0, v0, v3
	;; [unrolled: 1-line block ×4, first 2 shown]
	s_delay_alu instid0(VALU_DEP_4) | instskip(NEXT) | instid1(VALU_DEP_3)
	v_rcp_f32_e32 v10, v8
	v_rcp_f32_e32 v14, v9
	s_delay_alu instid0(VALU_DEP_2) | instskip(NEXT) | instid1(VALU_DEP_1)
	v_rcp_f32_e32 v15, v11
	v_rcp_f32_e32 v16, v13
	v_div_scale_f32 v20, vcc_lo, v2, v0, v2
	v_fma_f32 v18, -v8, v10, 1.0
	s_delay_alu instid0(TRANS32_DEP_3)
	v_fma_f32 v19, -v9, v14, 1.0
	s_waitcnt_depctr 0xfff
	v_fma_f32 v21, -v11, v15, 1.0
	v_fma_f32 v22, -v13, v16, 1.0
	v_fmac_f32_e32 v10, v18, v10
	v_div_scale_f32 v18, s1, v3, v0, v3
	s_delay_alu instid0(VALU_DEP_3) | instskip(SKIP_3) | instid1(VALU_DEP_3)
	v_dual_fmac_f32 v15, v21, v15 :: v_dual_fmac_f32 v16, v22, v16
	v_div_scale_f32 v21, s5, v5, v0, v5
	v_fmac_f32_e32 v14, v19, v14
	v_div_scale_f32 v19, s4, v7, v0, v7
	v_mul_f32_e32 v25, v21, v16
	s_delay_alu instid0(VALU_DEP_2) | instskip(NEXT) | instid1(VALU_DEP_2)
	v_dual_mul_f32 v23, v18, v14 :: v_dual_mul_f32 v24, v19, v15
	v_fma_f32 v29, -v13, v25, v21
	s_delay_alu instid0(VALU_DEP_2) | instskip(NEXT) | instid1(VALU_DEP_3)
	v_fma_f32 v27, -v9, v23, v18
	v_fma_f32 v28, -v11, v24, v19
	s_delay_alu instid0(VALU_DEP_2) | instskip(NEXT) | instid1(VALU_DEP_4)
	v_fmac_f32_e32 v23, v27, v14
	v_dual_mul_f32 v22, v20, v10 :: v_dual_fmac_f32 v25, v29, v16
	s_delay_alu instid0(VALU_DEP_2) | instskip(NEXT) | instid1(VALU_DEP_2)
	v_fma_f32 v9, -v9, v23, v18
	v_fma_f32 v26, -v8, v22, v20
	s_delay_alu instid0(VALU_DEP_1) | instskip(NEXT) | instid1(VALU_DEP_1)
	v_fmac_f32_e32 v22, v26, v10
	v_fma_f32 v8, -v8, v22, v20
	s_delay_alu instid0(VALU_DEP_1) | instskip(SKIP_3) | instid1(VALU_DEP_2)
	v_div_fmas_f32 v8, v8, v10, v22
	s_mov_b32 vcc_lo, s1
	v_div_fmas_f32 v9, v9, v14, v23
	s_mov_b32 vcc_lo, s4
	v_div_fixup_f32 v2, v8, v0, v2
	s_delay_alu instid0(VALU_DEP_2) | instskip(SKIP_1) | instid1(VALU_DEP_3)
	v_div_fixup_f32 v3, v9, v0, v3
	v_fmac_f32_e32 v24, v28, v15
	v_trunc_f32_e32 v14, v2
	s_delay_alu instid0(VALU_DEP_2) | instskip(NEXT) | instid1(VALU_DEP_1)
	v_fma_f32 v11, -v11, v24, v19
	v_div_fmas_f32 v10, v11, v15, v24
	v_fma_f32 v11, -v13, v25, v21
	s_mov_b32 vcc_lo, s5
	s_delay_alu instid0(VALU_DEP_2) | instskip(NEXT) | instid1(VALU_DEP_2)
	v_div_fixup_f32 v7, v10, v0, v7
	v_div_fmas_f32 v10, v11, v16, v25
	s_delay_alu instid0(VALU_DEP_2) | instskip(NEXT) | instid1(VALU_DEP_2)
	v_trunc_f32_e32 v9, v7
	v_div_fixup_f32 v5, v10, v0, v5
	v_trunc_f32_e32 v10, v3
	s_delay_alu instid0(VALU_DEP_3) | instskip(NEXT) | instid1(VALU_DEP_3)
	v_sub_f32_e32 v11, v7, v9
	v_trunc_f32_e32 v8, v5
	s_delay_alu instid0(VALU_DEP_3) | instskip(NEXT) | instid1(VALU_DEP_3)
	v_sub_f32_e32 v13, v3, v10
	v_cmp_ge_f32_e64 s1, |v11|, 0.5
	s_delay_alu instid0(VALU_DEP_3) | instskip(NEXT) | instid1(VALU_DEP_2)
	v_sub_f32_e32 v15, v5, v8
	v_cndmask_b32_e64 v11, 0, 1.0, s1
	s_delay_alu instid0(VALU_DEP_4) | instskip(NEXT) | instid1(VALU_DEP_2)
	v_cmp_ge_f32_e64 s1, |v13|, 0.5
	v_bfi_b32 v7, 0x7fffffff, v11, v7
	s_delay_alu instid0(VALU_DEP_2) | instskip(SKIP_2) | instid1(VALU_DEP_4)
	v_cndmask_b32_e64 v13, 0, 1.0, s1
	v_sub_f32_e32 v11, v2, v14
	v_cmp_ge_f32_e64 s1, |v15|, 0.5
	v_add_f32_e32 v7, v9, v7
	s_delay_alu instid0(VALU_DEP_4) | instskip(NEXT) | instid1(VALU_DEP_3)
	v_bfi_b32 v3, 0x7fffffff, v13, v3
	v_cndmask_b32_e64 v15, 0, 1.0, s1
	v_cmp_ge_f32_e64 s1, |v11|, 0.5
	s_delay_alu instid0(VALU_DEP_3) | instskip(NEXT) | instid1(VALU_DEP_3)
	v_add_f32_e32 v3, v10, v3
	v_bfi_b32 v5, 0x7fffffff, v15, v5
	s_delay_alu instid0(VALU_DEP_3) | instskip(NEXT) | instid1(VALU_DEP_3)
	v_cndmask_b32_e64 v9, 0, 1.0, s1
	v_cvt_i32_f32_e32 v3, v3
	s_delay_alu instid0(VALU_DEP_3) | instskip(NEXT) | instid1(VALU_DEP_3)
	v_add_f32_e32 v5, v8, v5
	v_bfi_b32 v2, 0x7fffffff, v9, v2
	s_delay_alu instid0(VALU_DEP_3) | instskip(NEXT) | instid1(VALU_DEP_3)
	v_and_b32_e32 v3, 0xff, v3
	v_cvt_i32_f32_e32 v5, v5
	s_delay_alu instid0(VALU_DEP_2) | instskip(NEXT) | instid1(VALU_DEP_1)
	v_dual_add_f32 v2, v14, v2 :: v_dual_lshlrev_b32 v3, 8, v3
	v_cvt_i32_f32_e32 v2, v2
	s_delay_alu instid0(VALU_DEP_1) | instskip(SKIP_1) | instid1(VALU_DEP_1)
	v_and_b32_e32 v2, 0xff, v2
	v_cvt_i32_f32_e32 v7, v7
	v_and_b32_e32 v7, 0xff, v7
	s_delay_alu instid0(VALU_DEP_1) | instskip(NEXT) | instid1(VALU_DEP_1)
	v_lshlrev_b32_e32 v7, 16, v7
	v_lshl_or_b32 v5, v5, 24, v7
	s_delay_alu instid0(VALU_DEP_1)
	v_or3_b32 v8, v5, v3, v2
.LBB19_10:
	s_or_b32 exec_lo, exec_lo, s7
	v_and_b32_e32 v2, 7, v60
	s_mov_b32 s1, exec_lo
	ds_store_b32 v1, v8
	v_cmpx_eq_u32_e32 0, v2
	s_cbranch_execz .LBB19_12
; %bb.11:
	s_waitcnt lgkmcnt(1)
	v_dual_add_f32 v1, v4, v6 :: v_dual_add_nc_u32 v2, v62, v60
	ds_store_b64 v2, v[0:1] offset:128
.LBB19_12:
	s_or_b32 exec_lo, exec_lo, s1
.LBB19_13:
	s_delay_alu instid0(SALU_CYCLE_1)
	s_or_b32 exec_lo, exec_lo, s6
	v_and_b32_e32 v18, 1, v60
	s_waitcnt lgkmcnt(0)
	s_barrier
	buffer_gl0_inv
	s_cmp_eq_u64 s[26:27], 0
	v_lshlrev_b32_e32 v69, 2, v18
	s_mov_b32 s37, s36
	ds_load_b128 v[0:3], v12 offset:128
	ds_load_b128 v[4:7], v12 offset:144
	ds_load_2addr_b32 v[24:25], v69 offset1:2
	ds_load_2addr_b32 v[26:27], v69 offset0:4 offset1:6
	ds_load_2addr_b32 v[28:29], v69 offset0:8 offset1:10
	;; [unrolled: 1-line block ×12, first 2 shown]
	ds_load_b128 v[8:11], v12 offset:384
	ds_load_b128 v[12:15], v12 offset:400
	ds_load_2addr_b32 v[50:51], v69 offset0:84 offset1:86
	ds_load_2addr_b32 v[52:53], v69 offset0:88 offset1:90
	;; [unrolled: 1-line block ×3, first 2 shown]
	s_waitcnt lgkmcnt(0)
	s_barrier
	buffer_gl0_inv
	s_cbranch_scc1 .LBB19_15
; %bb.14:
	s_load_b32 s1, s[2:3], 0xd0
	s_mov_b32 s5, 0
	s_waitcnt lgkmcnt(0)
	s_mul_i32 s1, s1, s33
	s_delay_alu instid0(SALU_CYCLE_1) | instskip(NEXT) | instid1(SALU_CYCLE_1)
	s_add_i32 s4, s1, s13
	s_lshl_b64 s[4:5], s[4:5], 2
	s_delay_alu instid0(SALU_CYCLE_1)
	s_add_u32 s4, s26, s4
	s_addc_u32 s5, s27, s5
	s_load_b32 s37, s[4:5], 0x0
.LBB19_15:
	s_mov_b32 s16, 0
	s_mov_b32 s4, 0xfeffffff
	;; [unrolled: 1-line block ×3, first 2 shown]
	s_delay_alu instid0(SALU_CYCLE_1) | instskip(SKIP_2) | instid1(VALU_DEP_2)
	v_dual_mov_b32 v57, s17 :: v_dual_lshlrev_b32 v16, 5, v61
	v_dual_mov_b32 v56, s16 :: v_dual_add_nc_u32 v63, 0x600, v17
	s_mov_b32 s5, s4
	v_add_nc_u32_e32 v17, v16, v60
	v_dual_mov_b32 v59, s5 :: v_dual_lshlrev_b32 v20, 2, v60
	v_mov_b32_e32 v58, s4
	v_mbcnt_lo_u32_b32 v64, -1, 0
	s_delay_alu instid0(VALU_DEP_4)
	v_lshlrev_b32_e32 v19, 1, v17
	s_lshl_b32 s8, s14, 7
	s_waitcnt lgkmcnt(0)
	s_cmp_ge_i32 s8, s37
	scratch_store_b32 off, v19, off         ; 4-byte Folded Spill
	s_cbranch_scc1 .LBB19_28
; %bb.16:
	s_clause 0x2
	scratch_store_b32 off, v17, off offset:28
	scratch_store_b32 off, v62, off offset:24
	;; [unrolled: 1-line block ×3, first 2 shown]
	s_clause 0x1
	s_load_b128 s[4:7], s[2:3], 0x98
	s_load_b64 s[26:27], s[2:3], 0x8c
	s_sub_i32 s1, 0, s40
	s_sub_i32 s10, 0, s38
	s_mul_i32 s1, s1, s42
	s_abs_i32 s11, s12
	s_mul_hi_u32 s1, s42, s1
	s_mul_i32 s10, s10, s9
	s_add_i32 s42, s42, s1
	s_mul_hi_u32 s1, s9, s10
	s_mul_hi_u32 s10, s11, s42
	s_ashr_i32 s51, s33, 31
	s_add_i32 s9, s9, s1
	s_mul_i32 s1, s10, s40
	s_ashr_i32 s17, s12, 31
	s_ashr_i32 s41, s41, 31
	s_sub_i32 s1, s11, s1
	s_abs_i32 s13, s33
	s_xor_b32 s17, s17, s41
	s_add_i32 s41, s10, 1
	s_waitcnt lgkmcnt(0)
	s_mul_i32 s5, s33, s5
	s_mul_hi_u32 s42, s33, s4
	s_mul_i32 s43, s51, s4
	s_add_i32 s42, s42, s5
	s_sub_i32 s5, s1, s40
	s_add_i32 s42, s42, s43
	s_cmp_ge_u32 s1, s40
	v_and_b32_e32 v17, 0x7e, v60
	s_cselect_b32 s10, s41, s10
	s_cselect_b32 s1, s5, s1
	s_add_i32 s5, s10, 1
	s_cmp_ge_u32 s1, s40
	s_mul_i32 s47, s33, s4
	s_cselect_b32 s1, s5, s10
	s_mul_hi_u32 s5, s13, s9
	s_xor_b32 s1, s1, s17
	s_mul_i32 s5, s5, s38
	s_sub_i32 s45, s1, s17
	s_sub_i32 s1, s13, s5
	s_mul_i32 s43, s45, s27
	s_mul_i32 s45, s45, s7
	s_ashr_i32 s44, s43, 31
	s_ashr_i32 s46, s45, 31
	s_sub_i32 s5, s1, s38
	s_load_b64 s[10:11], s[2:3], 0xc8
	s_cmp_ge_u32 s1, s38
	v_add_nc_u32_e32 v17, v16, v17
	s_cselect_b32 s1, s5, s1
	v_bfe_u32 v56, v60, 3, 27
	s_sub_i32 s5, s1, s38
	s_cmp_ge_u32 s1, s38
	v_add_nc_u32_e32 v19, s36, v17
	s_cselect_b32 s1, s5, s1
	s_load_b32 s5, s[2:3], 0xd4
	s_xor_b32 s1, s1, s51
	s_load_b64 s[40:41], s[2:3], 0xa8
	s_sub_i32 s49, s1, s51
	scratch_store_b32 off, v20, off offset:36 ; 4-byte Folded Spill
	s_ashr_i32 s9, s49, 31
	v_and_b32_e32 v72, 12, v20
	v_ashrrev_i32_e32 v20, 31, v19
	v_mul_hi_u32_u24_e32 v57, 20, v56
	v_mul_u32_u24_e32 v56, 20, v56
	v_mul_lo_u32 v23, v16, s6
	s_waitcnt lgkmcnt(0)
	s_mul_i32 s1, s49, s11
	s_mul_hi_u32 s7, s49, s10
	s_mul_i32 s9, s9, s10
	s_add_i32 s48, s7, s1
	s_mul_i32 s7, s15, s39
	s_add_i32 s48, s48, s9
	s_ashr_i32 s13, s7, 31
	s_cmp_lg_u64 s[22:23], 0
	s_mul_i32 s49, s49, s10
	s_cselect_b32 s4, -1, 0
	s_lshl_b32 s10, s5, 7
	s_cmp_lt_i32 s15, s34
	s_mov_b32 s9, s16
	s_cselect_b32 s1, -1, 0
	v_lshlrev_b64 v[19:20], 1, v[19:20]
	s_and_b32 s27, s4, s1
	s_or_b32 s1, s15, 1
	v_mad_u64_u32 v[58:59], null, s33, s40, v[56:57]
	s_cmp_lt_i32 s1, s34
	s_mul_i32 s41, s33, s41
	s_cselect_b32 s5, -1, 0
	s_mul_i32 s51, s51, s40
	s_and_b32 s38, s4, s5
	s_ashr_i32 s4, s36, 31
	v_add_co_u32 v21, s5, v17, s36
	s_add_u32 s17, s18, s43
	v_add_co_ci_u32_e64 v22, null, 0, s4, s5
	s_addc_u32 s50, s19, s44
	s_add_u32 s36, s17, s47
	s_addc_u32 s39, s50, s42
	s_lshl_b64 s[4:5], s[8:9], 1
	v_lshlrev_b64 v[21:22], 1, v[21:22]
	s_add_u32 s9, s22, s4
	s_addc_u32 s11, s23, s5
	s_add_u32 s9, s9, s49
	s_addc_u32 s11, s11, s48
	v_add_co_u32 v70, vcc_lo, s9, v19
	v_add_co_ci_u32_e32 v71, vcc_lo, s11, v20, vcc_lo
	v_add3_u32 v57, s41, s51, v59
	v_add_co_u32 v19, vcc_lo, s9, v21
	v_add_co_ci_u32_e32 v20, vcc_lo, s11, v22, vcc_lo
	v_ashrrev_i32_e32 v73, 31, v23
	v_add_co_u32 v59, vcc_lo, v58, v72
	v_add_co_ci_u32_e32 v75, vcc_lo, 0, v57, vcc_lo
	v_add_co_u32 v21, vcc_lo, v58, v23
	s_delay_alu instid0(VALU_DEP_4)
	v_add_co_ci_u32_e32 v22, vcc_lo, v57, v73, vcc_lo
	v_add_nc_u32_e32 v76, s6, v23
	v_add_co_u32 v23, vcc_lo, v59, v23
	v_add_co_ci_u32_e32 v56, vcc_lo, v75, v73, vcc_lo
	v_add_co_u32 v72, vcc_lo, v58, s45
	v_add_co_ci_u32_e32 v73, vcc_lo, s46, v57, vcc_lo
	v_ashrrev_i32_e32 v81, 31, v76
	v_add_co_u32 v74, vcc_lo, v59, s45
	v_add_nc_u32_e32 v77, s6, v76
	v_add_co_ci_u32_e32 v75, vcc_lo, s46, v75, vcc_lo
	v_add_co_u32 v57, vcc_lo, v72, v76
	v_add_co_ci_u32_e32 v58, vcc_lo, v73, v81, vcc_lo
	s_delay_alu instid0(VALU_DEP_4)
	v_ashrrev_i32_e32 v83, 31, v77
	v_add_co_u32 v59, vcc_lo, v74, v76
	v_add_nc_u32_e32 v78, s6, v77
	v_add_co_ci_u32_e32 v90, vcc_lo, v75, v81, vcc_lo
	v_add_co_u32 v94, vcc_lo, v72, v77
	v_add_co_ci_u32_e32 v95, vcc_lo, v73, v83, vcc_lo
	s_delay_alu instid0(VALU_DEP_4)
	;; [unrolled: 7-line block ×3, first 2 shown]
	v_ashrrev_i32_e32 v85, 31, v79
	v_add_co_u32 v102, vcc_lo, v74, v78
	v_dual_add_f32 v1, v1, v1 :: v_dual_add_nc_u32 v80, s6, v79
	v_add_co_ci_u32_e32 v103, vcc_lo, v75, v84, vcc_lo
	v_add_co_u32 v104, vcc_lo, v72, v79
	v_add_co_ci_u32_e32 v105, vcc_lo, v73, v85, vcc_lo
	v_dual_add_f32 v7, v7, v7 :: v_dual_add_nc_u32 v76, 31, v16
	v_ashrrev_i32_e32 v86, 31, v80
	v_add_co_u32 v106, vcc_lo, v74, v79
	v_dual_add_f32 v3, v3, v3 :: v_dual_add_nc_u32 v82, s6, v80
	v_add_co_ci_u32_e32 v107, vcc_lo, v75, v85, vcc_lo
	v_add_co_u32 v108, vcc_lo, v72, v80
	v_mul_lo_u32 v76, s6, v76
	v_add_co_ci_u32_e32 v109, vcc_lo, v73, v86, vcc_lo
	v_add_nc_u32_e32 v77, 30, v16
	v_ashrrev_i32_e32 v87, 31, v82
	v_add_co_u32 v110, vcc_lo, v74, v80
	v_add_co_ci_u32_e32 v111, vcc_lo, v75, v86, vcc_lo
	v_add_co_u32 v114, vcc_lo, v72, v82
	v_mul_lo_u32 v77, s6, v77
	v_add_co_ci_u32_e32 v115, vcc_lo, v73, v87, vcc_lo
	v_add_co_u32 v116, vcc_lo, v74, v82
	v_ashrrev_i32_e32 v78, 31, v76
	v_add_co_ci_u32_e32 v117, vcc_lo, v75, v87, vcc_lo
	v_add_co_u32 v118, vcc_lo, v74, v76
	s_delay_alu instid0(VALU_DEP_3)
	v_add_co_ci_u32_e32 v119, vcc_lo, v75, v78, vcc_lo
	v_add_co_u32 v120, vcc_lo, v72, v76
	v_ashrrev_i32_e32 v76, 31, v77
	v_add_co_ci_u32_e32 v121, vcc_lo, v73, v78, vcc_lo
	v_add_co_u32 v122, vcc_lo, v74, v77
	v_add_nc_u32_e32 v84, 29, v16
	s_delay_alu instid0(VALU_DEP_4) | instskip(SKIP_2) | instid1(VALU_DEP_4)
	v_add_co_ci_u32_e32 v123, vcc_lo, v75, v76, vcc_lo
	v_add_co_u32 v124, vcc_lo, v72, v77
	v_add_co_ci_u32_e32 v125, vcc_lo, v73, v76, vcc_lo
	v_mul_lo_u32 v76, s6, v84
	v_dual_add_f32 v11, v11, v11 :: v_dual_add_nc_u32 v78, 28, v16
	v_add_nc_u32_e32 v81, 27, v16
	v_add_nc_u32_e32 v85, 26, v16
	v_cmp_eq_u32_e64 s1, 0, v18
	s_delay_alu instid0(VALU_DEP_4)
	v_mul_lo_u32 v78, s6, v78
	v_dual_add_f32 v5, v5, v5 :: v_dual_add_nc_u32 v18, s6, v82
	v_ashrrev_i32_e32 v148, 31, v76
	v_add_co_u32 v150, vcc_lo, v74, v76
	v_mul_lo_u32 v81, s6, v81
	v_mul_lo_u32 v77, s6, v85
	s_delay_alu instid0(VALU_DEP_4)
	v_add_co_ci_u32_e32 v151, vcc_lo, v75, v148, vcc_lo
	v_ashrrev_i32_e32 v85, 31, v78
	v_add_co_u32 v152, vcc_lo, v72, v76
	v_add_co_ci_u32_e32 v148, vcc_lo, v73, v148, vcc_lo
	v_add_co_u32 v153, vcc_lo, v74, v78
	v_add_nc_u32_e32 v79, s6, v18
	v_add_nc_u32_e32 v88, 25, v16
	v_add_co_ci_u32_e32 v154, vcc_lo, v75, v85, vcc_lo
	v_ashrrev_i32_e32 v87, 31, v81
	v_add_co_u32 v155, vcc_lo, v72, v78
	v_add_co_ci_u32_e32 v156, vcc_lo, v73, v85, vcc_lo
	v_add_co_u32 v157, vcc_lo, v74, v81
	v_dual_add_f32 v9, v9, v9 :: v_dual_add_nc_u32 v80, s6, v79
	v_mul_lo_u32 v88, s6, v88
	v_add_nc_u32_e32 v89, 24, v16
	v_add_co_ci_u32_e32 v158, vcc_lo, v75, v87, vcc_lo
	v_ashrrev_i32_e32 v93, 31, v77
	v_add_co_u32 v159, vcc_lo, v72, v81
	v_add_co_ci_u32_e32 v160, vcc_lo, v73, v87, vcc_lo
	v_dual_add_f32 v13, v13, v13 :: v_dual_add_nc_u32 v82, s6, v80
	v_add_co_u32 v161, vcc_lo, v74, v77
	v_mul_lo_u32 v89, s6, v89
	v_add_nc_u32_e32 v92, 23, v16
	v_add_co_ci_u32_e32 v162, vcc_lo, v75, v93, vcc_lo
	v_ashrrev_i32_e32 v129, 31, v88
	v_add_co_u32 v163, vcc_lo, v72, v77
	v_add_nc_u32_e32 v83, s6, v82
	v_add_co_ci_u32_e32 v164, vcc_lo, v73, v93, vcc_lo
	v_add_co_u32 v165, vcc_lo, v74, v88
	v_mul_lo_u32 v92, s6, v92
	v_add_nc_u32_e32 v99, 22, v16
	v_add_co_ci_u32_e32 v166, vcc_lo, v75, v129, vcc_lo
	v_ashrrev_i32_e32 v130, 31, v89
	v_add_co_u32 v167, vcc_lo, v72, v88
	v_add_nc_u32_e32 v86, s6, v83
	v_add_co_ci_u32_e32 v168, vcc_lo, v73, v129, vcc_lo
	v_add_co_u32 v169, vcc_lo, v74, v89
	v_mul_lo_u32 v99, s6, v99
	v_add_nc_u32_e32 v112, 21, v16
	v_add_co_ci_u32_e32 v170, vcc_lo, v75, v130, vcc_lo
	v_add_nc_u32_e32 v84, s6, v86
	v_ashrrev_i32_e32 v131, 31, v92
	v_add_co_u32 v171, vcc_lo, v72, v89
	v_add_co_ci_u32_e32 v172, vcc_lo, v73, v130, vcc_lo
	v_add_co_u32 v173, vcc_lo, v74, v92
	v_mul_lo_u32 v112, s6, v112
	v_add_nc_u32_e32 v91, s6, v84
	v_add_nc_u32_e32 v113, 20, v16
	v_add_co_ci_u32_e32 v174, vcc_lo, v75, v131, vcc_lo
	v_ashrrev_i32_e32 v133, 31, v99
	v_add_co_u32 v175, vcc_lo, v72, v92
	v_add_co_ci_u32_e32 v176, vcc_lo, v73, v131, vcc_lo
	v_add_co_u32 v177, vcc_lo, v74, v99
	v_add_nc_u32_e32 v98, s6, v91
	v_mul_lo_u32 v113, s6, v113
	v_add_nc_u32_e32 v127, 19, v16
	v_add_co_ci_u32_e32 v178, vcc_lo, v75, v133, vcc_lo
	v_ashrrev_i32_e32 v134, 31, v112
	v_add_co_u32 v179, vcc_lo, v72, v99
	v_add_co_ci_u32_e32 v180, vcc_lo, v73, v133, vcc_lo
	v_add_nc_u32_e32 v126, s6, v98
	v_add_co_u32 v181, vcc_lo, v74, v112
	v_mul_lo_u32 v127, s6, v127
	v_add_co_ci_u32_e32 v182, vcc_lo, v75, v134, vcc_lo
	v_ashrrev_i32_e32 v135, 31, v113
	v_add_co_u32 v183, vcc_lo, v72, v112
	v_add_nc_u32_e32 v128, s6, v126
	v_add_co_ci_u32_e32 v184, vcc_lo, v73, v134, vcc_lo
	v_add_co_u32 v185, vcc_lo, v74, v113
	v_add_co_ci_u32_e32 v186, vcc_lo, v75, v135, vcc_lo
	v_ashrrev_i32_e32 v136, 31, v127
	v_add_co_u32 v187, vcc_lo, v72, v113
	v_add_nc_u32_e32 v132, s6, v128
	v_add_co_ci_u32_e32 v188, vcc_lo, v73, v135, vcc_lo
	v_add_co_u32 v189, vcc_lo, v74, v127
	v_add_co_ci_u32_e32 v190, vcc_lo, v75, v136, vcc_lo
	s_delay_alu instid0(VALU_DEP_4) | instskip(SKIP_3) | instid1(VALU_DEP_4)
	v_ashrrev_i32_e32 v137, 31, v132
	v_add_co_u32 v191, vcc_lo, v72, v127
	v_add_co_ci_u32_e32 v192, vcc_lo, v73, v136, vcc_lo
	v_add_co_u32 v193, vcc_lo, v74, v132
	v_add_co_ci_u32_e32 v194, vcc_lo, v75, v137, vcc_lo
	v_ashrrev_i32_e32 v138, 31, v128
	v_add_co_u32 v195, vcc_lo, v72, v132
	v_add_co_ci_u32_e32 v196, vcc_lo, v73, v137, vcc_lo
	v_add_co_u32 v197, vcc_lo, v74, v128
	s_delay_alu instid0(VALU_DEP_4) | instskip(SKIP_4) | instid1(VALU_DEP_4)
	v_add_co_ci_u32_e32 v198, vcc_lo, v75, v138, vcc_lo
	v_ashrrev_i32_e32 v139, 31, v126
	v_add_co_u32 v199, vcc_lo, v72, v128
	v_add_co_ci_u32_e32 v200, vcc_lo, v73, v138, vcc_lo
	v_add_co_u32 v201, vcc_lo, v74, v126
	v_add_co_ci_u32_e32 v202, vcc_lo, v75, v139, vcc_lo
	v_ashrrev_i32_e32 v140, 31, v98
	v_add_co_u32 v203, vcc_lo, v72, v126
	v_add_co_ci_u32_e32 v204, vcc_lo, v73, v139, vcc_lo
	v_add_co_u32 v205, vcc_lo, v74, v98
	s_delay_alu instid0(VALU_DEP_4) | instskip(SKIP_4) | instid1(VALU_DEP_4)
	v_add_co_ci_u32_e32 v206, vcc_lo, v75, v140, vcc_lo
	;; [unrolled: 11-line block ×4, first 2 shown]
	v_ashrrev_i32_e32 v145, 31, v82
	v_add_co_u32 v223, vcc_lo, v72, v83
	v_add_co_ci_u32_e32 v224, vcc_lo, v73, v144, vcc_lo
	v_add_co_u32 v225, vcc_lo, v74, v82
	v_add_co_ci_u32_e32 v226, vcc_lo, v75, v145, vcc_lo
	v_ashrrev_i32_e32 v146, 31, v80
	v_add_co_u32 v227, vcc_lo, v72, v82
	v_add_co_ci_u32_e32 v228, vcc_lo, v73, v145, vcc_lo
	v_add_co_u32 v229, vcc_lo, v74, v80
	s_delay_alu instid0(VALU_DEP_4)
	v_add_co_ci_u32_e32 v230, vcc_lo, v75, v146, vcc_lo
	v_ashrrev_i32_e32 v147, 31, v79
	v_add_co_u32 v231, vcc_lo, v72, v80
	v_add_co_ci_u32_e32 v232, vcc_lo, v73, v146, vcc_lo
	v_and_b32_e32 v76, 30, v64
	v_add_co_u32 v233, vcc_lo, v74, v79
	v_add_co_ci_u32_e32 v234, vcc_lo, v75, v147, vcc_lo
	v_ashrrev_i32_e32 v149, 31, v18
	v_add_co_u32 v235, vcc_lo, v72, v79
	v_add_nc_u32_e32 v76, 2, v76
	v_xor_b32_e32 v77, 1, v64
	v_add_co_ci_u32_e32 v236, vcc_lo, v73, v147, vcc_lo
	v_add_co_u32 v237, vcc_lo, v74, v18
	v_add_co_ci_u32_e32 v238, vcc_lo, v75, v149, vcc_lo
	s_delay_alu instid0(VALU_DEP_4)
	v_cmp_lt_i32_e32 vcc_lo, v77, v76
	v_xor_b32_e32 v75, 2, v64
	v_mul_lo_u32 v112, v17, s26
	v_xor_b32_e32 v76, 16, v64
	s_mov_b32 s11, s16
	v_cndmask_b32_e32 v74, v64, v77, vcc_lo
	v_add_co_u32 v18, vcc_lo, v72, v18
	v_add_co_ci_u32_e32 v239, vcc_lo, v73, v149, vcc_lo
	v_xor_b32_e32 v73, 4, v64
	v_cmp_gt_i32_e32 vcc_lo, 32, v75
	v_lshlrev_b32_e32 v72, 2, v74
	v_add_nc_u32_e32 v80, s26, v112
	v_add_co_u32 v98, s16, s47, v69
	v_cndmask_b32_e32 v74, v64, v75, vcc_lo
	v_xor_b32_e32 v75, 8, v64
	v_cmp_gt_i32_e32 vcc_lo, 32, v73
	v_ashrrev_i32_e32 v81, 31, v80
	v_add_co_ci_u32_e64 v99, null, s42, 0, s16
	v_lshlrev_b32_e32 v61, 2, v74
	v_cndmask_b32_e32 v77, v64, v73, vcc_lo
	v_cmp_gt_i32_e32 vcc_lo, 32, v75
	s_mul_i32 s9, s8, s6
	s_mul_i32 s6, s10, s6
	s_clause 0x1
	scratch_store_b32 off, v61, off offset:4
	scratch_store_b32 off, v60, off offset:16
	v_cndmask_b32_e32 v75, v64, v75, vcc_lo
	v_cmp_gt_i32_e32 vcc_lo, 32, v76
	v_lshlrev_b32_e32 v61, 2, v77
	v_lshlrev_b32_e32 v77, 1, v16
	;; [unrolled: 1-line block ×3, first 2 shown]
	scratch_store_b32 off, v63, off offset:32 ; 4-byte Folded Spill
	v_cndmask_b32_e32 v76, v64, v76, vcc_lo
	v_add_co_u32 v78, vcc_lo, v98, v80
	v_add_co_ci_u32_e32 v79, vcc_lo, v99, v81, vcc_lo
	scratch_store_b32 off, v61, off offset:8 ; 4-byte Folded Spill
	v_add_co_u32 v78, vcc_lo, s17, v78
	s_lshl_b64 s[16:17], s[10:11], 1
	s_add_u32 s4, s49, s4
	s_addc_u32 s5, s48, s5
	s_add_u32 s4, s22, s4
	s_addc_u32 s5, s23, s5
	v_add_co_u32 v16, s4, s4, v16
	v_add_co_ci_u32_e32 v79, vcc_lo, s50, v79, vcc_lo
	v_add_co_ci_u32_e64 v17, null, s5, 0, s4
	v_add_co_u32 v80, vcc_lo, s36, v80
	v_add_co_ci_u32_e32 v81, vcc_lo, s39, v81, vcc_lo
	v_add_co_u32 v82, vcc_lo, v16, 2
	s_delay_alu instid0(VALU_DEP_4)
	v_add_co_ci_u32_e32 v83, vcc_lo, 0, v17, vcc_lo
	v_add_co_u32 v84, vcc_lo, v19, 2
	s_add_u32 s4, s20, s45
	v_add_co_ci_u32_e32 v85, vcc_lo, 0, v20, vcc_lo
	s_addc_u32 s5, s21, s46
	v_add_co_u32 v16, vcc_lo, s4, v23
	v_add_co_ci_u32_e32 v17, vcc_lo, s5, v56, vcc_lo
	v_add_co_u32 v86, vcc_lo, s4, v21
	v_add_co_ci_u32_e32 v87, vcc_lo, s5, v22, vcc_lo
	s_delay_alu instid0(VALU_DEP_4) | instskip(NEXT) | instid1(VALU_DEP_4)
	v_add_co_u32 v88, vcc_lo, v16, 4
	v_add_co_ci_u32_e32 v89, vcc_lo, 0, v17, vcc_lo
	v_add_co_u32 v16, vcc_lo, v59, s20
	v_add_co_ci_u32_e32 v17, vcc_lo, s21, v90, vcc_lo
	;; [unrolled: 2-line block ×3, first 2 shown]
	s_delay_alu instid0(VALU_DEP_4) | instskip(NEXT) | instid1(VALU_DEP_4)
	v_add_co_u32 v92, vcc_lo, v16, 4
	v_add_co_ci_u32_e32 v93, vcc_lo, 0, v17, vcc_lo
	v_add_co_u32 v94, vcc_lo, s20, v94
	v_add_co_ci_u32_e32 v95, vcc_lo, s21, v95, vcc_lo
	;; [unrolled: 2-line block ×3, first 2 shown]
	v_ashrrev_i32_e32 v19, 31, v112
	v_add_co_u32 v20, vcc_lo, v96, s20
	v_add_co_ci_u32_e32 v21, vcc_lo, s21, v97, vcc_lo
	v_add_co_u32 v16, vcc_lo, v16, v112
	s_delay_alu instid0(VALU_DEP_4) | instskip(NEXT) | instid1(VALU_DEP_4)
	v_add_co_ci_u32_e32 v17, vcc_lo, v17, v19, vcc_lo
	v_add_co_u32 v96, vcc_lo, v20, 4
	s_delay_alu instid0(VALU_DEP_4) | instskip(NEXT) | instid1(VALU_DEP_4)
	v_add_co_ci_u32_e32 v97, vcc_lo, 0, v21, vcc_lo
	v_add_co_u32 v98, vcc_lo, s18, v16
	s_delay_alu instid0(VALU_DEP_4) | instskip(SKIP_4) | instid1(VALU_DEP_4)
	v_add_co_ci_u32_e32 v99, vcc_lo, s19, v17, vcc_lo
	v_add_co_u32 v16, vcc_lo, v102, s20
	v_add_co_ci_u32_e32 v17, vcc_lo, s21, v103, vcc_lo
	v_add_co_u32 v100, vcc_lo, s20, v100
	;; [unrolled: 2-line block ×3, first 2 shown]
	s_delay_alu instid0(VALU_DEP_4) | instskip(SKIP_4) | instid1(VALU_DEP_4)
	v_add_co_ci_u32_e32 v103, vcc_lo, 0, v17, vcc_lo
	v_add_co_u32 v16, vcc_lo, v106, s20
	v_add_co_ci_u32_e32 v17, vcc_lo, s21, v107, vcc_lo
	v_add_co_u32 v104, vcc_lo, s20, v104
	;; [unrolled: 2-line block ×3, first 2 shown]
	s_delay_alu instid0(VALU_DEP_4)
	v_add_co_ci_u32_e32 v107, vcc_lo, 0, v17, vcc_lo
	v_add_co_u32 v108, vcc_lo, s20, v108
	v_add_co_ci_u32_e32 v109, vcc_lo, s21, v109, vcc_lo
	s_add_u32 s4, s47, s43
	s_addc_u32 s5, s42, s44
	v_add_co_u32 v16, vcc_lo, v110, s20
	s_add_u32 s4, s18, s4
	v_add_co_ci_u32_e32 v17, vcc_lo, s21, v111, vcc_lo
	s_addc_u32 s5, s19, s5
	v_add_co_u32 v110, vcc_lo, s4, v112
	v_add_co_ci_u32_e32 v111, vcc_lo, s5, v19, vcc_lo
	v_add_co_u32 v112, vcc_lo, v16, 4
	v_add_co_ci_u32_e32 v113, vcc_lo, 0, v17, vcc_lo
	;; [unrolled: 2-line block ×5, first 2 shown]
	s_delay_alu instid0(VALU_DEP_4) | instskip(NEXT) | instid1(VALU_DEP_4)
	v_add_co_u32 v116, vcc_lo, v16, 4
	v_add_co_ci_u32_e32 v117, vcc_lo, 0, v17, vcc_lo
	s_delay_alu instid0(VALU_DEP_4) | instskip(NEXT) | instid1(VALU_DEP_4)
	v_add_co_u32 v118, vcc_lo, v19, 4
	v_add_co_ci_u32_e32 v119, vcc_lo, 0, v20, vcc_lo
	v_add_co_u32 v16, vcc_lo, v122, s20
	v_add_co_ci_u32_e32 v17, vcc_lo, s21, v123, vcc_lo
	v_add_co_u32 v120, vcc_lo, s20, v120
	v_add_co_ci_u32_e32 v121, vcc_lo, s21, v121, vcc_lo
	s_delay_alu instid0(VALU_DEP_4) | instskip(NEXT) | instid1(VALU_DEP_4)
	v_add_co_u32 v122, vcc_lo, v16, 4
	v_add_co_ci_u32_e32 v123, vcc_lo, 0, v17, vcc_lo
	v_add_co_u32 v16, vcc_lo, v150, s20
	v_add_co_ci_u32_e32 v17, vcc_lo, s21, v151, vcc_lo
	;; [unrolled: 7-line block ×24, first 2 shown]
	v_add_co_u32 v212, vcc_lo, s20, v235
	v_add_co_ci_u32_e32 v213, vcc_lo, s21, v236, vcc_lo
	s_delay_alu instid0(VALU_DEP_4) | instskip(NEXT) | instid1(VALU_DEP_4)
	v_add_co_u32 v214, vcc_lo, v16, 4
	v_add_co_ci_u32_e32 v215, vcc_lo, 0, v17, vcc_lo
	v_add_co_u32 v216, vcc_lo, s20, v18
	ds_load_b128 v[16:19], v63
	v_lshlrev_b32_e32 v61, 2, v75
	v_lshlrev_b32_e32 v76, 2, v76
	v_add_co_ci_u32_e32 v217, vcc_lo, s21, v239, vcc_lo
	v_dual_mov_b32 v56, 0 :: v_dual_mov_b32 v57, 0
	v_or_b32_e32 v218, 8, v69
	v_or_b32_e32 v219, 16, v69
	;; [unrolled: 1-line block ×3, first 2 shown]
	v_dual_add_f32 v222, v15, v15 :: v_dual_and_b32 v221, 4, v60
	v_dual_mov_b32 v20, 0xfeffffff :: v_dual_mov_b32 v15, 0xfeffffff
	s_mul_i32 s5, s8, s26
	s_mul_i32 s11, s10, s26
	scratch_store_b32 off, v61, off offset:12 ; 4-byte Folded Spill
                                        ; implicit-def: $vgpr223
.LBB19_17:                              ; =>This Inner Loop Header: Depth=1
	v_add_co_u32 v224, vcc_lo, v110, s5
	v_add_co_ci_u32_e32 v225, vcc_lo, 0, v111, vcc_lo
	s_clause 0x7
	global_load_b32 v22, v[224:225], off
	global_load_u16 v21, v[224:225], off offset:4
	global_load_b32 v23, v[224:225], off offset:22
	global_load_u16 v226, v[224:225], off offset:26
	global_load_b32 v58, v[224:225], off offset:44
	;; [unrolled: 2-line block ×3, first 2 shown]
	global_load_u16 v228, v[224:225], off offset:70
	v_add_co_u32 v224, vcc_lo, v98, s5
	v_add_co_ci_u32_e32 v225, vcc_lo, 0, v99, vcc_lo
	s_and_b32 vcc_lo, exec_lo, s27
	s_clause 0x7
	global_load_b32 v229, v[224:225], off offset:6
	global_load_b32 v230, v[224:225], off offset:14
	;; [unrolled: 1-line block ×8, first 2 shown]
	s_waitcnt vmcnt(14)
	v_perm_b32 v21, v22, v21, 0x1000706
	s_waitcnt vmcnt(12)
	v_perm_b32 v226, v23, v226, 0x1000706
	s_waitcnt vmcnt(10)
	v_perm_b32 v227, v58, v227, 0x1000706
	v_ashrrev_i32_e32 v225, v69, v21
	v_ashrrev_i32_e32 v241, v219, v21
	s_waitcnt vmcnt(7)
	v_and_b32_e32 v237, 0xf0f0f0f, v229
	s_waitcnt vmcnt(6)
	v_and_b32_e32 v239, 0xf0f0f0f, v230
	v_lshrrev_b32_e32 v229, 4, v229
	v_lshlrev_b32_e32 v235, 18, v225
	v_lshlrev_b32_e32 v236, 25, v225
	v_ashrrev_i32_e32 v243, v69, v226
	s_waitcnt vmcnt(5)
	v_and_b32_e32 v244, 0xf0f0f0f, v231
	v_and_b32_e32 v229, 0xf0f0f0f, v229
	;; [unrolled: 1-line block ×4, first 2 shown]
	v_ashrrev_i32_e32 v245, v218, v226
	s_waitcnt vmcnt(4)
	v_and_b32_e32 v246, 0xf0f0f0f, v232
	v_ashrrev_i32_e32 v247, v219, v226
	v_lshrrev_b32_e32 v231, 4, v231
	v_or3_b32 v235, v236, v237, v235
	v_ashrrev_i32_e32 v236, v218, v21
	v_ashrrev_i32_e32 v21, v220, v21
	;; [unrolled: 1-line block ×3, first 2 shown]
	v_and_b32_e32 v231, 0xf0f0f0f, v231
	v_ashrrev_i32_e32 v249, v69, v227
	v_lshlrev_b32_e32 v237, 18, v236
	v_lshlrev_b32_e32 v238, 25, v236
	;; [unrolled: 1-line block ×4, first 2 shown]
	s_waitcnt vmcnt(3)
	v_and_b32_e32 v250, 0xf0f0f0f, v233
	v_and_b32_e32 v237, 0x100000, v237
	;; [unrolled: 1-line block ×5, first 2 shown]
	v_ashrrev_i32_e32 v251, v218, v227
	s_waitcnt vmcnt(2)
	v_and_b32_e32 v252, 0xf0f0f0f, v240
	v_or3_b32 v237, v238, v239, v237
	v_lshlrev_b32_e32 v238, 18, v241
	v_lshlrev_b32_e32 v239, 25, v241
	v_ashrrev_i32_e32 v253, v219, v227
	v_lshrrev_b32_e32 v233, 4, v233
	v_ashrrev_i32_e32 v227, v220, v227
	v_and_b32_e32 v238, 0x100000, v238
	v_and_b32_e32 v239, 0x10000000, v239
	v_perm_b32 v228, v59, v228, 0x1000706
	v_and_b32_e32 v233, 0xf0f0f0f, v233
	s_delay_alu instid0(VALU_DEP_3)
	v_or3_b32 v229, v239, v229, v238
	v_lshlrev_b32_e32 v238, 4, v21
	v_lshlrev_b32_e32 v239, 18, v21
	v_ashrrev_i32_e32 v62, v69, v228
	v_ashrrev_i32_e32 v65, v218, v228
	v_ashrrev_i32_e32 v61, v219, v228
	v_and_b32_e32 v238, 16, v238
	v_and_b32_e32 v239, 0x100000, v239
	v_ashrrev_i32_e32 v68, v220, v228
	v_lshlrev_b32_e32 v21, 11, v21
	s_delay_alu instid0(VALU_DEP_3) | instskip(SKIP_4) | instid1(VALU_DEP_4)
	v_or3_b32 v242, v239, v242, v238
	v_lshlrev_b32_e32 v238, 18, v243
	v_lshlrev_b32_e32 v239, 25, v243
	;; [unrolled: 1-line block ×3, first 2 shown]
	v_and_b32_e32 v21, 0x1000, v21
	v_and_b32_e32 v238, 0x100000, v238
	s_delay_alu instid0(VALU_DEP_4) | instskip(NEXT) | instid1(VALU_DEP_4)
	v_and_b32_e32 v239, 0x10000000, v239
	v_and_b32_e32 v228, 16, v228
	s_delay_alu instid0(VALU_DEP_2) | instskip(SKIP_2) | instid1(VALU_DEP_2)
	v_or3_b32 v244, v239, v244, v238
	v_lshlrev_b32_e32 v238, 18, v245
	v_lshlrev_b32_e32 v239, 25, v245
	v_and_b32_e32 v238, 0x100000, v238
	s_delay_alu instid0(VALU_DEP_2) | instskip(NEXT) | instid1(VALU_DEP_1)
	v_and_b32_e32 v239, 0x10000000, v239
	v_or3_b32 v246, v239, v246, v238
	v_lshlrev_b32_e32 v238, 18, v247
	v_lshlrev_b32_e32 v239, 25, v247
	s_delay_alu instid0(VALU_DEP_2) | instskip(NEXT) | instid1(VALU_DEP_2)
	v_and_b32_e32 v238, 0x100000, v238
	v_and_b32_e32 v239, 0x10000000, v239
	s_delay_alu instid0(VALU_DEP_1) | instskip(SKIP_2) | instid1(VALU_DEP_2)
	v_or3_b32 v231, v239, v231, v238
	v_lshlrev_b32_e32 v238, 4, v226
	v_lshlrev_b32_e32 v239, 18, v226
	v_and_b32_e32 v238, 16, v238
	s_delay_alu instid0(VALU_DEP_2) | instskip(NEXT) | instid1(VALU_DEP_1)
	v_and_b32_e32 v239, 0x100000, v239
	v_or3_b32 v248, v239, v248, v238
	v_lshlrev_b32_e32 v238, 18, v249
	v_lshlrev_b32_e32 v239, 25, v249
	s_delay_alu instid0(VALU_DEP_2) | instskip(NEXT) | instid1(VALU_DEP_2)
	v_and_b32_e32 v238, 0x100000, v238
	v_and_b32_e32 v239, 0x10000000, v239
	s_delay_alu instid0(VALU_DEP_1) | instskip(SKIP_2) | instid1(VALU_DEP_2)
	v_or3_b32 v250, v239, v250, v238
	v_lshlrev_b32_e32 v238, 18, v251
	v_lshlrev_b32_e32 v239, 25, v251
	v_and_b32_e32 v238, 0x100000, v238
	s_delay_alu instid0(VALU_DEP_2) | instskip(NEXT) | instid1(VALU_DEP_1)
	v_and_b32_e32 v239, 0x10000000, v239
	v_or3_b32 v252, v239, v252, v238
	v_lshlrev_b32_e32 v238, 18, v253
	v_lshlrev_b32_e32 v239, 25, v253
	s_delay_alu instid0(VALU_DEP_2) | instskip(NEXT) | instid1(VALU_DEP_2)
	v_and_b32_e32 v238, 0x100000, v238
	v_and_b32_e32 v239, 0x10000000, v239
	s_delay_alu instid0(VALU_DEP_1) | instskip(SKIP_3) | instid1(VALU_DEP_3)
	v_or3_b32 v254, v239, v233, v238
	v_lshlrev_b32_e32 v233, 4, v227
	v_lshlrev_b32_e32 v238, 18, v227
	;; [unrolled: 1-line block ×3, first 2 shown]
	v_and_b32_e32 v233, 16, v233
	s_delay_alu instid0(VALU_DEP_3) | instskip(NEXT) | instid1(VALU_DEP_3)
	v_and_b32_e32 v238, 0x100000, v238
	v_and_b32_e32 v239, 0x10000000, v239
	s_delay_alu instid0(VALU_DEP_1) | instskip(SKIP_4) | instid1(VALU_DEP_3)
	v_or3_b32 v255, v238, v239, v233
	v_lshlrev_b32_e32 v233, 18, v62
	v_lshlrev_b32_e32 v238, 25, v62
	s_waitcnt vmcnt(1)
	v_and_b32_e32 v239, 0xf0f0f0f, v234
	v_and_b32_e32 v233, 0x100000, v233
	s_delay_alu instid0(VALU_DEP_3) | instskip(NEXT) | instid1(VALU_DEP_1)
	v_and_b32_e32 v238, 0x10000000, v238
	v_or3_b32 v66, v238, v239, v233
	v_lshlrev_b32_e32 v233, 18, v65
	v_lshlrev_b32_e32 v238, 25, v65
	s_waitcnt vmcnt(0)
	v_and_b32_e32 v239, 0xf0f0f0f, v224
	s_delay_alu instid0(VALU_DEP_3) | instskip(NEXT) | instid1(VALU_DEP_3)
	v_and_b32_e32 v233, 0x100000, v233
	v_and_b32_e32 v238, 0x10000000, v238
	s_delay_alu instid0(VALU_DEP_1) | instskip(SKIP_3) | instid1(VALU_DEP_3)
	v_or3_b32 v63, v238, v239, v233
	v_lshrrev_b32_e32 v233, 4, v234
	v_lshlrev_b32_e32 v234, 18, v61
	v_lshlrev_b32_e32 v238, 25, v61
	v_and_b32_e32 v233, 0xf0f0f0f, v233
	s_delay_alu instid0(VALU_DEP_3) | instskip(NEXT) | instid1(VALU_DEP_3)
	v_and_b32_e32 v234, 0x100000, v234
	v_and_b32_e32 v238, 0x10000000, v238
	s_delay_alu instid0(VALU_DEP_1) | instskip(SKIP_2) | instid1(VALU_DEP_2)
	v_or3_b32 v60, v238, v233, v234
	v_lshlrev_b32_e32 v233, 18, v68
	v_lshlrev_b32_e32 v234, 25, v68
	v_and_b32_e32 v233, 0x100000, v233
	s_delay_alu instid0(VALU_DEP_2) | instskip(NEXT) | instid1(VALU_DEP_1)
	v_and_b32_e32 v234, 0x10000000, v234
	v_or3_b32 v64, v233, v234, v228
	v_lshlrev_b32_e32 v228, 4, v225
	v_lshlrev_b32_e32 v225, 11, v225
	s_delay_alu instid0(VALU_DEP_2) | instskip(NEXT) | instid1(VALU_DEP_2)
	v_and_b32_e32 v228, 16, v228
	v_and_b32_e32 v225, 0x1000, v225
	s_delay_alu instid0(VALU_DEP_1) | instskip(SKIP_2) | instid1(VALU_DEP_2)
	v_or3_b32 v238, v235, v228, v225
	v_lshlrev_b32_e32 v225, 4, v236
	v_lshlrev_b32_e32 v228, 11, v236
	v_and_b32_e32 v225, 16, v225
	s_delay_alu instid0(VALU_DEP_2) | instskip(NEXT) | instid1(VALU_DEP_1)
	v_and_b32_e32 v228, 0x1000, v228
	v_or3_b32 v239, v237, v225, v228
	v_lshlrev_b32_e32 v225, 4, v241
	v_lshlrev_b32_e32 v228, 11, v241
	s_delay_alu instid0(VALU_DEP_2) | instskip(NEXT) | instid1(VALU_DEP_2)
	v_and_b32_e32 v225, 16, v225
	v_and_b32_e32 v228, 0x1000, v228
	s_delay_alu instid0(VALU_DEP_1) | instskip(SKIP_1) | instid1(VALU_DEP_1)
	v_or3_b32 v237, v229, v225, v228
	v_lshrrev_b32_e32 v225, 4, v230
	v_and_b32_e32 v225, 0xf0f0f0f, v225
	s_delay_alu instid0(VALU_DEP_1) | instskip(SKIP_2) | instid1(VALU_DEP_2)
	v_or3_b32 v236, v242, v21, v225
	v_lshlrev_b32_e32 v21, 4, v243
	v_lshlrev_b32_e32 v225, 11, v243
	v_and_b32_e32 v21, 16, v21
	s_delay_alu instid0(VALU_DEP_2) | instskip(NEXT) | instid1(VALU_DEP_1)
	v_and_b32_e32 v225, 0x1000, v225
	v_or3_b32 v235, v244, v21, v225
	v_lshlrev_b32_e32 v21, 4, v245
	v_lshlrev_b32_e32 v225, 11, v245
	s_delay_alu instid0(VALU_DEP_2) | instskip(NEXT) | instid1(VALU_DEP_2)
	v_and_b32_e32 v21, 16, v21
	v_and_b32_e32 v225, 0x1000, v225
	s_delay_alu instid0(VALU_DEP_1) | instskip(SKIP_2) | instid1(VALU_DEP_2)
	v_or3_b32 v234, v246, v21, v225
	v_lshlrev_b32_e32 v21, 4, v247
	v_lshlrev_b32_e32 v225, 11, v247
	v_and_b32_e32 v21, 16, v21
	s_delay_alu instid0(VALU_DEP_2) | instskip(NEXT) | instid1(VALU_DEP_1)
	v_and_b32_e32 v225, 0x1000, v225
	v_or3_b32 v233, v231, v21, v225
	v_lshrrev_b32_e32 v21, 4, v232
	v_lshlrev_b32_e32 v225, 11, v226
	s_delay_alu instid0(VALU_DEP_2) | instskip(NEXT) | instid1(VALU_DEP_2)
	v_and_b32_e32 v21, 0xf0f0f0f, v21
	v_and_b32_e32 v225, 0x1000, v225
	s_delay_alu instid0(VALU_DEP_1) | instskip(SKIP_2) | instid1(VALU_DEP_2)
	v_or3_b32 v232, v248, v225, v21
	v_lshlrev_b32_e32 v21, 4, v249
	v_lshlrev_b32_e32 v225, 11, v249
	v_and_b32_e32 v21, 16, v21
	s_delay_alu instid0(VALU_DEP_2) | instskip(NEXT) | instid1(VALU_DEP_1)
	v_and_b32_e32 v225, 0x1000, v225
	v_or3_b32 v231, v250, v21, v225
	v_lshlrev_b32_e32 v21, 4, v251
	v_lshlrev_b32_e32 v225, 11, v251
	s_delay_alu instid0(VALU_DEP_2) | instskip(NEXT) | instid1(VALU_DEP_2)
	v_and_b32_e32 v21, 16, v21
	v_and_b32_e32 v225, 0x1000, v225
	s_delay_alu instid0(VALU_DEP_1) | instskip(SKIP_2) | instid1(VALU_DEP_2)
	v_or3_b32 v230, v252, v21, v225
	v_lshlrev_b32_e32 v21, 4, v253
	v_lshlrev_b32_e32 v225, 11, v253
	v_and_b32_e32 v21, 16, v21
	s_delay_alu instid0(VALU_DEP_2) | instskip(NEXT) | instid1(VALU_DEP_1)
	v_and_b32_e32 v225, 0x1000, v225
	v_or3_b32 v229, v254, v21, v225
	v_lshrrev_b32_e32 v21, 4, v240
	v_lshlrev_b32_e32 v225, 11, v227
	s_delay_alu instid0(VALU_DEP_2) | instskip(NEXT) | instid1(VALU_DEP_2)
	v_and_b32_e32 v21, 0xf0f0f0f, v21
	;; [unrolled: 26-line block ×3, first 2 shown]
	v_and_b32_e32 v60, 0x1000, v60
	s_delay_alu instid0(VALU_DEP_1) | instskip(SKIP_2) | instid1(VALU_DEP_2)
	v_or3_b32 v224, v64, v60, v21
	v_dot4_i32_iu8 v21, v238, v24, 0 neg_lo:[1,1,0]
	v_dot4_i32_iu8 v60, v239, v25, 0 neg_lo:[1,1,0]
	v_cvt_f32_i32_e32 v21, v21
	s_delay_alu instid0(VALU_DEP_2) | instskip(NEXT) | instid1(VALU_DEP_2)
	v_cvt_f32_i32_e32 v60, v60
	v_fma_f32 v21, v0, v21, -v1
	s_delay_alu instid0(VALU_DEP_2) | instskip(NEXT) | instid1(VALU_DEP_2)
	v_fma_f32 v60, v0, v60, -v1
	v_fma_mix_f32 v21, v21, v22, 0 op_sel_hi:[0,1,0]
	s_delay_alu instid0(VALU_DEP_1) | instskip(SKIP_1) | instid1(VALU_DEP_1)
	v_fma_mix_f32 v21, v60, v22, v21 op_sel_hi:[0,1,0]
	v_dot4_i32_iu8 v60, v237, v26, 0 neg_lo:[1,1,0]
	v_cvt_f32_i32_e32 v60, v60
	s_delay_alu instid0(VALU_DEP_1) | instskip(NEXT) | instid1(VALU_DEP_1)
	v_fma_f32 v60, v0, v60, -v1
	v_fma_mix_f32 v21, v60, v22, v21 op_sel_hi:[0,1,0]
	v_dot4_i32_iu8 v60, v236, v27, 0 neg_lo:[1,1,0]
	s_delay_alu instid0(VALU_DEP_1) | instskip(NEXT) | instid1(VALU_DEP_1)
	v_cvt_f32_i32_e32 v60, v60
	v_fma_f32 v60, v0, v60, -v1
	s_delay_alu instid0(VALU_DEP_1) | instskip(SKIP_1) | instid1(VALU_DEP_1)
	v_fma_mix_f32 v21, v60, v22, v21 op_sel_hi:[0,1,0]
	v_dot4_i32_iu8 v60, v235, v28, 0 neg_lo:[1,1,0]
	v_cvt_f32_i32_e32 v60, v60
	s_delay_alu instid0(VALU_DEP_1) | instskip(NEXT) | instid1(VALU_DEP_1)
	v_fma_f32 v60, v2, v60, -v3
	v_fma_mix_f32 v21, v60, v23, v21 op_sel_hi:[0,1,0]
	v_dot4_i32_iu8 v60, v234, v29, 0 neg_lo:[1,1,0]
	s_delay_alu instid0(VALU_DEP_1) | instskip(NEXT) | instid1(VALU_DEP_1)
	v_cvt_f32_i32_e32 v60, v60
	v_fma_f32 v60, v2, v60, -v3
	s_delay_alu instid0(VALU_DEP_1) | instskip(SKIP_1) | instid1(VALU_DEP_1)
	v_fma_mix_f32 v21, v60, v23, v21 op_sel_hi:[0,1,0]
	v_dot4_i32_iu8 v60, v233, v30, 0 neg_lo:[1,1,0]
	v_cvt_f32_i32_e32 v60, v60
	s_delay_alu instid0(VALU_DEP_1) | instskip(NEXT) | instid1(VALU_DEP_1)
	v_fma_f32 v60, v2, v60, -v3
	v_fma_mix_f32 v21, v60, v23, v21 op_sel_hi:[0,1,0]
	v_dot4_i32_iu8 v60, v232, v31, 0 neg_lo:[1,1,0]
	s_delay_alu instid0(VALU_DEP_1) | instskip(NEXT) | instid1(VALU_DEP_1)
	v_cvt_f32_i32_e32 v60, v60
	v_fma_f32 v60, v2, v60, -v3
	s_delay_alu instid0(VALU_DEP_1) | instskip(SKIP_1) | instid1(VALU_DEP_1)
	v_fma_mix_f32 v21, v60, v23, v21 op_sel_hi:[0,1,0]
	v_dot4_i32_iu8 v60, v231, v32, 0 neg_lo:[1,1,0]
	v_cvt_f32_i32_e32 v60, v60
	s_delay_alu instid0(VALU_DEP_1) | instskip(NEXT) | instid1(VALU_DEP_1)
	v_fma_f32 v60, v4, v60, -v5
	v_fma_mix_f32 v21, v60, v58, v21 op_sel_hi:[0,1,0]
	v_dot4_i32_iu8 v60, v230, v33, 0 neg_lo:[1,1,0]
	s_delay_alu instid0(VALU_DEP_1) | instskip(NEXT) | instid1(VALU_DEP_1)
	v_cvt_f32_i32_e32 v60, v60
	v_fma_f32 v60, v4, v60, -v5
	s_delay_alu instid0(VALU_DEP_1) | instskip(SKIP_1) | instid1(VALU_DEP_1)
	v_fma_mix_f32 v21, v60, v58, v21 op_sel_hi:[0,1,0]
	v_dot4_i32_iu8 v60, v229, v34, 0 neg_lo:[1,1,0]
	v_cvt_f32_i32_e32 v60, v60
	s_delay_alu instid0(VALU_DEP_1) | instskip(NEXT) | instid1(VALU_DEP_1)
	v_fma_f32 v60, v4, v60, -v5
	v_fma_mix_f32 v21, v60, v58, v21 op_sel_hi:[0,1,0]
	v_dot4_i32_iu8 v60, v228, v35, 0 neg_lo:[1,1,0]
	s_delay_alu instid0(VALU_DEP_1) | instskip(NEXT) | instid1(VALU_DEP_1)
	v_cvt_f32_i32_e32 v60, v60
	v_fma_f32 v60, v4, v60, -v5
	s_delay_alu instid0(VALU_DEP_1) | instskip(SKIP_1) | instid1(VALU_DEP_1)
	v_fma_mix_f32 v21, v60, v58, v21 op_sel_hi:[0,1,0]
	v_dot4_i32_iu8 v60, v227, v36, 0 neg_lo:[1,1,0]
	v_cvt_f32_i32_e32 v60, v60
	s_delay_alu instid0(VALU_DEP_1) | instskip(NEXT) | instid1(VALU_DEP_1)
	v_fma_f32 v60, v6, v60, -v7
	v_fma_mix_f32 v21, v60, v59, v21 op_sel_hi:[0,1,0]
	v_dot4_i32_iu8 v60, v226, v37, 0 neg_lo:[1,1,0]
	s_delay_alu instid0(VALU_DEP_1) | instskip(NEXT) | instid1(VALU_DEP_1)
	v_cvt_f32_i32_e32 v60, v60
	v_fma_f32 v60, v6, v60, -v7
	s_delay_alu instid0(VALU_DEP_1) | instskip(SKIP_1) | instid1(VALU_DEP_1)
	v_fma_mix_f32 v21, v60, v59, v21 op_sel_hi:[0,1,0]
	v_dot4_i32_iu8 v60, v225, v38, 0 neg_lo:[1,1,0]
	v_cvt_f32_i32_e32 v60, v60
	s_delay_alu instid0(VALU_DEP_1) | instskip(NEXT) | instid1(VALU_DEP_1)
	v_fma_f32 v60, v6, v60, -v7
	v_fma_mix_f32 v21, v60, v59, v21 op_sel_hi:[0,1,0]
	v_dot4_i32_iu8 v60, v224, v39, 0 neg_lo:[1,1,0]
	s_delay_alu instid0(VALU_DEP_1) | instskip(NEXT) | instid1(VALU_DEP_1)
	v_cvt_f32_i32_e32 v60, v60
	v_fma_f32 v60, v6, v60, -v7
	s_delay_alu instid0(VALU_DEP_1)
	v_fma_mix_f32 v21, v60, v59, v21 op_sel_hi:[0,1,0]
	ds_bpermute_b32 v60, v72, v21
	s_waitcnt lgkmcnt(0)
	v_add_f32_e32 v21, v21, v60
	s_cbranch_vccz .LBB19_19
; %bb.18:                               ;   in Loop: Header=BB19_17 Depth=1
	v_add_co_u32 v240, vcc_lo, v82, s7
	v_add_co_ci_u32_e32 v241, vcc_lo, s13, v83, vcc_lo
	global_load_u16 v60, v[240:241], off offset:-2
	s_waitcnt vmcnt(0)
	v_fma_mix_f32 v21, v67, v60, v21 op_sel_hi:[0,1,0]
.LBB19_19:                              ;   in Loop: Header=BB19_17 Depth=1
	v_dot4_i32_iu8 v60, v238, v40, 0 neg_lo:[1,1,0]
	v_dot4_i32_iu8 v61, v239, v41, 0 neg_lo:[1,1,0]
	v_cvt_f32_f16_e32 v22, v22
	v_dot4_i32_iu8 v62, v237, v42, 0 neg_lo:[1,1,0]
	v_dot4_i32_iu8 v63, v236, v43, 0 neg_lo:[1,1,0]
	v_cvt_f32_i32_e32 v60, v60
	v_cvt_f32_i32_e32 v61, v61
	v_dot4_i32_iu8 v64, v235, v44, 0 neg_lo:[1,1,0]
	v_cvt_f32_i32_e32 v62, v62
	v_cvt_f32_i32_e32 v63, v63
	v_fma_f32 v60, v8, v60, -v9
	v_fma_f32 v61, v8, v61, -v9
	v_cvt_f32_i32_e32 v64, v64
	v_fma_f32 v62, v8, v62, -v9
	v_fma_f32 v63, v8, v63, -v9
	v_fma_f32 v60, v60, v22, 0
	v_cvt_f32_f16_e32 v23, v23
	v_fma_f32 v64, v10, v64, -v11
	v_cvt_f32_f16_e32 v58, v58
	s_and_not1_b32 vcc_lo, exec_lo, s38
	v_fmac_f32_e32 v60, v61, v22
	v_dot4_i32_iu8 v61, v234, v45, 0 neg_lo:[1,1,0]
	s_delay_alu instid0(VALU_DEP_2) | instskip(SKIP_1) | instid1(VALU_DEP_3)
	v_fmac_f32_e32 v60, v62, v22
	v_dot4_i32_iu8 v62, v233, v46, 0 neg_lo:[1,1,0]
	v_cvt_f32_i32_e32 v61, v61
	s_delay_alu instid0(VALU_DEP_3) | instskip(SKIP_1) | instid1(VALU_DEP_4)
	v_fmac_f32_e32 v60, v63, v22
	v_dot4_i32_iu8 v22, v232, v47, 0 neg_lo:[1,1,0]
	v_cvt_f32_i32_e32 v62, v62
	s_delay_alu instid0(VALU_DEP_4) | instskip(SKIP_4) | instid1(VALU_DEP_4)
	v_fma_f32 v61, v10, v61, -v11
	v_dot4_i32_iu8 v63, v231, v48, 0 neg_lo:[1,1,0]
	v_fmac_f32_e32 v60, v64, v23
	v_cvt_f32_i32_e32 v22, v22
	v_fma_f32 v62, v10, v62, -v11
	v_cvt_f32_i32_e32 v63, v63
	s_delay_alu instid0(VALU_DEP_4) | instskip(SKIP_2) | instid1(VALU_DEP_4)
	v_fmac_f32_e32 v60, v61, v23
	v_dot4_i32_iu8 v61, v230, v49, 0 neg_lo:[1,1,0]
	v_fma_f32 v22, v10, v22, -v11
	v_fma_f32 v63, v12, v63, -v13
	s_delay_alu instid0(VALU_DEP_4) | instskip(SKIP_2) | instid1(VALU_DEP_3)
	v_fmac_f32_e32 v60, v62, v23
	v_dot4_i32_iu8 v62, v229, v50, 0 neg_lo:[1,1,0]
	v_cvt_f32_i32_e32 v61, v61
	v_fmac_f32_e32 v60, v22, v23
	v_dot4_i32_iu8 v22, v228, v51, 0 neg_lo:[1,1,0]
	s_delay_alu instid0(VALU_DEP_4) | instskip(NEXT) | instid1(VALU_DEP_4)
	v_cvt_f32_i32_e32 v23, v62
	v_fma_f32 v61, v12, v61, -v13
	v_dot4_i32_iu8 v62, v227, v52, 0 neg_lo:[1,1,0]
	v_fmac_f32_e32 v60, v63, v58
	v_cvt_f32_i32_e32 v22, v22
	v_fma_f32 v23, v12, v23, -v13
	s_delay_alu instid0(VALU_DEP_4) | instskip(NEXT) | instid1(VALU_DEP_4)
	v_cvt_f32_i32_e32 v62, v62
	v_fmac_f32_e32 v60, v61, v58
	v_dot4_i32_iu8 v61, v226, v53, 0 neg_lo:[1,1,0]
	v_fma_f32 v22, v12, v22, -v13
	s_delay_alu instid0(VALU_DEP_4) | instskip(NEXT) | instid1(VALU_DEP_4)
	v_fma_f32 v62, v14, v62, -v222
	v_fmac_f32_e32 v60, v23, v58
	v_cvt_f32_f16_e32 v23, v59
	v_dot4_i32_iu8 v59, v225, v54, 0 neg_lo:[1,1,0]
	v_cvt_f32_i32_e32 v61, v61
	s_delay_alu instid0(VALU_DEP_4) | instskip(NEXT) | instid1(VALU_DEP_3)
	v_fmac_f32_e32 v60, v22, v58
	v_cvt_f32_i32_e32 v22, v59
	s_delay_alu instid0(VALU_DEP_3) | instskip(SKIP_1) | instid1(VALU_DEP_4)
	v_fma_f32 v58, v14, v61, -v222
	v_dot4_i32_iu8 v59, v224, v55, 0 neg_lo:[1,1,0]
	v_fmac_f32_e32 v60, v62, v23
	s_delay_alu instid0(VALU_DEP_4) | instskip(NEXT) | instid1(VALU_DEP_2)
	v_fma_f32 v22, v14, v22, -v222
	v_fmac_f32_e32 v60, v58, v23
	s_delay_alu instid0(VALU_DEP_4) | instskip(NEXT) | instid1(VALU_DEP_2)
	v_cvt_f32_i32_e32 v58, v59
	v_fmac_f32_e32 v60, v22, v23
	s_delay_alu instid0(VALU_DEP_2) | instskip(NEXT) | instid1(VALU_DEP_1)
	v_fma_f32 v22, v14, v58, -v222
	v_fmac_f32_e32 v60, v22, v23
	ds_bpermute_b32 v22, v72, v60
	s_waitcnt lgkmcnt(0)
	v_add_f32_e32 v22, v60, v22
	s_cbranch_vccnz .LBB19_21
; %bb.20:                               ;   in Loop: Header=BB19_17 Depth=1
	v_add_co_u32 v58, vcc_lo, v70, s7
	v_add_co_ci_u32_e32 v59, vcc_lo, s13, v71, vcc_lo
	global_load_u16 v23, v[58:59], off
	s_waitcnt vmcnt(0)
	v_fma_mix_f32 v22, v67, v23, v22 op_sel_hi:[0,1,0]
.LBB19_21:                              ;   in Loop: Header=BB19_17 Depth=1
	v_add_co_u32 v225, vcc_lo, v80, s5
	v_add_co_ci_u32_e32 v226, vcc_lo, 0, v81, vcc_lo
	s_clause 0x7
	global_load_b32 v23, v[225:226], off
	global_load_u16 v60, v[225:226], off offset:4
	global_load_b32 v58, v[225:226], off offset:22
	global_load_u16 v61, v[225:226], off offset:26
	global_load_b32 v59, v[225:226], off offset:44
	;; [unrolled: 2-line block ×3, first 2 shown]
	global_load_u16 v63, v[225:226], off offset:70
	v_add_co_u32 v225, vcc_lo, v78, s5
	v_add_co_ci_u32_e32 v226, vcc_lo, 0, v79, vcc_lo
	s_and_not1_b32 vcc_lo, exec_lo, s27
	s_clause 0x7
	global_load_b32 v64, v[225:226], off offset:6
	global_load_b32 v65, v[225:226], off offset:14
	;; [unrolled: 1-line block ×8, first 2 shown]
	s_waitcnt vmcnt(14)
	v_perm_b32 v60, v23, v60, 0x1000706
	s_waitcnt vmcnt(12)
	v_perm_b32 v61, v58, v61, 0x1000706
	;; [unrolled: 2-line block ×3, first 2 shown]
	v_ashrrev_i32_e32 v226, v69, v60
	s_waitcnt vmcnt(8)
	v_perm_b32 v63, v224, v63, 0x1000706
	s_waitcnt vmcnt(7)
	v_and_b32_e32 v232, 0xf0f0f0f, v64
	s_waitcnt vmcnt(6)
	v_and_b32_e32 v234, 0xf0f0f0f, v65
	v_lshrrev_b32_e32 v64, 4, v64
	v_lshlrev_b32_e32 v230, 18, v226
	v_lshlrev_b32_e32 v231, 25, v226
	s_waitcnt vmcnt(5)
	v_and_b32_e32 v238, 0xf0f0f0f, v66
	v_ashrrev_i32_e32 v242, v218, v61
	v_and_b32_e32 v64, 0xf0f0f0f, v64
	v_and_b32_e32 v230, 0x100000, v230
	;; [unrolled: 1-line block ×3, first 2 shown]
	s_waitcnt vmcnt(4)
	v_and_b32_e32 v239, 0xf0f0f0f, v68
	v_ashrrev_i32_e32 v244, v219, v61
	v_lshrrev_b32_e32 v66, 4, v66
	v_ashrrev_i32_e32 v246, v69, v62
	v_or3_b32 v230, v231, v232, v230
	v_ashrrev_i32_e32 v231, v218, v60
	v_ashrrev_i32_e32 v248, v218, v62
	v_and_b32_e32 v66, 0xf0f0f0f, v66
	v_ashrrev_i32_e32 v250, v219, v62
	v_ashrrev_i32_e32 v62, v220, v62
	v_lshlrev_b32_e32 v232, 18, v231
	v_lshlrev_b32_e32 v233, 25, v231
	v_ashrrev_i32_e32 v252, v69, v63
	v_ashrrev_i32_e32 v254, v218, v63
	;; [unrolled: 1-line block ×3, first 2 shown]
	v_and_b32_e32 v232, 0x100000, v232
	v_and_b32_e32 v233, 0x10000000, v233
	v_ashrrev_i32_e32 v63, v220, v63
	s_delay_alu instid0(VALU_DEP_2) | instskip(SKIP_2) | instid1(VALU_DEP_2)
	v_or3_b32 v232, v233, v234, v232
	v_ashrrev_i32_e32 v233, v219, v60
	v_ashrrev_i32_e32 v60, v220, v60
	v_lshlrev_b32_e32 v234, 18, v233
	v_lshlrev_b32_e32 v235, 25, v233
	s_delay_alu instid0(VALU_DEP_3) | instskip(NEXT) | instid1(VALU_DEP_3)
	v_lshlrev_b32_e32 v236, 25, v60
	v_and_b32_e32 v234, 0x100000, v234
	s_delay_alu instid0(VALU_DEP_3) | instskip(NEXT) | instid1(VALU_DEP_3)
	v_and_b32_e32 v235, 0x10000000, v235
	v_and_b32_e32 v236, 0x10000000, v236
	s_delay_alu instid0(VALU_DEP_2) | instskip(SKIP_3) | instid1(VALU_DEP_3)
	v_or3_b32 v64, v235, v64, v234
	v_lshlrev_b32_e32 v234, 4, v60
	v_lshlrev_b32_e32 v235, 18, v60
	;; [unrolled: 1-line block ×3, first 2 shown]
	v_and_b32_e32 v234, 16, v234
	s_delay_alu instid0(VALU_DEP_3) | instskip(NEXT) | instid1(VALU_DEP_3)
	v_and_b32_e32 v235, 0x100000, v235
	v_and_b32_e32 v60, 0x1000, v60
	s_delay_alu instid0(VALU_DEP_2) | instskip(SKIP_2) | instid1(VALU_DEP_2)
	v_or3_b32 v234, v235, v236, v234
	v_ashrrev_i32_e32 v235, v69, v61
	v_ashrrev_i32_e32 v61, v220, v61
	v_lshlrev_b32_e32 v236, 18, v235
	v_lshlrev_b32_e32 v237, 25, v235
	s_delay_alu instid0(VALU_DEP_2) | instskip(NEXT) | instid1(VALU_DEP_2)
	v_and_b32_e32 v236, 0x100000, v236
	v_and_b32_e32 v237, 0x10000000, v237
	s_delay_alu instid0(VALU_DEP_1) | instskip(SKIP_2) | instid1(VALU_DEP_2)
	v_or3_b32 v236, v237, v238, v236
	v_lshlrev_b32_e32 v237, 18, v242
	v_lshlrev_b32_e32 v238, 25, v242
	v_and_b32_e32 v237, 0x100000, v237
	s_delay_alu instid0(VALU_DEP_2) | instskip(NEXT) | instid1(VALU_DEP_1)
	v_and_b32_e32 v238, 0x10000000, v238
	v_or3_b32 v243, v238, v239, v237
	v_lshlrev_b32_e32 v237, 18, v244
	v_lshlrev_b32_e32 v238, 25, v244
	;; [unrolled: 1-line block ×3, first 2 shown]
	s_delay_alu instid0(VALU_DEP_3) | instskip(NEXT) | instid1(VALU_DEP_3)
	v_and_b32_e32 v237, 0x100000, v237
	v_and_b32_e32 v238, 0x10000000, v238
	s_delay_alu instid0(VALU_DEP_3) | instskip(NEXT) | instid1(VALU_DEP_2)
	v_and_b32_e32 v239, 0x10000000, v239
	v_or3_b32 v66, v238, v66, v237
	v_lshlrev_b32_e32 v237, 4, v61
	v_lshlrev_b32_e32 v238, 18, v61
	;; [unrolled: 1-line block ×3, first 2 shown]
	s_delay_alu instid0(VALU_DEP_3) | instskip(NEXT) | instid1(VALU_DEP_3)
	v_and_b32_e32 v237, 16, v237
	v_and_b32_e32 v238, 0x100000, v238
	s_delay_alu instid0(VALU_DEP_3) | instskip(NEXT) | instid1(VALU_DEP_2)
	v_and_b32_e32 v61, 0x1000, v61
	v_or3_b32 v245, v238, v239, v237
	v_lshlrev_b32_e32 v237, 18, v246
	v_lshlrev_b32_e32 v238, 25, v246
	s_waitcnt vmcnt(3)
	v_and_b32_e32 v239, 0xf0f0f0f, v227
	v_lshrrev_b32_e32 v227, 4, v227
	v_and_b32_e32 v237, 0x100000, v237
	v_and_b32_e32 v238, 0x10000000, v238
	s_delay_alu instid0(VALU_DEP_3) | instskip(NEXT) | instid1(VALU_DEP_2)
	v_and_b32_e32 v227, 0xf0f0f0f, v227
	v_or3_b32 v247, v238, v239, v237
	v_lshlrev_b32_e32 v237, 18, v248
	v_lshlrev_b32_e32 v238, 25, v248
	s_waitcnt vmcnt(2)
	v_and_b32_e32 v239, 0xf0f0f0f, v228
	s_delay_alu instid0(VALU_DEP_3) | instskip(NEXT) | instid1(VALU_DEP_3)
	v_and_b32_e32 v237, 0x100000, v237
	v_and_b32_e32 v238, 0x10000000, v238
	s_delay_alu instid0(VALU_DEP_1) | instskip(SKIP_3) | instid1(VALU_DEP_3)
	v_or3_b32 v249, v238, v239, v237
	v_lshlrev_b32_e32 v237, 18, v250
	v_lshlrev_b32_e32 v238, 25, v250
	;; [unrolled: 1-line block ×3, first 2 shown]
	v_and_b32_e32 v237, 0x100000, v237
	s_delay_alu instid0(VALU_DEP_3) | instskip(NEXT) | instid1(VALU_DEP_3)
	v_and_b32_e32 v238, 0x10000000, v238
	v_and_b32_e32 v239, 0x10000000, v239
	s_delay_alu instid0(VALU_DEP_2) | instskip(SKIP_2) | instid1(VALU_DEP_2)
	v_or3_b32 v227, v238, v227, v237
	v_lshlrev_b32_e32 v237, 4, v62
	v_lshlrev_b32_e32 v238, 18, v62
	v_and_b32_e32 v237, 16, v237
	s_delay_alu instid0(VALU_DEP_2) | instskip(NEXT) | instid1(VALU_DEP_1)
	v_and_b32_e32 v238, 0x100000, v238
	v_or3_b32 v251, v238, v239, v237
	v_lshlrev_b32_e32 v237, 18, v252
	v_lshlrev_b32_e32 v238, 25, v252
	s_waitcnt vmcnt(1)
	v_and_b32_e32 v239, 0xf0f0f0f, v229
	v_lshrrev_b32_e32 v229, 4, v229
	v_and_b32_e32 v237, 0x100000, v237
	v_and_b32_e32 v238, 0x10000000, v238
	s_delay_alu instid0(VALU_DEP_3) | instskip(NEXT) | instid1(VALU_DEP_2)
	v_and_b32_e32 v229, 0xf0f0f0f, v229
	v_or3_b32 v253, v238, v239, v237
	v_lshlrev_b32_e32 v237, 18, v254
	v_lshlrev_b32_e32 v238, 25, v254
	s_waitcnt vmcnt(0)
	v_and_b32_e32 v239, 0xf0f0f0f, v225
	s_delay_alu instid0(VALU_DEP_3) | instskip(NEXT) | instid1(VALU_DEP_3)
	v_and_b32_e32 v237, 0x100000, v237
	v_and_b32_e32 v238, 0x10000000, v238
	s_delay_alu instid0(VALU_DEP_1) | instskip(SKIP_2) | instid1(VALU_DEP_2)
	v_or3_b32 v255, v238, v239, v237
	v_lshlrev_b32_e32 v237, 18, v73
	v_lshlrev_b32_e32 v238, 25, v73
	v_and_b32_e32 v237, 0x100000, v237
	s_delay_alu instid0(VALU_DEP_2) | instskip(NEXT) | instid1(VALU_DEP_1)
	v_and_b32_e32 v238, 0x10000000, v238
	v_or3_b32 v74, v238, v229, v237
	v_lshlrev_b32_e32 v229, 4, v63
	v_lshlrev_b32_e32 v237, 18, v63
	;; [unrolled: 1-line block ×3, first 2 shown]
	s_delay_alu instid0(VALU_DEP_3) | instskip(NEXT) | instid1(VALU_DEP_3)
	v_and_b32_e32 v229, 16, v229
	v_and_b32_e32 v237, 0x100000, v237
	s_delay_alu instid0(VALU_DEP_3) | instskip(NEXT) | instid1(VALU_DEP_1)
	v_and_b32_e32 v238, 0x10000000, v238
	v_or3_b32 v75, v237, v238, v229
	v_lshlrev_b32_e32 v229, 4, v226
	v_lshlrev_b32_e32 v226, 11, v226
	s_delay_alu instid0(VALU_DEP_2) | instskip(NEXT) | instid1(VALU_DEP_2)
	v_and_b32_e32 v229, 16, v229
	v_and_b32_e32 v226, 0x1000, v226
	s_delay_alu instid0(VALU_DEP_1) | instskip(SKIP_2) | instid1(VALU_DEP_2)
	v_or3_b32 v240, v230, v229, v226
	v_lshlrev_b32_e32 v226, 4, v231
	v_lshlrev_b32_e32 v229, 11, v231
	v_and_b32_e32 v226, 16, v226
	s_delay_alu instid0(VALU_DEP_2) | instskip(NEXT) | instid1(VALU_DEP_1)
	v_and_b32_e32 v229, 0x1000, v229
	v_or3_b32 v241, v232, v226, v229
	v_lshlrev_b32_e32 v226, 4, v233
	v_lshlrev_b32_e32 v229, 11, v233
	s_delay_alu instid0(VALU_DEP_2) | instskip(NEXT) | instid1(VALU_DEP_2)
	v_and_b32_e32 v226, 16, v226
	v_and_b32_e32 v229, 0x1000, v229
	s_delay_alu instid0(VALU_DEP_1) | instskip(SKIP_1) | instid1(VALU_DEP_1)
	v_or3_b32 v239, v64, v226, v229
	v_lshrrev_b32_e32 v64, 4, v65
	v_and_b32_e32 v64, 0xf0f0f0f, v64
	s_delay_alu instid0(VALU_DEP_1) | instskip(SKIP_2) | instid1(VALU_DEP_2)
	v_or3_b32 v238, v234, v60, v64
	v_lshlrev_b32_e32 v60, 4, v235
	v_lshlrev_b32_e32 v64, 11, v235
	v_and_b32_e32 v60, 16, v60
	s_delay_alu instid0(VALU_DEP_2) | instskip(NEXT) | instid1(VALU_DEP_1)
	v_and_b32_e32 v64, 0x1000, v64
	v_or3_b32 v237, v236, v60, v64
	v_lshlrev_b32_e32 v60, 4, v242
	v_lshlrev_b32_e32 v64, 11, v242
	s_delay_alu instid0(VALU_DEP_2) | instskip(NEXT) | instid1(VALU_DEP_2)
	v_and_b32_e32 v60, 16, v60
	v_and_b32_e32 v64, 0x1000, v64
	s_delay_alu instid0(VALU_DEP_1) | instskip(SKIP_2) | instid1(VALU_DEP_2)
	v_or3_b32 v236, v243, v60, v64
	v_lshlrev_b32_e32 v60, 4, v244
	v_lshlrev_b32_e32 v64, 11, v244
	v_and_b32_e32 v60, 16, v60
	s_delay_alu instid0(VALU_DEP_2) | instskip(NEXT) | instid1(VALU_DEP_1)
	v_and_b32_e32 v64, 0x1000, v64
	v_or3_b32 v235, v66, v60, v64
	v_lshrrev_b32_e32 v60, 4, v68
	s_delay_alu instid0(VALU_DEP_1) | instskip(NEXT) | instid1(VALU_DEP_1)
	v_and_b32_e32 v60, 0xf0f0f0f, v60
	v_or3_b32 v234, v245, v61, v60
	v_lshlrev_b32_e32 v60, 4, v246
	v_lshlrev_b32_e32 v61, 11, v246
	s_delay_alu instid0(VALU_DEP_2) | instskip(NEXT) | instid1(VALU_DEP_2)
	v_and_b32_e32 v60, 16, v60
	v_and_b32_e32 v61, 0x1000, v61
	s_delay_alu instid0(VALU_DEP_1) | instskip(SKIP_2) | instid1(VALU_DEP_2)
	v_or3_b32 v233, v247, v60, v61
	v_lshlrev_b32_e32 v60, 4, v248
	v_lshlrev_b32_e32 v61, 11, v248
	v_and_b32_e32 v60, 16, v60
	s_delay_alu instid0(VALU_DEP_2) | instskip(NEXT) | instid1(VALU_DEP_1)
	v_and_b32_e32 v61, 0x1000, v61
	v_or3_b32 v232, v249, v60, v61
	v_lshlrev_b32_e32 v60, 4, v250
	v_lshlrev_b32_e32 v61, 11, v250
	s_delay_alu instid0(VALU_DEP_2) | instskip(NEXT) | instid1(VALU_DEP_2)
	v_and_b32_e32 v60, 16, v60
	v_and_b32_e32 v61, 0x1000, v61
	s_delay_alu instid0(VALU_DEP_1) | instskip(SKIP_2) | instid1(VALU_DEP_2)
	v_or3_b32 v231, v227, v60, v61
	v_lshrrev_b32_e32 v60, 4, v228
	v_lshlrev_b32_e32 v61, 11, v62
	v_and_b32_e32 v60, 0xf0f0f0f, v60
	s_delay_alu instid0(VALU_DEP_2) | instskip(NEXT) | instid1(VALU_DEP_1)
	v_and_b32_e32 v61, 0x1000, v61
	v_or3_b32 v230, v251, v61, v60
	v_lshlrev_b32_e32 v60, 4, v252
	v_lshlrev_b32_e32 v61, 11, v252
	s_delay_alu instid0(VALU_DEP_2) | instskip(NEXT) | instid1(VALU_DEP_2)
	v_and_b32_e32 v60, 16, v60
	v_and_b32_e32 v61, 0x1000, v61
	s_delay_alu instid0(VALU_DEP_1) | instskip(SKIP_2) | instid1(VALU_DEP_2)
	v_or3_b32 v229, v253, v60, v61
	v_lshlrev_b32_e32 v60, 4, v254
	v_lshlrev_b32_e32 v61, 11, v254
	v_and_b32_e32 v60, 16, v60
	s_delay_alu instid0(VALU_DEP_2) | instskip(NEXT) | instid1(VALU_DEP_1)
	v_and_b32_e32 v61, 0x1000, v61
	v_or3_b32 v228, v255, v60, v61
	v_lshlrev_b32_e32 v60, 4, v73
	v_lshlrev_b32_e32 v61, 11, v73
	s_delay_alu instid0(VALU_DEP_2) | instskip(NEXT) | instid1(VALU_DEP_2)
	v_and_b32_e32 v60, 16, v60
	v_and_b32_e32 v61, 0x1000, v61
	s_delay_alu instid0(VALU_DEP_1) | instskip(SKIP_2) | instid1(VALU_DEP_2)
	v_or3_b32 v227, v74, v60, v61
	v_lshrrev_b32_e32 v60, 4, v225
	v_lshlrev_b32_e32 v61, 11, v63
	v_and_b32_e32 v60, 0xf0f0f0f, v60
	s_delay_alu instid0(VALU_DEP_2) | instskip(NEXT) | instid1(VALU_DEP_1)
	v_and_b32_e32 v61, 0x1000, v61
	v_or3_b32 v226, v75, v61, v60
	v_dot4_i32_iu8 v60, v240, v24, 0 neg_lo:[1,1,0]
	v_dot4_i32_iu8 v61, v241, v25, 0 neg_lo:[1,1,0]
	s_delay_alu instid0(VALU_DEP_2) | instskip(NEXT) | instid1(VALU_DEP_2)
	v_cvt_f32_i32_e32 v60, v60
	v_cvt_f32_i32_e32 v61, v61
	s_delay_alu instid0(VALU_DEP_2) | instskip(NEXT) | instid1(VALU_DEP_2)
	v_fma_f32 v60, v0, v60, -v1
	v_fma_f32 v61, v0, v61, -v1
	s_delay_alu instid0(VALU_DEP_2) | instskip(NEXT) | instid1(VALU_DEP_1)
	v_fma_mix_f32 v60, v60, v23, 0 op_sel_hi:[0,1,0]
	v_fma_mix_f32 v60, v61, v23, v60 op_sel_hi:[0,1,0]
	v_dot4_i32_iu8 v61, v239, v26, 0 neg_lo:[1,1,0]
	s_delay_alu instid0(VALU_DEP_1) | instskip(NEXT) | instid1(VALU_DEP_1)
	v_cvt_f32_i32_e32 v61, v61
	v_fma_f32 v61, v0, v61, -v1
	s_delay_alu instid0(VALU_DEP_1) | instskip(SKIP_1) | instid1(VALU_DEP_1)
	v_fma_mix_f32 v60, v61, v23, v60 op_sel_hi:[0,1,0]
	v_dot4_i32_iu8 v61, v238, v27, 0 neg_lo:[1,1,0]
	v_cvt_f32_i32_e32 v61, v61
	s_delay_alu instid0(VALU_DEP_1) | instskip(NEXT) | instid1(VALU_DEP_1)
	v_fma_f32 v61, v0, v61, -v1
	v_fma_mix_f32 v60, v61, v23, v60 op_sel_hi:[0,1,0]
	v_dot4_i32_iu8 v61, v237, v28, 0 neg_lo:[1,1,0]
	s_delay_alu instid0(VALU_DEP_1) | instskip(NEXT) | instid1(VALU_DEP_1)
	v_cvt_f32_i32_e32 v61, v61
	v_fma_f32 v61, v2, v61, -v3
	s_delay_alu instid0(VALU_DEP_1) | instskip(SKIP_1) | instid1(VALU_DEP_1)
	v_fma_mix_f32 v60, v61, v58, v60 op_sel_hi:[0,1,0]
	v_dot4_i32_iu8 v61, v236, v29, 0 neg_lo:[1,1,0]
	v_cvt_f32_i32_e32 v61, v61
	s_delay_alu instid0(VALU_DEP_1) | instskip(NEXT) | instid1(VALU_DEP_1)
	v_fma_f32 v61, v2, v61, -v3
	;; [unrolled: 11-line block ×7, first 2 shown]
	v_fma_mix_f32 v60, v61, v224, v60 op_sel_hi:[0,1,0]
	ds_bpermute_b32 v61, v72, v60
	s_waitcnt lgkmcnt(0)
	v_add_f32_e32 v225, v60, v61
	s_cbranch_vccnz .LBB19_23
; %bb.22:                               ;   in Loop: Header=BB19_17 Depth=1
	v_add_co_u32 v242, vcc_lo, v82, s7
	v_add_co_ci_u32_e32 v243, vcc_lo, s13, v83, vcc_lo
	global_load_u16 v60, v[242:243], off
	s_waitcnt vmcnt(0)
	v_fma_mix_f32 v225, v67, v60, v225 op_sel_hi:[0,1,0]
.LBB19_23:                              ;   in Loop: Header=BB19_17 Depth=1
	v_dot4_i32_iu8 v60, v240, v40, 0 neg_lo:[1,1,0]
	v_dot4_i32_iu8 v61, v241, v41, 0 neg_lo:[1,1,0]
	v_cvt_f32_f16_e32 v23, v23
	v_dot4_i32_iu8 v62, v239, v42, 0 neg_lo:[1,1,0]
	v_dot4_i32_iu8 v63, v238, v43, 0 neg_lo:[1,1,0]
	v_cvt_f32_i32_e32 v60, v60
	v_cvt_f32_i32_e32 v61, v61
	v_dot4_i32_iu8 v64, v237, v44, 0 neg_lo:[1,1,0]
	v_cvt_f32_i32_e32 v62, v62
	v_cvt_f32_i32_e32 v63, v63
	v_fma_f32 v60, v8, v60, -v9
	v_fma_f32 v61, v8, v61, -v9
	v_cvt_f32_i32_e32 v64, v64
	v_fma_f32 v62, v8, v62, -v9
	v_fma_f32 v63, v8, v63, -v9
	v_fma_f32 v60, v60, v23, 0
	v_cvt_f32_f16_e32 v58, v58
	v_fma_f32 v64, v10, v64, -v11
	v_cvt_f32_f16_e32 v59, v59
	s_and_not1_b32 vcc_lo, exec_lo, s38
	v_fmac_f32_e32 v60, v61, v23
	v_dot4_i32_iu8 v61, v236, v45, 0 neg_lo:[1,1,0]
	s_delay_alu instid0(VALU_DEP_2) | instskip(SKIP_1) | instid1(VALU_DEP_3)
	v_fmac_f32_e32 v60, v62, v23
	v_dot4_i32_iu8 v62, v235, v46, 0 neg_lo:[1,1,0]
	v_cvt_f32_i32_e32 v61, v61
	s_delay_alu instid0(VALU_DEP_3) | instskip(SKIP_1) | instid1(VALU_DEP_4)
	v_fmac_f32_e32 v60, v63, v23
	v_dot4_i32_iu8 v23, v234, v47, 0 neg_lo:[1,1,0]
	v_cvt_f32_i32_e32 v62, v62
	s_delay_alu instid0(VALU_DEP_4) | instskip(SKIP_4) | instid1(VALU_DEP_4)
	v_fma_f32 v61, v10, v61, -v11
	v_dot4_i32_iu8 v63, v233, v48, 0 neg_lo:[1,1,0]
	v_fmac_f32_e32 v60, v64, v58
	v_cvt_f32_i32_e32 v23, v23
	v_fma_f32 v62, v10, v62, -v11
	v_cvt_f32_i32_e32 v63, v63
	s_delay_alu instid0(VALU_DEP_4) | instskip(SKIP_2) | instid1(VALU_DEP_4)
	v_fmac_f32_e32 v60, v61, v58
	v_dot4_i32_iu8 v61, v232, v49, 0 neg_lo:[1,1,0]
	v_fma_f32 v23, v10, v23, -v11
	v_fma_f32 v63, v12, v63, -v13
	s_delay_alu instid0(VALU_DEP_4) | instskip(SKIP_2) | instid1(VALU_DEP_3)
	v_fmac_f32_e32 v60, v62, v58
	v_dot4_i32_iu8 v62, v231, v50, 0 neg_lo:[1,1,0]
	v_cvt_f32_i32_e32 v61, v61
	v_fmac_f32_e32 v60, v23, v58
	v_dot4_i32_iu8 v23, v230, v51, 0 neg_lo:[1,1,0]
	s_delay_alu instid0(VALU_DEP_4) | instskip(NEXT) | instid1(VALU_DEP_4)
	v_cvt_f32_i32_e32 v58, v62
	v_fma_f32 v61, v12, v61, -v13
	v_dot4_i32_iu8 v62, v229, v52, 0 neg_lo:[1,1,0]
	v_fmac_f32_e32 v60, v63, v59
	v_cvt_f32_i32_e32 v23, v23
	v_fma_f32 v58, v12, v58, -v13
	v_dot4_i32_iu8 v63, v227, v54, 0 neg_lo:[1,1,0]
	v_cvt_f32_i32_e32 v62, v62
	v_fmac_f32_e32 v60, v61, v59
	v_dot4_i32_iu8 v61, v228, v53, 0 neg_lo:[1,1,0]
	v_fma_f32 v23, v12, v23, -v13
	s_delay_alu instid0(VALU_DEP_4) | instskip(NEXT) | instid1(VALU_DEP_4)
	v_fma_f32 v62, v14, v62, -v222
	v_fmac_f32_e32 v60, v58, v59
	v_cvt_f32_f16_e64 v58, v224
	v_cvt_f32_i32_e32 v61, v61
	s_delay_alu instid0(VALU_DEP_3) | instskip(SKIP_1) | instid1(VALU_DEP_3)
	v_fmac_f32_e32 v60, v23, v59
	v_cvt_f32_i32_e32 v23, v63
	v_fma_f32 v59, v14, v61, -v222
	v_dot4_i32_iu8 v61, v226, v55, 0 neg_lo:[1,1,0]
	s_delay_alu instid0(VALU_DEP_4) | instskip(NEXT) | instid1(VALU_DEP_4)
	v_fmac_f32_e32 v60, v62, v58
	v_fma_f32 v23, v14, v23, -v222
	s_delay_alu instid0(VALU_DEP_2) | instskip(NEXT) | instid1(VALU_DEP_4)
	v_fmac_f32_e32 v60, v59, v58
	v_cvt_f32_i32_e32 v59, v61
	s_delay_alu instid0(VALU_DEP_2) | instskip(NEXT) | instid1(VALU_DEP_2)
	v_fmac_f32_e32 v60, v23, v58
	v_fma_f32 v23, v14, v59, -v222
	s_delay_alu instid0(VALU_DEP_1)
	v_fmac_f32_e32 v60, v23, v58
	ds_bpermute_b32 v23, v72, v60
	s_waitcnt lgkmcnt(0)
	v_add_f32_e32 v23, v60, v23
	s_cbranch_vccnz .LBB19_25
; %bb.24:                               ;   in Loop: Header=BB19_17 Depth=1
	v_add_co_u32 v58, vcc_lo, v84, s7
	v_add_co_ci_u32_e32 v59, vcc_lo, s13, v85, vcc_lo
	global_load_u16 v58, v[58:59], off
	s_waitcnt vmcnt(0)
	v_fma_mix_f32 v23, v67, v58, v23 op_sel_hi:[0,1,0]
.LBB19_25:                              ;   in Loop: Header=BB19_17 Depth=1
	scratch_load_b32 v61, off, off offset:4 ; 4-byte Folded Reload
	v_add_f32_e32 v58, 0x40051340, v21
	v_dual_add_f32 v59, 0x40051340, v225 :: v_dual_add_f32 v60, 0x40051340, v23
	v_cndmask_b32_e64 v21, v223, v21, s1
	v_add_co_u32 v226, vcc_lo, v88, s9
	s_delay_alu instid0(VALU_DEP_3) | instskip(SKIP_1) | instid1(VALU_DEP_4)
	v_max3_f32 v58, v20, v58, v59
	v_add_f32_e32 v59, 0x40051340, v22
	v_cndmask_b32_e64 v21, v225, v21, s1
	v_cndmask_b32_e64 v22, v23, v22, s1
	v_add_co_ci_u32_e32 v227, vcc_lo, 0, v89, vcc_lo
	s_delay_alu instid0(VALU_DEP_4) | instskip(SKIP_1) | instid1(SALU_CYCLE_1)
	v_max3_f32 v59, v15, v59, v60
	s_add_i32 s8, s8, s10
	s_cmp_ge_i32 s8, s37
	s_waitcnt vmcnt(0)
	ds_bpermute_b32 v60, v61, v58
	s_waitcnt lgkmcnt(0)
	v_max_f32_e32 v60, v60, v60
	s_delay_alu instid0(VALU_DEP_1) | instskip(SKIP_4) | instid1(VALU_DEP_1)
	v_max_f32_e32 v58, v58, v60
	ds_bpermute_b32 v60, v61, v59
	scratch_load_b32 v61, off, off offset:8 ; 4-byte Folded Reload
	s_waitcnt lgkmcnt(0)
	v_max_f32_e32 v60, v60, v60
	v_max_f32_e32 v59, v59, v60
	s_waitcnt vmcnt(0)
	ds_bpermute_b32 v60, v61, v58
	s_waitcnt lgkmcnt(0)
	v_max_f32_e32 v60, v60, v60
	s_delay_alu instid0(VALU_DEP_1) | instskip(SKIP_4) | instid1(VALU_DEP_1)
	v_max_f32_e32 v58, v58, v60
	ds_bpermute_b32 v60, v61, v59
	scratch_load_b32 v61, off, off offset:12 ; 4-byte Folded Reload
	s_waitcnt lgkmcnt(0)
	v_max_f32_e32 v60, v60, v60
	v_max_f32_e32 v59, v59, v60
	s_waitcnt vmcnt(0)
	ds_bpermute_b32 v60, v61, v58
	s_waitcnt lgkmcnt(0)
	v_max_f32_e32 v60, v60, v60
	s_delay_alu instid0(VALU_DEP_1) | instskip(SKIP_3) | instid1(VALU_DEP_1)
	v_max_f32_e32 v58, v58, v60
	ds_bpermute_b32 v60, v61, v59
	s_waitcnt lgkmcnt(0)
	v_max_f32_e32 v60, v60, v60
	v_max_f32_e32 v59, v59, v60
	ds_bpermute_b32 v60, v76, v58
	s_waitcnt lgkmcnt(0)
	v_max_f32_e32 v60, v60, v60
	s_delay_alu instid0(VALU_DEP_1)
	v_max_f32_e32 v58, v58, v60
	global_load_b32 v60, v[226:227], off
	v_add_co_u32 v226, vcc_lo, v86, s9
	v_add_co_ci_u32_e32 v227, vcc_lo, 0, v87, vcc_lo
	v_sub_f32_e32 v20, v20, v58
	v_sub_f32_e32 v21, v21, v58
	s_delay_alu instid0(VALU_DEP_2) | instskip(NEXT) | instid1(VALU_DEP_2)
	v_mul_f32_e32 v23, 0x3fb8aa3b, v20
	v_cmp_ngt_f32_e64 s4, 0xc2ce8ed0, v21
	s_delay_alu instid0(VALU_DEP_2) | instskip(SKIP_1) | instid1(VALU_DEP_1)
	v_fma_f32 v62, 0x3fb8aa3b, v20, -v23
	v_rndne_f32_e32 v63, v23
	v_dual_fmac_f32 v62, 0x32a5705f, v20 :: v_dual_sub_f32 v23, v23, v63
	v_cvt_i32_f32_e32 v63, v63
	s_delay_alu instid0(VALU_DEP_2) | instskip(NEXT) | instid1(VALU_DEP_1)
	v_dual_add_f32 v23, v23, v62 :: v_dual_mul_f32 v62, 0x3fb8aa3b, v21
	v_exp_f32_e32 v23, v23
	s_delay_alu instid0(VALU_DEP_1) | instskip(SKIP_1) | instid1(VALU_DEP_2)
	v_fma_f32 v64, 0x3fb8aa3b, v21, -v62
	v_rndne_f32_e32 v65, v62
	v_fmac_f32_e32 v64, 0x32a5705f, v21
	ds_bpermute_b32 v61, v76, v59
	v_sub_f32_e32 v62, v62, v65
	v_ldexp_f32 v23, v23, v63
	v_cvt_i32_f32_e32 v63, v65
	s_delay_alu instid0(VALU_DEP_3) | instskip(NEXT) | instid1(VALU_DEP_1)
	v_add_f32_e32 v62, v62, v64
	v_exp_f32_e32 v62, v62
	s_waitcnt lgkmcnt(0)
	v_max_f32_e32 v61, v61, v61
	s_waitcnt_depctr 0xfff
	v_ldexp_f32 v62, v62, v63
	v_max_f32_e32 v59, v59, v61
	global_load_b32 v61, v[226:227], off
	v_cndmask_b32_e64 v62, 0, v62, s4
	v_cmp_nlt_f32_e64 s4, 0x42b17218, v21
	v_sub_f32_e32 v15, v15, v59
	v_sub_f32_e32 v22, v22, v59
	s_delay_alu instid0(VALU_DEP_3) | instskip(NEXT) | instid1(VALU_DEP_3)
	v_cndmask_b32_e64 v223, 0x7f800000, v62, s4
	v_mul_f32_e32 v64, 0x3fb8aa3b, v15
	s_delay_alu instid0(VALU_DEP_3) | instskip(NEXT) | instid1(VALU_DEP_3)
	v_cmp_ngt_f32_e32 vcc_lo, 0xc2ce8ed0, v22
	v_cvt_f16_f32_e64 v21, v223
	s_delay_alu instid0(VALU_DEP_3) | instskip(SKIP_1) | instid1(VALU_DEP_2)
	v_fma_f32 v66, 0x3fb8aa3b, v15, -v64
	v_rndne_f32_e32 v68, v64
	v_fmac_f32_e32 v66, 0x32a5705f, v15
	s_delay_alu instid0(VALU_DEP_2) | instskip(NEXT) | instid1(VALU_DEP_1)
	v_sub_f32_e32 v64, v64, v68
	v_add_f32_e32 v64, v64, v66
	v_mul_f32_e32 v66, 0x3fb8aa3b, v22
	s_delay_alu instid0(VALU_DEP_2) | instskip(NEXT) | instid1(VALU_DEP_1)
	v_exp_f32_e32 v64, v64
	v_fma_f32 v73, 0x3fb8aa3b, v22, -v66
	v_rndne_f32_e32 v74, v66
	s_delay_alu instid0(VALU_DEP_2) | instskip(NEXT) | instid1(VALU_DEP_2)
	v_fmac_f32_e32 v73, 0x32a5705f, v22
	v_sub_f32_e32 v66, v66, v74
	v_cvt_i32_f32_e32 v65, v74
	s_delay_alu instid0(VALU_DEP_2) | instskip(NEXT) | instid1(VALU_DEP_1)
	v_add_f32_e32 v66, v66, v73
	v_exp_f32_e32 v63, v66
	s_waitcnt_depctr 0xfff
	v_ldexp_f32 v63, v63, v65
	v_cvt_i32_f32_e32 v65, v68
	s_delay_alu instid0(VALU_DEP_2) | instskip(SKIP_1) | instid1(VALU_DEP_3)
	v_cndmask_b32_e32 v63, 0, v63, vcc_lo
	v_cmp_nlt_f32_e32 vcc_lo, 0x42b17218, v22
	v_ldexp_f32 v226, v64, v65
	s_delay_alu instid0(VALU_DEP_3)
	v_cndmask_b32_e32 v224, 0x7f800000, v63, vcc_lo
	scratch_load_b32 v63, off, off          ; 4-byte Folded Reload
	v_cmp_ngt_f32_e32 vcc_lo, 0xc2ce8ed0, v20
	v_cvt_f16_f32_e64 v62, v224
	s_waitcnt vmcnt(0)
	ds_store_b16 v63, v21
	ds_store_b16 v63, v62 offset:256
	v_ashrrev_i32_e32 v22, v221, v60
	v_cndmask_b32_e32 v21, 0, v23, vcc_lo
	v_cmp_nlt_f32_e32 vcc_lo, 0x42b17218, v20
	s_delay_alu instid0(VALU_DEP_3) | instskip(NEXT) | instid1(VALU_DEP_3)
	v_lshrrev_b32_e32 v60, 8, v22
	v_dual_cndmask_b32 v225, 0x7f800000, v21 :: v_dual_and_b32 v64, 15, v22
	v_cmp_ngt_f32_e32 vcc_lo, 0xc2ce8ed0, v15
	s_delay_alu instid0(VALU_DEP_3) | instskip(NEXT) | instid1(VALU_DEP_3)
	v_and_b32_e32 v60, 15, v60
	v_cvt_f16_u16_e32 v64, v64
	s_delay_alu instid0(VALU_DEP_4) | instskip(SKIP_1) | instid1(VALU_DEP_4)
	v_cvt_f16_f32_e64 v229, v225
	v_fma_f32 v56, v56, v225, v223
	v_cvt_f16_u16_e32 v60, v60
	s_delay_alu instid0(VALU_DEP_1) | instskip(SKIP_2) | instid1(VALU_DEP_3)
	v_pack_b32_f16 v60, v64, v60
	v_lshrrev_b32_e32 v64, 16, v22
	v_bfe_u32 v22, v22, 24, 4
	v_pk_fma_f16 v227, v61, v60, v61 op_sel:[0,0,1] op_sel_hi:[0,1,1]
	s_delay_alu instid0(VALU_DEP_3) | instskip(NEXT) | instid1(VALU_DEP_3)
	v_and_b32_e32 v64, 15, v64
	v_cvt_f16_u16_e32 v22, v22
	s_delay_alu instid0(VALU_DEP_2) | instskip(NEXT) | instid1(VALU_DEP_1)
	v_cvt_f16_u16_e32 v64, v64
	v_pack_b32_f16 v22, v64, v22
	s_delay_alu instid0(VALU_DEP_1)
	v_pk_fma_f16 v228, v61, v22, v61 op_sel:[0,0,1] op_sel_hi:[0,1,1]
	ds_load_b128 v[20:23], v77
	ds_load_b128 v[230:233], v77 offset:16
	ds_load_b128 v[234:237], v77 offset:256
	;; [unrolled: 1-line block ×3, first 2 shown]
	s_waitcnt lgkmcnt(3)
	v_pk_mul_f16 v60, v227, v20 op_sel_hi:[1,0]
	s_delay_alu instid0(VALU_DEP_1) | instskip(SKIP_1) | instid1(VALU_DEP_1)
	v_pk_fma_f16 v60, v229, v16, v60 op_sel_hi:[0,1,1]
	v_pk_mul_f16 v16, v228, v20 op_sel_hi:[1,0]
	v_pk_fma_f16 v17, v229, v17, v16 op_sel_hi:[0,1,1]
	v_cndmask_b32_e32 v16, 0, v226, vcc_lo
	v_cmp_nlt_f32_e32 vcc_lo, 0x42b17218, v15
	s_waitcnt lgkmcnt(1)
	v_pk_mul_f16 v15, v227, v234 op_sel_hi:[1,0]
	s_delay_alu instid0(VALU_DEP_3) | instskip(SKIP_1) | instid1(VALU_DEP_2)
	v_cndmask_b32_e32 v226, 0x7f800000, v16, vcc_lo
	v_pk_mul_f16 v16, v228, v234 op_sel_hi:[1,0]
	v_cvt_f16_f32_e64 v61, v226
	s_delay_alu instid0(VALU_DEP_1) | instskip(SKIP_1) | instid1(VALU_DEP_4)
	v_pk_fma_f16 v18, v61, v18, v15 op_sel_hi:[0,1,1]
	v_add_co_u32 v15, vcc_lo, v92, s9
	v_pk_fma_f16 v19, v61, v19, v16 op_sel_hi:[0,1,1]
	v_add_co_ci_u32_e32 v16, vcc_lo, 0, v93, vcc_lo
	global_load_b32 v61, v[15:16], off
	v_add_co_u32 v15, vcc_lo, v96, s9
	v_add_co_ci_u32_e32 v16, vcc_lo, 0, v97, vcc_lo
	global_load_b32 v62, v[15:16], off
	v_add_co_u32 v15, vcc_lo, v102, s9
	v_add_co_ci_u32_e32 v16, vcc_lo, 0, v103, vcc_lo
	global_load_b32 v63, v[15:16], off
	v_add_co_u32 v15, vcc_lo, v106, s9
	v_add_co_ci_u32_e32 v16, vcc_lo, 0, v107, vcc_lo
	global_load_b32 v64, v[15:16], off
	v_add_co_u32 v15, vcc_lo, v112, s9
	v_add_co_ci_u32_e32 v16, vcc_lo, 0, v113, vcc_lo
	global_load_b32 v65, v[15:16], off
	v_add_co_u32 v15, vcc_lo, v116, s9
	v_add_co_ci_u32_e32 v16, vcc_lo, 0, v117, vcc_lo
	global_load_b32 v66, v[15:16], off
	v_add_co_u32 v15, vcc_lo, v90, s9
	v_add_co_ci_u32_e32 v16, vcc_lo, 0, v91, vcc_lo
	global_load_b32 v68, v[15:16], off
	v_add_co_u32 v15, vcc_lo, v214, s9
	v_add_co_ci_u32_e32 v16, vcc_lo, 0, v215, vcc_lo
	global_load_b32 v73, v[15:16], off
	v_add_co_u32 v15, vcc_lo, v94, s9
	v_add_co_ci_u32_e32 v16, vcc_lo, 0, v95, vcc_lo
	global_load_b32 v74, v[15:16], off
	v_add_co_u32 v15, vcc_lo, v100, s9
	v_add_co_ci_u32_e32 v16, vcc_lo, 0, v101, vcc_lo
	global_load_b32 v75, v[15:16], off
	v_add_co_u32 v15, vcc_lo, v104, s9
	v_add_co_ci_u32_e32 v16, vcc_lo, 0, v105, vcc_lo
	global_load_b32 v227, v[15:16], off
	v_add_co_u32 v15, vcc_lo, v108, s9
	v_add_co_ci_u32_e32 v16, vcc_lo, 0, v109, vcc_lo
	global_load_b32 v228, v[15:16], off
	v_add_co_u32 v15, vcc_lo, v114, s9
	v_add_co_ci_u32_e32 v16, vcc_lo, 0, v115, vcc_lo
	global_load_b32 v229, v[15:16], off
	v_add_co_u32 v15, vcc_lo, v216, s9
	v_add_co_ci_u32_e32 v16, vcc_lo, 0, v217, vcc_lo
	global_load_b32 v15, v[15:16], off
	s_waitcnt vmcnt(13)
	v_ashrrev_i32_e32 v16, v221, v61
	s_delay_alu instid0(VALU_DEP_1) | instskip(SKIP_3) | instid1(VALU_DEP_3)
	v_lshrrev_b32_e32 v61, 8, v16
	v_and_b32_e32 v242, 15, v16
	s_waitcnt vmcnt(12)
	v_ashrrev_i32_e32 v62, v221, v62
	v_and_b32_e32 v61, 15, v61
	s_delay_alu instid0(VALU_DEP_3) | instskip(NEXT) | instid1(VALU_DEP_3)
	v_cvt_f16_u16_e64 v242, v242
	v_and_b32_e32 v243, 15, v62
	s_delay_alu instid0(VALU_DEP_3) | instskip(SKIP_2) | instid1(VALU_DEP_3)
	v_cvt_f16_u16_e32 v61, v61
	s_waitcnt vmcnt(11)
	v_ashrrev_i32_e32 v63, v221, v63
	v_cvt_f16_u16_e64 v243, v243
	s_delay_alu instid0(VALU_DEP_3)
	v_pack_b32_f16 v61, v242, v61
	v_lshrrev_b32_e32 v242, 16, v16
	v_bfe_u32 v16, v16, 24, 4
	v_and_b32_e32 v244, 15, v63
	s_waitcnt vmcnt(10)
	v_ashrrev_i32_e32 v64, v221, v64
	v_and_b32_e32 v242, 15, v242
	v_cvt_f16_u16_e32 v16, v16
	v_cvt_f16_u16_e64 v244, v244
	s_delay_alu instid0(VALU_DEP_4) | instskip(NEXT) | instid1(VALU_DEP_4)
	v_and_b32_e32 v245, 15, v64
	v_cvt_f16_u16_e64 v242, v242
	s_waitcnt vmcnt(9)
	v_ashrrev_i32_e32 v65, v221, v65
	s_delay_alu instid0(VALU_DEP_3) | instskip(NEXT) | instid1(VALU_DEP_3)
	v_cvt_f16_u16_e64 v245, v245
	v_pack_b32_f16 v16, v242, v16
	v_lshrrev_b32_e32 v242, 8, v62
	s_delay_alu instid0(VALU_DEP_4) | instskip(SKIP_2) | instid1(VALU_DEP_3)
	v_and_b32_e32 v246, 15, v65
	s_waitcnt vmcnt(8)
	v_ashrrev_i32_e32 v66, v221, v66
	v_and_b32_e32 v242, 15, v242
	s_delay_alu instid0(VALU_DEP_3) | instskip(NEXT) | instid1(VALU_DEP_3)
	v_cvt_f16_u16_e64 v246, v246
	v_and_b32_e32 v247, 15, v66
	s_delay_alu instid0(VALU_DEP_3)
	v_cvt_f16_u16_e64 v242, v242
	s_waitcnt vmcnt(7)
	v_pk_fma_f16 v16, v68, v16, v68 op_sel:[0,0,1] op_sel_hi:[0,1,1]
	v_pk_fma_f16 v61, v68, v61, v68 op_sel:[0,0,1] op_sel_hi:[0,1,1]
	v_cvt_f16_u16_e64 v247, v247
	v_pack_b32_f16 v242, v243, v242
	v_lshrrev_b32_e32 v243, 16, v62
	v_bfe_u32 v62, v62, 24, 4
	v_pk_fma_f16 v17, v16, v20, v17 op_sel:[0,1,0]
	s_waitcnt vmcnt(6)
	v_ashrrev_i32_e32 v73, v221, v73
	v_pk_fma_f16 v16, v16, v234, v19 op_sel:[0,1,0]
	v_and_b32_e32 v243, 15, v243
	v_cvt_f16_u16_e32 v62, v62
	v_pk_fma_f16 v60, v61, v20, v60 op_sel:[0,1,0]
	v_and_b32_e32 v248, 15, v73
	v_pk_fma_f16 v18, v61, v234, v18 op_sel:[0,1,0]
	v_cvt_f16_u16_e64 v243, v243
	s_waitcnt vmcnt(5)
	v_pk_fma_f16 v68, v74, v242, v74 op_sel:[0,0,1] op_sel_hi:[0,1,1]
	v_cvt_f16_u16_e64 v248, v248
	s_delay_alu instid0(VALU_DEP_3) | instskip(SKIP_1) | instid1(VALU_DEP_4)
	v_pack_b32_f16 v62, v243, v62
	v_lshrrev_b32_e32 v243, 8, v63
	v_pk_fma_f16 v20, v68, v21, v60 op_sel_hi:[1,0,1]
	v_pk_fma_f16 v18, v68, v235, v18 op_sel_hi:[1,0,1]
	s_delay_alu instid0(VALU_DEP_4) | instskip(NEXT) | instid1(VALU_DEP_4)
	v_pk_fma_f16 v62, v74, v62, v74 op_sel:[0,0,1] op_sel_hi:[0,1,1]
	v_and_b32_e32 v243, 15, v243
	s_delay_alu instid0(VALU_DEP_2) | instskip(NEXT) | instid1(VALU_DEP_2)
	v_pk_fma_f16 v17, v62, v21, v17 op_sel_hi:[1,0,1]
	v_cvt_f16_u16_e64 v243, v243
	v_pk_fma_f16 v16, v62, v235, v16 op_sel_hi:[1,0,1]
	s_delay_alu instid0(VALU_DEP_2) | instskip(SKIP_3) | instid1(VALU_DEP_3)
	v_pack_b32_f16 v243, v244, v243
	v_lshrrev_b32_e32 v244, 16, v63
	v_bfe_u32 v63, v63, 24, 4
	s_waitcnt vmcnt(4)
	v_pk_fma_f16 v74, v75, v243, v75 op_sel:[0,0,1] op_sel_hi:[0,1,1]
	s_delay_alu instid0(VALU_DEP_3) | instskip(NEXT) | instid1(VALU_DEP_3)
	v_and_b32_e32 v244, 15, v244
	v_cvt_f16_u16_e32 v63, v63
	s_delay_alu instid0(VALU_DEP_3) | instskip(NEXT) | instid1(VALU_DEP_3)
	v_pk_fma_f16 v20, v74, v21, v20 op_sel:[0,1,0]
	v_cvt_f16_u16_e64 v244, v244
	v_pk_fma_f16 v18, v74, v235, v18 op_sel:[0,1,0]
	s_delay_alu instid0(VALU_DEP_2) | instskip(SKIP_1) | instid1(VALU_DEP_2)
	v_pack_b32_f16 v63, v244, v63
	v_lshrrev_b32_e32 v244, 8, v64
	v_pk_fma_f16 v63, v75, v63, v75 op_sel:[0,0,1] op_sel_hi:[0,1,1]
	s_delay_alu instid0(VALU_DEP_2) | instskip(NEXT) | instid1(VALU_DEP_2)
	v_and_b32_e32 v244, 15, v244
	v_pk_fma_f16 v17, v63, v21, v17 op_sel:[0,1,0]
	s_delay_alu instid0(VALU_DEP_2) | instskip(SKIP_1) | instid1(VALU_DEP_2)
	v_cvt_f16_u16_e64 v244, v244
	v_pk_fma_f16 v16, v63, v235, v16 op_sel:[0,1,0]
	v_pack_b32_f16 v244, v245, v244
	v_lshrrev_b32_e32 v245, 16, v64
	v_bfe_u32 v64, v64, 24, 4
	s_waitcnt vmcnt(3)
	s_delay_alu instid0(VALU_DEP_3) | instskip(NEXT) | instid1(VALU_DEP_3)
	v_pk_fma_f16 v75, v227, v244, v227 op_sel:[0,0,1] op_sel_hi:[0,1,1]
	v_and_b32_e32 v245, 15, v245
	s_delay_alu instid0(VALU_DEP_3) | instskip(NEXT) | instid1(VALU_DEP_3)
	v_cvt_f16_u16_e32 v64, v64
	v_pk_fma_f16 v20, v75, v22, v20 op_sel_hi:[1,0,1]
	s_delay_alu instid0(VALU_DEP_3) | instskip(SKIP_1) | instid1(VALU_DEP_2)
	v_cvt_f16_u16_e64 v245, v245
	v_pk_fma_f16 v18, v75, v236, v18 op_sel_hi:[1,0,1]
	v_pack_b32_f16 v64, v245, v64
	v_lshrrev_b32_e32 v245, 8, v65
	s_delay_alu instid0(VALU_DEP_2) | instskip(NEXT) | instid1(VALU_DEP_2)
	v_pk_fma_f16 v64, v227, v64, v227 op_sel:[0,0,1] op_sel_hi:[0,1,1]
	v_and_b32_e32 v245, 15, v245
	s_delay_alu instid0(VALU_DEP_2) | instskip(NEXT) | instid1(VALU_DEP_2)
	v_pk_fma_f16 v17, v64, v22, v17 op_sel_hi:[1,0,1]
	v_cvt_f16_u16_e64 v245, v245
	v_pk_fma_f16 v16, v64, v236, v16 op_sel_hi:[1,0,1]
	s_delay_alu instid0(VALU_DEP_2) | instskip(SKIP_3) | instid1(VALU_DEP_3)
	v_pack_b32_f16 v245, v246, v245
	v_lshrrev_b32_e32 v246, 16, v65
	v_bfe_u32 v65, v65, 24, 4
	s_waitcnt vmcnt(2)
	v_pk_fma_f16 v227, v228, v245, v228 op_sel:[0,0,1] op_sel_hi:[0,1,1]
	s_delay_alu instid0(VALU_DEP_3) | instskip(NEXT) | instid1(VALU_DEP_3)
	v_and_b32_e32 v246, 15, v246
	v_cvt_f16_u16_e32 v65, v65
	s_delay_alu instid0(VALU_DEP_3) | instskip(NEXT) | instid1(VALU_DEP_3)
	v_pk_fma_f16 v20, v227, v22, v20 op_sel:[0,1,0]
	v_cvt_f16_u16_e64 v246, v246
	v_pk_fma_f16 v18, v227, v236, v18 op_sel:[0,1,0]
	s_delay_alu instid0(VALU_DEP_2) | instskip(SKIP_1) | instid1(VALU_DEP_2)
	v_pack_b32_f16 v65, v246, v65
	v_lshrrev_b32_e32 v246, 8, v66
	v_pk_fma_f16 v65, v228, v65, v228 op_sel:[0,0,1] op_sel_hi:[0,1,1]
	s_delay_alu instid0(VALU_DEP_2) | instskip(NEXT) | instid1(VALU_DEP_2)
	v_and_b32_e32 v246, 15, v246
	v_pk_fma_f16 v17, v65, v22, v17 op_sel:[0,1,0]
	s_delay_alu instid0(VALU_DEP_2) | instskip(SKIP_1) | instid1(VALU_DEP_2)
	v_cvt_f16_u16_e64 v246, v246
	v_pk_fma_f16 v16, v65, v236, v16 op_sel:[0,1,0]
	v_pack_b32_f16 v246, v247, v246
	v_lshrrev_b32_e32 v247, 16, v66
	v_bfe_u32 v66, v66, 24, 4
	s_waitcnt vmcnt(1)
	s_delay_alu instid0(VALU_DEP_3) | instskip(NEXT) | instid1(VALU_DEP_3)
	v_pk_fma_f16 v228, v229, v246, v229 op_sel:[0,0,1] op_sel_hi:[0,1,1]
	v_and_b32_e32 v247, 15, v247
	s_delay_alu instid0(VALU_DEP_3) | instskip(NEXT) | instid1(VALU_DEP_3)
	v_cvt_f16_u16_e32 v66, v66
	v_pk_fma_f16 v20, v228, v23, v20 op_sel_hi:[1,0,1]
	s_delay_alu instid0(VALU_DEP_3) | instskip(SKIP_1) | instid1(VALU_DEP_2)
	v_cvt_f16_u16_e64 v247, v247
	v_pk_fma_f16 v18, v228, v237, v18 op_sel_hi:[1,0,1]
	v_pack_b32_f16 v66, v247, v66
	v_lshrrev_b32_e32 v247, 8, v73
	s_delay_alu instid0(VALU_DEP_2) | instskip(NEXT) | instid1(VALU_DEP_2)
	v_pk_fma_f16 v66, v229, v66, v229 op_sel:[0,0,1] op_sel_hi:[0,1,1]
	v_and_b32_e32 v247, 15, v247
	s_delay_alu instid0(VALU_DEP_2) | instskip(NEXT) | instid1(VALU_DEP_2)
	v_pk_fma_f16 v17, v66, v23, v17 op_sel_hi:[1,0,1]
	v_cvt_f16_u16_e64 v247, v247
	v_pk_fma_f16 v16, v66, v237, v16 op_sel_hi:[1,0,1]
	s_delay_alu instid0(VALU_DEP_2) | instskip(SKIP_3) | instid1(VALU_DEP_3)
	v_pack_b32_f16 v247, v248, v247
	v_lshrrev_b32_e32 v248, 16, v73
	v_bfe_u32 v73, v73, 24, 4
	s_waitcnt vmcnt(0)
	v_pk_fma_f16 v229, v15, v247, v15 op_sel:[0,0,1] op_sel_hi:[0,1,1]
	s_delay_alu instid0(VALU_DEP_3) | instskip(NEXT) | instid1(VALU_DEP_3)
	v_and_b32_e32 v248, 15, v248
	v_cvt_f16_u16_e32 v73, v73
	s_delay_alu instid0(VALU_DEP_3) | instskip(NEXT) | instid1(VALU_DEP_3)
	v_pk_fma_f16 v20, v229, v23, v20 op_sel:[0,1,0]
	v_cvt_f16_u16_e64 v248, v248
	v_pk_fma_f16 v18, v229, v237, v18 op_sel:[0,1,0]
	s_delay_alu instid0(VALU_DEP_2) | instskip(NEXT) | instid1(VALU_DEP_1)
	v_pack_b32_f16 v73, v248, v73
	v_pk_fma_f16 v15, v15, v73, v15 op_sel:[0,0,1] op_sel_hi:[0,1,1]
	s_delay_alu instid0(VALU_DEP_1)
	v_pk_fma_f16 v17, v15, v23, v17 op_sel:[0,1,0]
	v_pk_fma_f16 v19, v15, v237, v16 op_sel:[0,1,0]
	v_add_co_u32 v15, vcc_lo, v210, s9
	v_add_co_ci_u32_e32 v16, vcc_lo, 0, v211, vcc_lo
	global_load_b32 v21, v[15:16], off
	v_add_co_u32 v15, vcc_lo, v206, s9
	v_add_co_ci_u32_e32 v16, vcc_lo, 0, v207, vcc_lo
	global_load_b32 v22, v[15:16], off
	;; [unrolled: 3-line block ×16, first 2 shown]
	s_waitcnt vmcnt(15)
	v_ashrrev_i32_e32 v16, v221, v21
	s_delay_alu instid0(VALU_DEP_1) | instskip(SKIP_3) | instid1(VALU_DEP_3)
	v_lshrrev_b32_e32 v21, 8, v16
	v_and_b32_e32 v228, 15, v16
	s_waitcnt vmcnt(14)
	v_ashrrev_i32_e32 v22, v221, v22
	v_and_b32_e32 v21, 15, v21
	s_delay_alu instid0(VALU_DEP_3) | instskip(NEXT) | instid1(VALU_DEP_3)
	v_cvt_f16_u16_e64 v228, v228
	v_and_b32_e32 v229, 15, v22
	s_delay_alu instid0(VALU_DEP_3) | instskip(NEXT) | instid1(VALU_DEP_2)
	v_cvt_f16_u16_e32 v21, v21
	v_cvt_f16_u16_e64 v229, v229
	s_delay_alu instid0(VALU_DEP_2) | instskip(SKIP_2) | instid1(VALU_DEP_2)
	v_pack_b32_f16 v21, v228, v21
	v_lshrrev_b32_e32 v228, 16, v16
	v_bfe_u32 v16, v16, 24, 4
	v_and_b32_e32 v228, 15, v228
	s_delay_alu instid0(VALU_DEP_2) | instskip(NEXT) | instid1(VALU_DEP_2)
	v_cvt_f16_u16_e32 v16, v16
	v_cvt_f16_u16_e64 v228, v228
	s_delay_alu instid0(VALU_DEP_1) | instskip(SKIP_2) | instid1(VALU_DEP_2)
	v_pack_b32_f16 v16, v228, v16
	v_lshrrev_b32_e32 v228, 8, v22
	s_waitcnt vmcnt(13)
	v_pk_fma_f16 v16, v23, v16, v23 op_sel:[0,0,1] op_sel_hi:[0,1,1]
	s_delay_alu instid0(VALU_DEP_2) | instskip(NEXT) | instid1(VALU_DEP_2)
	v_and_b32_e32 v228, 15, v228
	v_pk_fma_f16 v17, v16, v230, v17 op_sel_hi:[1,0,1]
	s_delay_alu instid0(VALU_DEP_2)
	v_cvt_f16_u16_e64 v228, v228
	s_waitcnt vmcnt(9)
	v_ashrrev_i32_e32 v63, v221, v63
	s_waitcnt lgkmcnt(0)
	v_pk_fma_f16 v16, v16, v238, v19 op_sel_hi:[1,0,1]
	v_pack_b32_f16 v228, v229, v228
	v_lshrrev_b32_e32 v229, 16, v22
	v_bfe_u32 v22, v22, 24, 4
	v_and_b32_e32 v234, 15, v63
	s_delay_alu instid0(VALU_DEP_3) | instskip(NEXT) | instid1(VALU_DEP_3)
	v_and_b32_e32 v229, 15, v229
	v_cvt_f16_u16_e32 v22, v22
	s_delay_alu instid0(VALU_DEP_3) | instskip(NEXT) | instid1(VALU_DEP_3)
	v_cvt_f16_u16_e64 v234, v234
	v_cvt_f16_u16_e64 v229, v229
	s_delay_alu instid0(VALU_DEP_1) | instskip(SKIP_3) | instid1(VALU_DEP_4)
	v_pack_b32_f16 v22, v229, v22
	v_pk_fma_f16 v229, v23, v21, v23 op_sel:[0,0,1] op_sel_hi:[0,1,1]
	v_ashrrev_i32_e32 v21, v221, v61
	v_pk_fma_f16 v23, v60, v228, v60 op_sel:[0,0,1] op_sel_hi:[0,1,1]
	v_pk_fma_f16 v60, v60, v22, v60 op_sel:[0,0,1] op_sel_hi:[0,1,1]
	s_delay_alu instid0(VALU_DEP_4) | instskip(NEXT) | instid1(VALU_DEP_4)
	v_pk_fma_f16 v20, v229, v230, v20 op_sel_hi:[1,0,1]
	v_and_b32_e32 v61, 15, v21
	v_lshrrev_b32_e32 v22, 8, v21
	v_fma_f32 v57, v57, v226, v224
	v_pk_fma_f16 v17, v60, v230, v17 op_sel:[0,1,0]
	v_pk_fma_f16 v20, v23, v230, v20 op_sel:[0,1,0]
	v_cvt_f16_u16_e32 v61, v61
	v_and_b32_e32 v22, 15, v22
	v_pk_fma_f16 v16, v60, v238, v16 op_sel:[0,1,0]
	s_delay_alu instid0(VALU_DEP_2) | instskip(NEXT) | instid1(VALU_DEP_1)
	v_cvt_f16_u16_e32 v22, v22
	v_pack_b32_f16 v22, v61, v22
	v_lshrrev_b32_e32 v61, 16, v21
	v_bfe_u32 v21, v21, 24, 4
	s_delay_alu instid0(VALU_DEP_2) | instskip(NEXT) | instid1(VALU_DEP_2)
	v_and_b32_e32 v61, 15, v61
	v_cvt_f16_u16_e32 v21, v21
	s_delay_alu instid0(VALU_DEP_2) | instskip(NEXT) | instid1(VALU_DEP_1)
	v_cvt_f16_u16_e32 v61, v61
	v_pack_b32_f16 v21, v61, v21
	v_ashrrev_i32_e32 v61, v221, v62
	s_delay_alu instid0(VALU_DEP_1) | instskip(SKIP_1) | instid1(VALU_DEP_2)
	v_lshrrev_b32_e32 v62, 8, v61
	v_and_b32_e32 v228, 15, v61
	v_and_b32_e32 v62, 15, v62
	s_delay_alu instid0(VALU_DEP_2) | instskip(NEXT) | instid1(VALU_DEP_2)
	v_cvt_f16_u16_e64 v228, v228
	v_cvt_f16_u16_e32 v62, v62
	s_delay_alu instid0(VALU_DEP_1) | instskip(SKIP_3) | instid1(VALU_DEP_3)
	v_pack_b32_f16 v62, v228, v62
	v_lshrrev_b32_e32 v228, 16, v61
	v_bfe_u32 v61, v61, 24, 4
	s_waitcnt vmcnt(7)
	v_pk_fma_f16 v62, v65, v62, v65 op_sel:[0,0,1] op_sel_hi:[0,1,1]
	s_delay_alu instid0(VALU_DEP_3) | instskip(NEXT) | instid1(VALU_DEP_3)
	v_and_b32_e32 v228, 15, v228
	v_cvt_f16_u16_e32 v61, v61
	s_delay_alu instid0(VALU_DEP_2) | instskip(NEXT) | instid1(VALU_DEP_1)
	v_cvt_f16_u16_e64 v228, v228
	v_pack_b32_f16 v61, v228, v61
	v_lshrrev_b32_e32 v228, 8, v63
	s_delay_alu instid0(VALU_DEP_2) | instskip(NEXT) | instid1(VALU_DEP_2)
	v_pk_fma_f16 v61, v65, v61, v65 op_sel:[0,0,1] op_sel_hi:[0,1,1]
	v_and_b32_e32 v228, 15, v228
	s_delay_alu instid0(VALU_DEP_1) | instskip(NEXT) | instid1(VALU_DEP_1)
	v_cvt_f16_u16_e64 v228, v228
	v_pack_b32_f16 v228, v234, v228
	v_lshrrev_b32_e32 v234, 16, v63
	v_bfe_u32 v63, v63, 24, 4
	s_waitcnt vmcnt(6)
	s_delay_alu instid0(VALU_DEP_3) | instskip(NEXT) | instid1(VALU_DEP_3)
	v_pk_fma_f16 v65, v66, v228, v66 op_sel:[0,0,1] op_sel_hi:[0,1,1]
	v_and_b32_e32 v234, 15, v234
	s_delay_alu instid0(VALU_DEP_3) | instskip(NEXT) | instid1(VALU_DEP_2)
	v_cvt_f16_u16_e32 v63, v63
	v_cvt_f16_u16_e64 v234, v234
	s_delay_alu instid0(VALU_DEP_1)
	v_pack_b32_f16 v63, v234, v63
	v_pk_fma_f16 v234, v64, v22, v64 op_sel:[0,0,1] op_sel_hi:[0,1,1]
	v_pk_fma_f16 v64, v64, v21, v64 op_sel:[0,0,1] op_sel_hi:[0,1,1]
	s_waitcnt vmcnt(5)
	v_ashrrev_i32_e32 v21, v221, v68
	v_pk_fma_f16 v63, v66, v63, v66 op_sel:[0,0,1] op_sel_hi:[0,1,1]
	v_pk_fma_f16 v20, v234, v231, v20 op_sel_hi:[1,0,1]
	v_pk_fma_f16 v17, v64, v231, v17 op_sel_hi:[1,0,1]
	s_delay_alu instid0(VALU_DEP_4)
	v_lshrrev_b32_e32 v22, 8, v21
	v_and_b32_e32 v66, 15, v21
	v_pk_fma_f16 v16, v64, v239, v16 op_sel_hi:[1,0,1]
	v_pk_fma_f16 v20, v62, v231, v20 op_sel:[0,1,0]
	v_pk_fma_f16 v17, v61, v231, v17 op_sel:[0,1,0]
	v_and_b32_e32 v22, 15, v22
	v_cvt_f16_u16_e32 v66, v66
	v_pk_fma_f16 v16, v61, v239, v16 op_sel:[0,1,0]
	v_pk_fma_f16 v20, v65, v232, v20 op_sel_hi:[1,0,1]
	v_pk_fma_f16 v17, v63, v232, v17 op_sel_hi:[1,0,1]
	v_cvt_f16_u16_e32 v22, v22
	s_delay_alu instid0(VALU_DEP_4) | instskip(NEXT) | instid1(VALU_DEP_2)
	v_pk_fma_f16 v16, v63, v240, v16 op_sel_hi:[1,0,1]
	v_pack_b32_f16 v22, v66, v22
	v_lshrrev_b32_e32 v66, 16, v21
	v_bfe_u32 v21, v21, 24, 4
	s_delay_alu instid0(VALU_DEP_2) | instskip(NEXT) | instid1(VALU_DEP_2)
	v_and_b32_e32 v66, 15, v66
	v_cvt_f16_u16_e32 v21, v21
	s_delay_alu instid0(VALU_DEP_2) | instskip(NEXT) | instid1(VALU_DEP_1)
	v_cvt_f16_u16_e32 v66, v66
	v_pack_b32_f16 v21, v66, v21
	s_waitcnt vmcnt(4)
	v_ashrrev_i32_e32 v66, v221, v73
	s_delay_alu instid0(VALU_DEP_1) | instskip(SKIP_1) | instid1(VALU_DEP_2)
	v_lshrrev_b32_e32 v68, 8, v66
	v_and_b32_e32 v73, 15, v66
	v_and_b32_e32 v68, 15, v68
	s_delay_alu instid0(VALU_DEP_2) | instskip(NEXT) | instid1(VALU_DEP_2)
	v_cvt_f16_u16_e32 v73, v73
	v_cvt_f16_u16_e32 v68, v68
	s_delay_alu instid0(VALU_DEP_1) | instskip(SKIP_3) | instid1(VALU_DEP_3)
	v_pack_b32_f16 v68, v73, v68
	v_lshrrev_b32_e32 v73, 16, v66
	v_bfe_u32 v66, v66, 24, 4
	s_waitcnt vmcnt(1)
	v_pk_fma_f16 v68, v227, v68, v227 op_sel:[0,0,1] op_sel_hi:[0,1,1]
	s_delay_alu instid0(VALU_DEP_3) | instskip(NEXT) | instid1(VALU_DEP_3)
	v_and_b32_e32 v73, 15, v73
	v_cvt_f16_u16_e32 v66, v66
	s_delay_alu instid0(VALU_DEP_2) | instskip(NEXT) | instid1(VALU_DEP_1)
	v_cvt_f16_u16_e32 v73, v73
	v_pack_b32_f16 v66, v73, v66
	v_ashrrev_i32_e32 v73, v221, v74
	s_delay_alu instid0(VALU_DEP_2) | instskip(NEXT) | instid1(VALU_DEP_2)
	v_pk_fma_f16 v66, v227, v66, v227 op_sel:[0,0,1] op_sel_hi:[0,1,1]
	v_lshrrev_b32_e32 v74, 8, v73
	v_and_b32_e32 v228, 15, v73
	s_delay_alu instid0(VALU_DEP_2) | instskip(NEXT) | instid1(VALU_DEP_2)
	v_and_b32_e32 v74, 15, v74
	v_cvt_f16_u16_e64 v228, v228
	s_delay_alu instid0(VALU_DEP_2) | instskip(NEXT) | instid1(VALU_DEP_1)
	v_cvt_f16_u16_e32 v74, v74
	v_pack_b32_f16 v74, v228, v74
	v_lshrrev_b32_e32 v228, 16, v73
	v_bfe_u32 v73, v73, 24, 4
	s_waitcnt vmcnt(0)
	s_delay_alu instid0(VALU_DEP_3) | instskip(NEXT) | instid1(VALU_DEP_3)
	v_pk_fma_f16 v74, v15, v74, v15 op_sel:[0,0,1] op_sel_hi:[0,1,1]
	v_and_b32_e32 v228, 15, v228
	s_delay_alu instid0(VALU_DEP_3) | instskip(NEXT) | instid1(VALU_DEP_2)
	v_cvt_f16_u16_e32 v73, v73
	v_cvt_f16_u16_e64 v228, v228
	s_delay_alu instid0(VALU_DEP_1) | instskip(SKIP_2) | instid1(VALU_DEP_3)
	v_pack_b32_f16 v73, v228, v73
	v_pk_fma_f16 v228, v75, v22, v75 op_sel:[0,0,1] op_sel_hi:[0,1,1]
	v_pk_fma_f16 v75, v75, v21, v75 op_sel:[0,0,1] op_sel_hi:[0,1,1]
	;; [unrolled: 1-line block ×3, first 2 shown]
	s_delay_alu instid0(VALU_DEP_3) | instskip(NEXT) | instid1(VALU_DEP_3)
	v_pk_fma_f16 v20, v228, v232, v20 op_sel:[0,1,0]
	v_pk_fma_f16 v17, v75, v232, v17 op_sel:[0,1,0]
	;; [unrolled: 1-line block ×3, first 2 shown]
	s_delay_alu instid0(VALU_DEP_3) | instskip(NEXT) | instid1(VALU_DEP_3)
	v_pk_fma_f16 v20, v68, v233, v20 op_sel_hi:[1,0,1]
	v_pk_fma_f16 v17, v66, v233, v17 op_sel_hi:[1,0,1]
	s_delay_alu instid0(VALU_DEP_3) | instskip(NEXT) | instid1(VALU_DEP_3)
	v_pk_fma_f16 v16, v66, v241, v16 op_sel_hi:[1,0,1]
	v_pk_fma_f16 v21, v74, v233, v20 op_sel:[0,1,0]
	s_delay_alu instid0(VALU_DEP_3) | instskip(SKIP_1) | instid1(VALU_DEP_4)
	v_pk_fma_f16 v22, v15, v233, v17 op_sel:[0,1,0]
	v_pk_fma_f16 v17, v229, v238, v18 op_sel_hi:[1,0,1]
	v_pk_fma_f16 v20, v15, v241, v16 op_sel:[0,1,0]
	v_add_co_u32 v15, vcc_lo, v178, s9
	v_add_co_ci_u32_e32 v16, vcc_lo, 0, v179, vcc_lo
	s_delay_alu instid0(VALU_DEP_4) | instskip(NEXT) | instid1(VALU_DEP_1)
	v_pk_fma_f16 v17, v23, v238, v17 op_sel:[0,1,0]
	v_pk_fma_f16 v17, v234, v239, v17 op_sel_hi:[1,0,1]
	s_delay_alu instid0(VALU_DEP_1) | instskip(NEXT) | instid1(VALU_DEP_1)
	v_pk_fma_f16 v17, v62, v239, v17 op_sel:[0,1,0]
	v_pk_fma_f16 v17, v65, v240, v17 op_sel_hi:[1,0,1]
	s_delay_alu instid0(VALU_DEP_1) | instskip(NEXT) | instid1(VALU_DEP_1)
	v_pk_fma_f16 v17, v228, v240, v17 op_sel:[0,1,0]
	v_pk_fma_f16 v17, v68, v241, v17 op_sel_hi:[1,0,1]
	s_delay_alu instid0(VALU_DEP_1)
	v_pk_fma_f16 v19, v74, v241, v17 op_sel:[0,1,0]
	global_load_b32 v17, v[15:16], off
	v_add_co_u32 v15, vcc_lo, v174, s9
	v_add_co_ci_u32_e32 v16, vcc_lo, 0, v175, vcc_lo
	global_load_b32 v18, v[15:16], off
	v_add_co_u32 v15, vcc_lo, v180, s9
	v_add_co_ci_u32_e32 v16, vcc_lo, 0, v181, vcc_lo
	;; [unrolled: 3-line block ×15, first 2 shown]
	global_load_b32 v15, v[15:16], off
	s_waitcnt vmcnt(15)
	v_ashrrev_i32_e32 v16, v221, v17
	s_delay_alu instid0(VALU_DEP_1) | instskip(SKIP_3) | instid1(VALU_DEP_3)
	v_lshrrev_b32_e32 v17, 8, v16
	v_and_b32_e32 v23, 15, v16
	s_waitcnt vmcnt(14)
	v_ashrrev_i32_e32 v18, v221, v18
	v_and_b32_e32 v17, 15, v17
	s_delay_alu instid0(VALU_DEP_3) | instskip(NEXT) | instid1(VALU_DEP_3)
	v_cvt_f16_u16_e32 v23, v23
	v_and_b32_e32 v227, 15, v18
	s_delay_alu instid0(VALU_DEP_3) | instskip(NEXT) | instid1(VALU_DEP_2)
	v_cvt_f16_u16_e32 v17, v17
	v_cvt_f16_u16_e64 v227, v227
	s_delay_alu instid0(VALU_DEP_2) | instskip(SKIP_2) | instid1(VALU_DEP_2)
	v_pack_b32_f16 v17, v23, v17
	v_lshrrev_b32_e32 v23, 16, v16
	v_bfe_u32 v16, v16, 24, 4
	v_and_b32_e32 v23, 15, v23
	s_delay_alu instid0(VALU_DEP_2) | instskip(NEXT) | instid1(VALU_DEP_2)
	v_cvt_f16_u16_e32 v16, v16
	v_cvt_f16_u16_e32 v23, v23
	s_delay_alu instid0(VALU_DEP_1) | instskip(SKIP_1) | instid1(VALU_DEP_1)
	v_pack_b32_f16 v16, v23, v16
	v_lshrrev_b32_e32 v23, 8, v18
	v_and_b32_e32 v23, 15, v23
	s_delay_alu instid0(VALU_DEP_1) | instskip(NEXT) | instid1(VALU_DEP_1)
	v_cvt_f16_u16_e32 v23, v23
	v_pack_b32_f16 v228, v227, v23
	v_lshrrev_b32_e32 v23, 16, v18
	v_bfe_u32 v18, v18, 24, 4
	s_waitcnt vmcnt(13)
	v_pk_fma_f16 v227, v60, v16, v60 op_sel:[0,0,1] op_sel_hi:[0,1,1]
	s_waitcnt vmcnt(11)
	v_ashrrev_i32_e32 v16, v221, v62
	v_pk_fma_f16 v228, v61, v228, v61 op_sel:[0,0,1] op_sel_hi:[0,1,1]
	v_and_b32_e32 v23, 15, v23
	v_cvt_f16_u16_e32 v18, v18
	s_delay_alu instid0(VALU_DEP_2) | instskip(NEXT) | instid1(VALU_DEP_1)
	v_cvt_f16_u16_e32 v23, v23
	v_pack_b32_f16 v18, v23, v18
	v_pk_fma_f16 v23, v60, v17, v60 op_sel:[0,0,1] op_sel_hi:[0,1,1]
	v_lshrrev_b32_e32 v17, 8, v16
	s_delay_alu instid0(VALU_DEP_3) | instskip(SKIP_1) | instid1(VALU_DEP_3)
	v_pk_fma_f16 v229, v61, v18, v61 op_sel:[0,0,1] op_sel_hi:[0,1,1]
	v_and_b32_e32 v18, 15, v16
	v_and_b32_e32 v17, 15, v17
	s_delay_alu instid0(VALU_DEP_2) | instskip(NEXT) | instid1(VALU_DEP_2)
	v_cvt_f16_u16_e32 v18, v18
	v_cvt_f16_u16_e32 v17, v17
	s_delay_alu instid0(VALU_DEP_1) | instskip(SKIP_3) | instid1(VALU_DEP_3)
	v_pack_b32_f16 v17, v18, v17
	v_lshrrev_b32_e32 v18, 16, v16
	v_bfe_u32 v16, v16, 24, 4
	s_waitcnt vmcnt(8)
	v_pk_fma_f16 v230, v65, v17, v65 op_sel:[0,0,1] op_sel_hi:[0,1,1]
	s_delay_alu instid0(VALU_DEP_3) | instskip(NEXT) | instid1(VALU_DEP_3)
	v_and_b32_e32 v18, 15, v18
	v_cvt_f16_u16_e32 v16, v16
	s_delay_alu instid0(VALU_DEP_2) | instskip(NEXT) | instid1(VALU_DEP_1)
	v_cvt_f16_u16_e32 v18, v18
	v_pack_b32_f16 v16, v18, v16
	v_ashrrev_i32_e32 v18, v221, v63
	s_delay_alu instid0(VALU_DEP_2) | instskip(NEXT) | instid1(VALU_DEP_2)
	v_pk_fma_f16 v231, v65, v16, v65 op_sel:[0,0,1] op_sel_hi:[0,1,1]
	v_lshrrev_b32_e32 v60, 8, v18
	v_and_b32_e32 v61, 15, v18
	s_waitcnt vmcnt(5)
	v_ashrrev_i32_e32 v16, v221, v73
	s_delay_alu instid0(VALU_DEP_3) | instskip(NEXT) | instid1(VALU_DEP_3)
	v_and_b32_e32 v60, 15, v60
	v_cvt_f16_u16_e32 v61, v61
	s_delay_alu instid0(VALU_DEP_3) | instskip(NEXT) | instid1(VALU_DEP_3)
	v_lshrrev_b32_e32 v17, 8, v16
	v_cvt_f16_u16_e32 v60, v60
	s_delay_alu instid0(VALU_DEP_2) | instskip(NEXT) | instid1(VALU_DEP_2)
	v_and_b32_e32 v17, 15, v17
	v_pack_b32_f16 v60, v61, v60
	v_lshrrev_b32_e32 v61, 16, v18
	v_bfe_u32 v18, v18, 24, 4
	s_delay_alu instid0(VALU_DEP_4) | instskip(NEXT) | instid1(VALU_DEP_4)
	v_cvt_f16_u16_e32 v17, v17
	v_pk_fma_f16 v232, v66, v60, v66 op_sel:[0,0,1] op_sel_hi:[0,1,1]
	s_delay_alu instid0(VALU_DEP_4) | instskip(NEXT) | instid1(VALU_DEP_4)
	v_and_b32_e32 v61, 15, v61
	v_cvt_f16_u16_e32 v18, v18
	s_delay_alu instid0(VALU_DEP_2) | instskip(NEXT) | instid1(VALU_DEP_1)
	v_cvt_f16_u16_e32 v61, v61
	v_pack_b32_f16 v18, v61, v18
	v_ashrrev_i32_e32 v61, v221, v64
	s_delay_alu instid0(VALU_DEP_2) | instskip(NEXT) | instid1(VALU_DEP_2)
	v_pk_fma_f16 v233, v66, v18, v66 op_sel:[0,0,1] op_sel_hi:[0,1,1]
	v_lshrrev_b32_e32 v62, 8, v61
	v_and_b32_e32 v18, 15, v16
	v_and_b32_e32 v63, 15, v61
	s_delay_alu instid0(VALU_DEP_3) | instskip(NEXT) | instid1(VALU_DEP_3)
	v_and_b32_e32 v62, 15, v62
	v_cvt_f16_u16_e32 v18, v18
	s_delay_alu instid0(VALU_DEP_3) | instskip(NEXT) | instid1(VALU_DEP_3)
	v_cvt_f16_u16_e32 v63, v63
	v_cvt_f16_u16_e32 v62, v62
	s_delay_alu instid0(VALU_DEP_3) | instskip(SKIP_2) | instid1(VALU_DEP_4)
	v_pack_b32_f16 v17, v18, v17
	v_lshrrev_b32_e32 v18, 16, v16
	v_bfe_u32 v16, v16, 24, 4
	v_pack_b32_f16 v62, v63, v62
	v_lshrrev_b32_e32 v63, 16, v61
	s_delay_alu instid0(VALU_DEP_4)
	v_and_b32_e32 v18, 15, v18
	v_bfe_u32 v61, v61, 24, 4
	v_cvt_f16_u16_e32 v16, v16
	v_pk_fma_f16 v234, v68, v62, v68 op_sel:[0,0,1] op_sel_hi:[0,1,1]
	v_and_b32_e32 v63, 15, v63
	v_cvt_f16_u16_e32 v18, v18
	v_cvt_f16_u16_e32 v61, v61
	s_waitcnt vmcnt(2)
	v_pk_fma_f16 v236, v237, v17, v237 op_sel:[0,0,1] op_sel_hi:[0,1,1]
	v_cvt_f16_u16_e32 v63, v63
	v_pack_b32_f16 v16, v18, v16
	v_ashrrev_i32_e32 v18, v221, v74
	s_delay_alu instid0(VALU_DEP_3) | instskip(NEXT) | instid1(VALU_DEP_3)
	v_pack_b32_f16 v61, v63, v61
	v_pk_fma_f16 v237, v237, v16, v237 op_sel:[0,0,1] op_sel_hi:[0,1,1]
	s_delay_alu instid0(VALU_DEP_3) | instskip(NEXT) | instid1(VALU_DEP_3)
	v_lshrrev_b32_e32 v60, 8, v18
	v_pk_fma_f16 v235, v68, v61, v68 op_sel:[0,0,1] op_sel_hi:[0,1,1]
	v_and_b32_e32 v61, 15, v18
	s_delay_alu instid0(VALU_DEP_3) | instskip(NEXT) | instid1(VALU_DEP_2)
	v_and_b32_e32 v60, 15, v60
	v_cvt_f16_u16_e32 v61, v61
	s_delay_alu instid0(VALU_DEP_2) | instskip(NEXT) | instid1(VALU_DEP_1)
	v_cvt_f16_u16_e32 v60, v60
	v_pack_b32_f16 v60, v61, v60
	v_lshrrev_b32_e32 v61, 16, v18
	v_bfe_u32 v18, v18, 24, 4
	s_waitcnt vmcnt(1)
	s_delay_alu instid0(VALU_DEP_3) | instskip(NEXT) | instid1(VALU_DEP_3)
	v_pk_fma_f16 v238, v239, v60, v239 op_sel:[0,0,1] op_sel_hi:[0,1,1]
	v_and_b32_e32 v61, 15, v61
	s_delay_alu instid0(VALU_DEP_3) | instskip(NEXT) | instid1(VALU_DEP_2)
	v_cvt_f16_u16_e32 v18, v18
	v_cvt_f16_u16_e32 v61, v61
	s_delay_alu instid0(VALU_DEP_1) | instskip(SKIP_1) | instid1(VALU_DEP_2)
	v_pack_b32_f16 v18, v61, v18
	v_ashrrev_i32_e32 v61, v221, v75
	v_pk_fma_f16 v239, v239, v18, v239 op_sel:[0,0,1] op_sel_hi:[0,1,1]
	s_delay_alu instid0(VALU_DEP_2) | instskip(SKIP_1) | instid1(VALU_DEP_2)
	v_lshrrev_b32_e32 v62, 8, v61
	v_and_b32_e32 v63, 15, v61
	v_and_b32_e32 v62, 15, v62
	s_delay_alu instid0(VALU_DEP_2) | instskip(NEXT) | instid1(VALU_DEP_2)
	v_cvt_f16_u16_e32 v63, v63
	v_cvt_f16_u16_e32 v62, v62
	s_delay_alu instid0(VALU_DEP_1) | instskip(SKIP_3) | instid1(VALU_DEP_3)
	v_pack_b32_f16 v62, v63, v62
	v_lshrrev_b32_e32 v63, 16, v61
	v_bfe_u32 v61, v61, 24, 4
	s_waitcnt vmcnt(0)
	v_pk_fma_f16 v240, v15, v62, v15 op_sel:[0,0,1] op_sel_hi:[0,1,1]
	s_delay_alu instid0(VALU_DEP_3) | instskip(NEXT) | instid1(VALU_DEP_3)
	v_and_b32_e32 v63, 15, v63
	v_cvt_f16_u16_e32 v61, v61
	s_delay_alu instid0(VALU_DEP_2) | instskip(NEXT) | instid1(VALU_DEP_1)
	v_cvt_f16_u16_e32 v63, v63
	v_pack_b32_f16 v61, v63, v61
	s_delay_alu instid0(VALU_DEP_1)
	v_pk_fma_f16 v241, v15, v61, v15 op_sel:[0,0,1] op_sel_hi:[0,1,1]
	ds_load_b128 v[15:18], v77 offset:32
	ds_load_b128 v[242:245], v77 offset:48
	s_waitcnt lgkmcnt(1)
	v_pk_fma_f16 v21, v23, v15, v21 op_sel_hi:[1,0,1]
	v_pk_fma_f16 v22, v227, v15, v22 op_sel_hi:[1,0,1]
	s_delay_alu instid0(VALU_DEP_2) | instskip(NEXT) | instid1(VALU_DEP_2)
	v_pk_fma_f16 v21, v228, v15, v21 op_sel:[0,1,0]
	v_pk_fma_f16 v15, v229, v15, v22 op_sel:[0,1,0]
	s_delay_alu instid0(VALU_DEP_2) | instskip(NEXT) | instid1(VALU_DEP_2)
	v_pk_fma_f16 v21, v230, v16, v21 op_sel_hi:[1,0,1]
	v_pk_fma_f16 v15, v231, v16, v15 op_sel_hi:[1,0,1]
	s_delay_alu instid0(VALU_DEP_2) | instskip(NEXT) | instid1(VALU_DEP_2)
	v_pk_fma_f16 v21, v232, v16, v21 op_sel:[0,1,0]
	v_pk_fma_f16 v15, v233, v16, v15 op_sel:[0,1,0]
	s_delay_alu instid0(VALU_DEP_2) | instskip(NEXT) | instid1(VALU_DEP_2)
	;; [unrolled: 6-line block ×3, first 2 shown]
	v_pk_fma_f16 v16, v238, v18, v16 op_sel_hi:[1,0,1]
	v_pk_fma_f16 v15, v239, v18, v15 op_sel_hi:[1,0,1]
	s_delay_alu instid0(VALU_DEP_2) | instskip(NEXT) | instid1(VALU_DEP_2)
	v_pk_fma_f16 v21, v240, v18, v16 op_sel:[0,1,0]
	v_pk_fma_f16 v22, v241, v18, v15 op_sel:[0,1,0]
	ds_load_b128 v[15:18], v77 offset:288
	ds_load_b128 v[246:249], v77 offset:304
	s_waitcnt lgkmcnt(1)
	v_pk_fma_f16 v19, v23, v15, v19 op_sel_hi:[1,0,1]
	v_pk_fma_f16 v20, v227, v15, v20 op_sel_hi:[1,0,1]
	s_delay_alu instid0(VALU_DEP_2) | instskip(NEXT) | instid1(VALU_DEP_2)
	v_pk_fma_f16 v19, v228, v15, v19 op_sel:[0,1,0]
	v_pk_fma_f16 v15, v229, v15, v20 op_sel:[0,1,0]
	s_delay_alu instid0(VALU_DEP_2) | instskip(NEXT) | instid1(VALU_DEP_2)
	v_pk_fma_f16 v19, v230, v16, v19 op_sel_hi:[1,0,1]
	v_pk_fma_f16 v15, v231, v16, v15 op_sel_hi:[1,0,1]
	s_delay_alu instid0(VALU_DEP_2) | instskip(NEXT) | instid1(VALU_DEP_2)
	v_pk_fma_f16 v19, v232, v16, v19 op_sel:[0,1,0]
	v_pk_fma_f16 v15, v233, v16, v15 op_sel:[0,1,0]
	s_delay_alu instid0(VALU_DEP_2) | instskip(NEXT) | instid1(VALU_DEP_2)
	;; [unrolled: 6-line block ×3, first 2 shown]
	v_pk_fma_f16 v16, v238, v18, v16 op_sel_hi:[1,0,1]
	v_pk_fma_f16 v15, v239, v18, v15 op_sel_hi:[1,0,1]
	s_delay_alu instid0(VALU_DEP_2) | instskip(NEXT) | instid1(VALU_DEP_2)
	v_pk_fma_f16 v19, v240, v18, v16 op_sel:[0,1,0]
	v_pk_fma_f16 v20, v241, v18, v15 op_sel:[0,1,0]
	v_add_co_u32 v15, vcc_lo, v146, s9
	v_add_co_ci_u32_e32 v16, vcc_lo, 0, v147, vcc_lo
	global_load_b32 v17, v[15:16], off
	v_add_co_u32 v15, vcc_lo, v142, s9
	v_add_co_ci_u32_e32 v16, vcc_lo, 0, v143, vcc_lo
	global_load_b32 v18, v[15:16], off
	;; [unrolled: 3-line block ×15, first 2 shown]
	v_add_co_u32 v15, vcc_lo, v120, s9
	v_add_co_ci_u32_e32 v16, vcc_lo, 0, v121, vcc_lo
	v_add_co_u32 v78, vcc_lo, v78, s11
	v_add_co_ci_u32_e32 v79, vcc_lo, 0, v79, vcc_lo
	global_load_b32 v15, v[15:16], off
	v_add_co_u32 v80, vcc_lo, v80, s11
	v_add_co_ci_u32_e32 v81, vcc_lo, 0, v81, vcc_lo
	v_add_co_u32 v70, vcc_lo, v70, s16
	v_add_co_ci_u32_e32 v71, vcc_lo, s17, v71, vcc_lo
	;; [unrolled: 2-line block ×49, first 2 shown]
	v_add_co_u32 v176, vcc_lo, v176, s6
	s_waitcnt vmcnt(15)
	v_ashrrev_i32_e32 v16, v221, v17
	v_add_co_ci_u32_e32 v177, vcc_lo, 0, v177, vcc_lo
	v_add_co_u32 v178, vcc_lo, v178, s6
	s_delay_alu instid0(VALU_DEP_3)
	v_lshrrev_b32_e32 v17, 8, v16
	v_and_b32_e32 v228, 15, v16
	v_add_co_ci_u32_e32 v179, vcc_lo, 0, v179, vcc_lo
	s_waitcnt vmcnt(14)
	v_ashrrev_i32_e32 v18, v221, v18
	v_and_b32_e32 v17, 15, v17
	v_cvt_f16_u16_e64 v228, v228
	v_add_co_u32 v180, vcc_lo, v180, s6
	s_delay_alu instid0(VALU_DEP_4) | instskip(NEXT) | instid1(VALU_DEP_4)
	v_and_b32_e32 v229, 15, v18
	v_cvt_f16_u16_e32 v17, v17
	v_add_co_ci_u32_e32 v181, vcc_lo, 0, v181, vcc_lo
	v_add_co_u32 v182, vcc_lo, v182, s6
	s_delay_alu instid0(VALU_DEP_3) | instskip(SKIP_4) | instid1(VALU_DEP_4)
	v_pack_b32_f16 v17, v228, v17
	v_lshrrev_b32_e32 v228, 16, v16
	v_bfe_u32 v16, v16, 24, 4
	v_cvt_f16_u16_e64 v229, v229
	v_add_co_ci_u32_e32 v183, vcc_lo, 0, v183, vcc_lo
	v_and_b32_e32 v228, 15, v228
	s_delay_alu instid0(VALU_DEP_4) | instskip(SKIP_2) | instid1(VALU_DEP_4)
	v_cvt_f16_u16_e32 v16, v16
	v_add_co_u32 v184, vcc_lo, v184, s6
	v_add_co_ci_u32_e32 v185, vcc_lo, 0, v185, vcc_lo
	v_cvt_f16_u16_e64 v228, v228
	v_add_co_u32 v186, vcc_lo, v186, s6
	v_add_co_ci_u32_e32 v187, vcc_lo, 0, v187, vcc_lo
	s_delay_alu instid0(VALU_DEP_3) | instskip(SKIP_3) | instid1(VALU_DEP_3)
	v_pack_b32_f16 v16, v228, v16
	v_lshrrev_b32_e32 v228, 8, v18
	v_add_co_u32 v188, vcc_lo, v188, s6
	v_add_co_ci_u32_e32 v189, vcc_lo, 0, v189, vcc_lo
	v_and_b32_e32 v228, 15, v228
	v_add_co_u32 v190, vcc_lo, v190, s6
	v_add_co_ci_u32_e32 v191, vcc_lo, 0, v191, vcc_lo
	s_delay_alu instid0(VALU_DEP_3) | instskip(SKIP_2) | instid1(VALU_DEP_3)
	v_cvt_f16_u16_e64 v228, v228
	v_add_co_u32 v192, vcc_lo, v192, s6
	v_add_co_ci_u32_e32 v193, vcc_lo, 0, v193, vcc_lo
	v_pack_b32_f16 v228, v229, v228
	v_lshrrev_b32_e32 v229, 16, v18
	v_bfe_u32 v18, v18, 24, 4
	v_add_co_u32 v194, vcc_lo, v194, s6
	s_waitcnt vmcnt(12)
	v_pk_fma_f16 v228, v60, v228, v60 op_sel:[0,0,1] op_sel_hi:[0,1,1]
	v_and_b32_e32 v229, 15, v229
	v_cvt_f16_u16_e32 v18, v18
	v_add_co_ci_u32_e32 v195, vcc_lo, 0, v195, vcc_lo
	v_add_co_u32 v196, vcc_lo, v196, s6
	s_delay_alu instid0(VALU_DEP_4) | instskip(SKIP_2) | instid1(VALU_DEP_3)
	v_cvt_f16_u16_e64 v229, v229
	v_add_co_ci_u32_e32 v197, vcc_lo, 0, v197, vcc_lo
	v_add_co_u32 v198, vcc_lo, v198, s6
	v_pack_b32_f16 v18, v229, v18
	v_pk_fma_f16 v229, v23, v17, v23 op_sel:[0,0,1] op_sel_hi:[0,1,1]
	v_pk_fma_f16 v23, v23, v16, v23 op_sel:[0,0,1] op_sel_hi:[0,1,1]
	s_waitcnt vmcnt(11)
	v_ashrrev_i32_e32 v16, v221, v61
	v_add_co_ci_u32_e32 v199, vcc_lo, 0, v199, vcc_lo
	v_pk_fma_f16 v60, v60, v18, v60 op_sel:[0,0,1] op_sel_hi:[0,1,1]
	s_waitcnt lgkmcnt(0)
	v_pk_fma_f16 v19, v229, v246, v19 op_sel_hi:[1,0,1]
	v_lshrrev_b32_e32 v17, 8, v16
	v_and_b32_e32 v18, 15, v16
	v_add_co_u32 v200, vcc_lo, v200, s6
	s_delay_alu instid0(VALU_DEP_4) | instskip(NEXT) | instid1(VALU_DEP_4)
	v_pk_fma_f16 v19, v228, v246, v19 op_sel:[0,1,0]
	v_and_b32_e32 v17, 15, v17
	s_delay_alu instid0(VALU_DEP_4) | instskip(SKIP_2) | instid1(VALU_DEP_4)
	v_cvt_f16_u16_e32 v18, v18
	v_add_co_ci_u32_e32 v201, vcc_lo, 0, v201, vcc_lo
	v_add_co_u32 v202, vcc_lo, v202, s6
	v_cvt_f16_u16_e32 v17, v17
	v_add_co_ci_u32_e32 v203, vcc_lo, 0, v203, vcc_lo
	v_add_co_u32 v204, vcc_lo, v204, s6
	s_delay_alu instid0(VALU_DEP_3) | instskip(SKIP_4) | instid1(VALU_DEP_4)
	v_pack_b32_f16 v17, v18, v17
	v_lshrrev_b32_e32 v18, 16, v16
	v_bfe_u32 v16, v16, 24, 4
	v_add_co_ci_u32_e32 v205, vcc_lo, 0, v205, vcc_lo
	v_add_co_u32 v206, vcc_lo, v206, s6
	v_and_b32_e32 v18, 15, v18
	s_delay_alu instid0(VALU_DEP_4) | instskip(SKIP_2) | instid1(VALU_DEP_4)
	v_cvt_f16_u16_e32 v16, v16
	v_add_co_ci_u32_e32 v207, vcc_lo, 0, v207, vcc_lo
	v_add_co_u32 v208, vcc_lo, v208, s6
	v_cvt_f16_u16_e32 v18, v18
	v_add_co_ci_u32_e32 v209, vcc_lo, 0, v209, vcc_lo
	v_add_co_u32 v210, vcc_lo, v210, s6
	s_delay_alu instid0(VALU_DEP_3) | instskip(SKIP_4) | instid1(VALU_DEP_3)
	v_pack_b32_f16 v16, v18, v16
	s_waitcnt vmcnt(10)
	v_ashrrev_i32_e32 v18, v221, v62
	v_add_co_ci_u32_e32 v211, vcc_lo, 0, v211, vcc_lo
	v_add_co_u32 v212, vcc_lo, v212, s6
	v_lshrrev_b32_e32 v61, 8, v18
	v_and_b32_e32 v62, 15, v18
	v_add_co_ci_u32_e32 v213, vcc_lo, 0, v213, vcc_lo
	v_add_co_u32 v214, vcc_lo, v214, s6
	s_delay_alu instid0(VALU_DEP_4) | instskip(NEXT) | instid1(VALU_DEP_4)
	v_and_b32_e32 v61, 15, v61
	v_cvt_f16_u16_e32 v62, v62
	v_add_co_ci_u32_e32 v215, vcc_lo, 0, v215, vcc_lo
	v_add_co_u32 v216, vcc_lo, v216, s6
	s_delay_alu instid0(VALU_DEP_4) | instskip(SKIP_1) | instid1(VALU_DEP_2)
	v_cvt_f16_u16_e32 v61, v61
	v_add_co_ci_u32_e32 v217, vcc_lo, 0, v217, vcc_lo
	v_pack_b32_f16 v61, v62, v61
	v_lshrrev_b32_e32 v62, 16, v18
	v_bfe_u32 v18, v18, 24, 4
	s_waitcnt vmcnt(7)
	s_delay_alu instid0(VALU_DEP_3) | instskip(NEXT) | instid1(VALU_DEP_3)
	v_pk_fma_f16 v61, v65, v61, v65 op_sel:[0,0,1] op_sel_hi:[0,1,1]
	v_and_b32_e32 v62, 15, v62
	s_delay_alu instid0(VALU_DEP_3) | instskip(NEXT) | instid1(VALU_DEP_2)
	v_cvt_f16_u16_e32 v18, v18
	v_cvt_f16_u16_e32 v62, v62
	s_delay_alu instid0(VALU_DEP_1) | instskip(SKIP_1) | instid1(VALU_DEP_2)
	v_pack_b32_f16 v18, v62, v18
	v_ashrrev_i32_e32 v62, v221, v63
	v_pk_fma_f16 v65, v65, v18, v65 op_sel:[0,0,1] op_sel_hi:[0,1,1]
	s_delay_alu instid0(VALU_DEP_2) | instskip(SKIP_1) | instid1(VALU_DEP_2)
	v_lshrrev_b32_e32 v63, 8, v62
	v_and_b32_e32 v230, 15, v62
	v_and_b32_e32 v63, 15, v63
	s_delay_alu instid0(VALU_DEP_2) | instskip(NEXT) | instid1(VALU_DEP_2)
	v_cvt_f16_u16_e64 v230, v230
	v_cvt_f16_u16_e32 v63, v63
	s_delay_alu instid0(VALU_DEP_1) | instskip(SKIP_3) | instid1(VALU_DEP_3)
	v_pack_b32_f16 v63, v230, v63
	v_lshrrev_b32_e32 v230, 16, v62
	v_bfe_u32 v62, v62, 24, 4
	s_waitcnt vmcnt(6)
	v_pk_fma_f16 v18, v66, v63, v66 op_sel:[0,0,1] op_sel_hi:[0,1,1]
	s_delay_alu instid0(VALU_DEP_3) | instskip(NEXT) | instid1(VALU_DEP_3)
	v_and_b32_e32 v230, 15, v230
	v_cvt_f16_u16_e32 v62, v62
	s_delay_alu instid0(VALU_DEP_2) | instskip(NEXT) | instid1(VALU_DEP_1)
	v_cvt_f16_u16_e64 v230, v230
	v_pack_b32_f16 v62, v230, v62
	v_pk_fma_f16 v230, v64, v17, v64 op_sel:[0,0,1] op_sel_hi:[0,1,1]
	v_pk_fma_f16 v64, v64, v16, v64 op_sel:[0,0,1] op_sel_hi:[0,1,1]
	s_waitcnt vmcnt(5)
	v_ashrrev_i32_e32 v16, v221, v68
	v_pk_fma_f16 v62, v66, v62, v66 op_sel:[0,0,1] op_sel_hi:[0,1,1]
	v_pk_fma_f16 v19, v230, v247, v19 op_sel_hi:[1,0,1]
	s_delay_alu instid0(VALU_DEP_3) | instskip(SKIP_1) | instid1(VALU_DEP_3)
	v_lshrrev_b32_e32 v17, 8, v16
	v_and_b32_e32 v63, 15, v16
	v_pk_fma_f16 v19, v61, v247, v19 op_sel:[0,1,0]
	s_delay_alu instid0(VALU_DEP_3) | instskip(NEXT) | instid1(VALU_DEP_3)
	v_and_b32_e32 v17, 15, v17
	v_cvt_f16_u16_e32 v63, v63
	s_delay_alu instid0(VALU_DEP_2) | instskip(NEXT) | instid1(VALU_DEP_1)
	v_cvt_f16_u16_e32 v17, v17
	v_pack_b32_f16 v17, v63, v17
	v_lshrrev_b32_e32 v63, 16, v16
	v_bfe_u32 v16, v16, 24, 4
	s_delay_alu instid0(VALU_DEP_2) | instskip(NEXT) | instid1(VALU_DEP_2)
	v_and_b32_e32 v63, 15, v63
	v_cvt_f16_u16_e32 v16, v16
	s_delay_alu instid0(VALU_DEP_2) | instskip(NEXT) | instid1(VALU_DEP_1)
	v_cvt_f16_u16_e32 v63, v63
	v_pack_b32_f16 v16, v63, v16
	s_waitcnt vmcnt(4)
	v_ashrrev_i32_e32 v63, v221, v73
	s_delay_alu instid0(VALU_DEP_1) | instskip(SKIP_1) | instid1(VALU_DEP_2)
	v_lshrrev_b32_e32 v66, 8, v63
	v_and_b32_e32 v68, 15, v63
	v_and_b32_e32 v66, 15, v66
	s_delay_alu instid0(VALU_DEP_2) | instskip(NEXT) | instid1(VALU_DEP_2)
	v_cvt_f16_u16_e32 v68, v68
	v_cvt_f16_u16_e32 v66, v66
	s_delay_alu instid0(VALU_DEP_1) | instskip(SKIP_3) | instid1(VALU_DEP_3)
	v_pack_b32_f16 v66, v68, v66
	v_lshrrev_b32_e32 v68, 16, v63
	v_bfe_u32 v63, v63, 24, 4
	s_waitcnt vmcnt(1)
	v_pk_fma_f16 v66, v227, v66, v227 op_sel:[0,0,1] op_sel_hi:[0,1,1]
	s_delay_alu instid0(VALU_DEP_3) | instskip(NEXT) | instid1(VALU_DEP_3)
	v_and_b32_e32 v68, 15, v68
	v_cvt_f16_u16_e32 v63, v63
	s_delay_alu instid0(VALU_DEP_2) | instskip(NEXT) | instid1(VALU_DEP_1)
	v_cvt_f16_u16_e32 v68, v68
	v_pack_b32_f16 v63, v68, v63
	v_ashrrev_i32_e32 v68, v221, v74
	s_delay_alu instid0(VALU_DEP_2) | instskip(NEXT) | instid1(VALU_DEP_2)
	v_pk_fma_f16 v63, v227, v63, v227 op_sel:[0,0,1] op_sel_hi:[0,1,1]
	v_lshrrev_b32_e32 v73, 8, v68
	v_and_b32_e32 v74, 15, v68
	s_delay_alu instid0(VALU_DEP_2) | instskip(NEXT) | instid1(VALU_DEP_2)
	v_and_b32_e32 v73, 15, v73
	v_cvt_f16_u16_e32 v74, v74
	s_delay_alu instid0(VALU_DEP_2) | instskip(NEXT) | instid1(VALU_DEP_1)
	v_cvt_f16_u16_e32 v73, v73
	v_pack_b32_f16 v73, v74, v73
	v_lshrrev_b32_e32 v74, 16, v68
	v_bfe_u32 v68, v68, 24, 4
	s_waitcnt vmcnt(0)
	s_delay_alu instid0(VALU_DEP_3) | instskip(NEXT) | instid1(VALU_DEP_3)
	v_pk_fma_f16 v73, v15, v73, v15 op_sel:[0,0,1] op_sel_hi:[0,1,1]
	v_and_b32_e32 v74, 15, v74
	s_delay_alu instid0(VALU_DEP_3) | instskip(NEXT) | instid1(VALU_DEP_2)
	v_cvt_f16_u16_e32 v68, v68
	v_cvt_f16_u16_e32 v74, v74
	s_delay_alu instid0(VALU_DEP_1)
	v_pack_b32_f16 v68, v74, v68
	v_pk_fma_f16 v74, v75, v17, v75 op_sel:[0,0,1] op_sel_hi:[0,1,1]
	v_pk_fma_f16 v75, v75, v16, v75 op_sel:[0,0,1] op_sel_hi:[0,1,1]
	v_pk_fma_f16 v16, v229, v242, v21 op_sel_hi:[1,0,1]
	v_pk_fma_f16 v17, v23, v242, v22 op_sel_hi:[1,0,1]
	v_pk_fma_f16 v15, v15, v68, v15 op_sel:[0,0,1] op_sel_hi:[0,1,1]
	s_delay_alu instid0(VALU_DEP_3) | instskip(NEXT) | instid1(VALU_DEP_3)
	v_pk_fma_f16 v16, v228, v242, v16 op_sel:[0,1,0]
	v_pk_fma_f16 v17, v60, v242, v17 op_sel:[0,1,0]
	s_delay_alu instid0(VALU_DEP_2) | instskip(NEXT) | instid1(VALU_DEP_2)
	v_pk_fma_f16 v16, v230, v243, v16 op_sel_hi:[1,0,1]
	v_pk_fma_f16 v17, v64, v243, v17 op_sel_hi:[1,0,1]
	s_delay_alu instid0(VALU_DEP_2) | instskip(NEXT) | instid1(VALU_DEP_2)
	v_pk_fma_f16 v16, v61, v243, v16 op_sel:[0,1,0]
	v_pk_fma_f16 v17, v65, v243, v17 op_sel:[0,1,0]
	s_delay_alu instid0(VALU_DEP_2) | instskip(SKIP_2) | instid1(VALU_DEP_4)
	v_pk_fma_f16 v16, v18, v244, v16 op_sel_hi:[1,0,1]
	v_pk_fma_f16 v18, v18, v248, v19 op_sel_hi:[1,0,1]
	v_pk_fma_f16 v19, v23, v246, v20 op_sel_hi:[1,0,1]
	v_pk_fma_f16 v17, v62, v244, v17 op_sel_hi:[1,0,1]
	s_delay_alu instid0(VALU_DEP_4) | instskip(NEXT) | instid1(VALU_DEP_4)
	v_pk_fma_f16 v16, v74, v244, v16 op_sel:[0,1,0]
	v_pk_fma_f16 v18, v74, v248, v18 op_sel:[0,1,0]
	s_delay_alu instid0(VALU_DEP_4) | instskip(NEXT) | instid1(VALU_DEP_4)
	v_pk_fma_f16 v19, v60, v246, v19 op_sel:[0,1,0]
	v_pk_fma_f16 v17, v75, v244, v17 op_sel:[0,1,0]
	s_delay_alu instid0(VALU_DEP_4) | instskip(NEXT) | instid1(VALU_DEP_4)
	v_pk_fma_f16 v16, v66, v245, v16 op_sel_hi:[1,0,1]
	v_pk_fma_f16 v18, v66, v249, v18 op_sel_hi:[1,0,1]
	s_delay_alu instid0(VALU_DEP_4) | instskip(NEXT) | instid1(VALU_DEP_4)
	v_pk_fma_f16 v19, v64, v247, v19 op_sel_hi:[1,0,1]
	v_pk_fma_f16 v17, v63, v245, v17 op_sel_hi:[1,0,1]
	s_delay_alu instid0(VALU_DEP_4) | instskip(NEXT) | instid1(VALU_DEP_4)
	v_pk_fma_f16 v16, v73, v245, v16 op_sel:[0,1,0]
	v_pk_fma_f16 v18, v73, v249, v18 op_sel:[0,1,0]
	s_delay_alu instid0(VALU_DEP_4) | instskip(NEXT) | instid1(VALU_DEP_4)
	v_pk_fma_f16 v19, v65, v247, v19 op_sel:[0,1,0]
	v_pk_fma_f16 v17, v15, v245, v17 op_sel:[0,1,0]
	s_delay_alu instid0(VALU_DEP_2) | instskip(NEXT) | instid1(VALU_DEP_1)
	v_pk_fma_f16 v19, v62, v248, v19 op_sel_hi:[1,0,1]
	v_pk_fma_f16 v19, v75, v248, v19 op_sel:[0,1,0]
	s_delay_alu instid0(VALU_DEP_1) | instskip(NEXT) | instid1(VALU_DEP_1)
	v_pk_fma_f16 v19, v63, v249, v19 op_sel_hi:[1,0,1]
	v_pk_fma_f16 v19, v15, v249, v19 op_sel:[0,1,0]
	s_cbranch_scc1 .LBB19_27
; %bb.26:                               ;   in Loop: Header=BB19_17 Depth=1
	v_dual_mov_b32 v20, v58 :: v_dual_mov_b32 v15, v59
	s_branch .LBB19_17
.LBB19_27:
	scratch_load_b32 v63, off, off offset:32 ; 4-byte Folded Reload
	v_mbcnt_lo_u32_b32 v64, -1, 0
	s_waitcnt vmcnt(0)
	ds_store_b128 v63, v[16:19]
	s_clause 0x4
	scratch_load_b32 v60, off, off offset:16
	scratch_load_b32 v61, off, off offset:20
	;; [unrolled: 1-line block ×5, first 2 shown]
.LBB19_28:
	s_cmp_eq_u64 s[24:25], 0
	s_cselect_b32 s1, -1, 0
	s_cmp_lg_u32 s14, 0
	s_cselect_b32 s4, -1, 0
	s_delay_alu instid0(SALU_CYCLE_1) | instskip(NEXT) | instid1(SALU_CYCLE_1)
	s_or_b32 s1, s4, s1
	s_or_b32 s0, s0, s1
	s_delay_alu instid0(SALU_CYCLE_1) | instskip(NEXT) | instid1(SALU_CYCLE_1)
	s_xor_b32 s0, s0, -1
	s_and_saveexec_b32 s1, s0
	s_cbranch_execz .LBB19_30
; %bb.29:
	s_ashr_i32 s13, s12, 31
	s_waitcnt vmcnt(3)
	v_cmp_eq_u32_e32 vcc_lo, 1, v61
	s_lshl_b64 s[4:5], s[12:13], 2
	s_delay_alu instid0(SALU_CYCLE_1) | instskip(SKIP_3) | instid1(VALU_DEP_1)
	s_add_u32 s4, s24, s4
	s_addc_u32 s5, s25, s5
	s_load_b32 s0, s[4:5], 0x0
	v_cndmask_b32_e32 v0, v58, v59, vcc_lo
	v_max_f32_e32 v1, v0, v0
	s_waitcnt lgkmcnt(0)
	v_max_f32_e64 v2, s0, s0
	s_delay_alu instid0(VALU_DEP_1) | instskip(NEXT) | instid1(VALU_DEP_1)
	v_max_f32_e32 v2, v2, v1
	v_sub_f32_e32 v3, s0, v2
	v_sub_f32_e32 v4, v0, v2
	s_delay_alu instid0(VALU_DEP_2) | instskip(SKIP_1) | instid1(VALU_DEP_2)
	v_mul_f32_e32 v0, 0x3fb8aa3b, v3
	v_cmp_ngt_f32_e64 s0, 0xc2ce8ed0, v3
	v_fma_f32 v5, 0x3fb8aa3b, v3, -v0
	v_rndne_f32_e32 v6, v0
	s_delay_alu instid0(VALU_DEP_2) | instskip(SKIP_2) | instid1(VALU_DEP_2)
	v_fmac_f32_e32 v5, 0x32a5705f, v3
	v_mul_f32_e32 v1, 0x3fb8aa3b, v4
	v_cndmask_b32_e32 v59, v59, v2, vcc_lo
	v_fma_f32 v7, 0x3fb8aa3b, v4, -v1
	v_rndne_f32_e32 v8, v1
	s_delay_alu instid0(VALU_DEP_2) | instskip(NEXT) | instid1(VALU_DEP_1)
	v_dual_sub_f32 v0, v0, v6 :: v_dual_fmac_f32 v7, 0x32a5705f, v4
	v_dual_sub_f32 v1, v1, v8 :: v_dual_add_f32 v0, v0, v5
	s_delay_alu instid0(VALU_DEP_1) | instskip(NEXT) | instid1(VALU_DEP_2)
	v_add_f32_e32 v1, v1, v7
	v_exp_f32_e32 v0, v0
	v_cvt_i32_f32_e32 v7, v8
	s_delay_alu instid0(VALU_DEP_2)
	v_exp_f32_e32 v5, v1
	v_cvt_i32_f32_e32 v1, v6
	v_lshl_add_u32 v6, v61, 3, v63
	s_waitcnt_depctr 0xfff
	v_ldexp_f32 v8, v0, v1
	ds_load_b64 v[0:1], v6
	v_ldexp_f32 v5, v5, v7
	v_cndmask_b32_e64 v7, 0, v8, s0
	v_cmp_ngt_f32_e64 s0, 0xc2ce8ed0, v4
	s_delay_alu instid0(VALU_DEP_1) | instskip(SKIP_1) | instid1(VALU_DEP_1)
	v_cndmask_b32_e64 v5, 0, v5, s0
	v_cmp_nlt_f32_e64 s0, 0x42b17218, v3
	v_cndmask_b32_e64 v3, 0x7f800000, v7, s0
	v_cmp_nlt_f32_e64 s0, 0x42b17218, v4
	v_cndmask_b32_e32 v7, v56, v57, vcc_lo
	s_delay_alu instid0(VALU_DEP_2) | instskip(SKIP_1) | instid1(VALU_DEP_2)
	v_cndmask_b32_e64 v4, 0x7f800000, v5, s0
	v_cmp_eq_u32_e64 s0, 0, v60
	v_cvt_f16_f32_e32 v5, v4
	s_delay_alu instid0(VALU_DEP_2) | instskip(SKIP_2) | instid1(VALU_DEP_3)
	v_cndmask_b32_e64 v3, 0, v3, s0
	v_cmp_eq_u32_e64 s0, 0, v61
	s_waitcnt lgkmcnt(0)
	v_pk_mul_f16 v0, v5, v0 op_sel_hi:[0,1]
	s_delay_alu instid0(VALU_DEP_3) | instskip(NEXT) | instid1(VALU_DEP_3)
	v_fmac_f32_e32 v3, v7, v4
	v_cndmask_b32_e64 v58, v58, v2, s0
	v_pk_mul_f16 v1, v5, v1 op_sel_hi:[0,1]
	s_delay_alu instid0(VALU_DEP_3)
	v_cndmask_b32_e32 v57, v57, v3, vcc_lo
	v_cndmask_b32_e64 v56, v56, v3, s0
	ds_store_b64 v6, v[0:1]
.LBB19_30:
	s_or_b32 exec_lo, exec_lo, s1
	s_delay_alu instid0(SALU_CYCLE_1)
	s_mov_b32 s0, exec_lo
	s_waitcnt vmcnt(3)
	v_cmpx_eq_u32_e32 0, v61
	s_cbranch_execz .LBB19_32
; %bb.31:
	v_mov_b32_e32 v0, 0xfeffffff
	s_waitcnt vmcnt(0)
	v_dual_mov_b32 v2, 0 :: v_dual_add_nc_u32 v1, 0x400, v20
	ds_store_2addr_b32 v1, v0, v0 offset1:32
	ds_store_2addr_b32 v1, v2, v2 offset0:64 offset1:96
.LBB19_32:
	s_or_b32 exec_lo, exec_lo, s0
	v_cmp_eq_u32_e64 s0, 0, v60
	s_waitcnt vmcnt(0) lgkmcnt(0)
	s_waitcnt_vscnt null, 0x0
	s_barrier
	buffer_gl0_inv
	s_and_saveexec_b32 s1, s0
	s_cbranch_execz .LBB19_34
; %bb.33:
	v_lshlrev_b32_e32 v0, 2, v61
	s_delay_alu instid0(VALU_DEP_1)
	v_add_nc_u32_e32 v0, 0x400, v0
	ds_store_2addr_b32 v0, v58, v59 offset1:32
.LBB19_34:
	s_or_b32 exec_lo, exec_lo, s1
	s_cmp_lt_i32 s15, s34
	s_waitcnt lgkmcnt(0)
	s_barrier
	buffer_gl0_inv
	s_cbranch_scc1 .LBB19_36
; %bb.35:
	s_load_b32 s4, s[2:3], 0xd4
	s_cbranch_execz .LBB19_37
	s_branch .LBB19_44
.LBB19_36:
                                        ; implicit-def: $sgpr4
.LBB19_37:
	v_xor_b32_e32 v1, 16, v64
	v_xor_b32_e32 v3, 8, v64
	ds_load_b32 v0, v20 offset:1024
	v_xor_b32_e32 v4, 4, v64
	v_xor_b32_e32 v5, 2, v64
	v_cmp_gt_i32_e32 vcc_lo, 32, v1
	v_xor_b32_e32 v6, 1, v64
	s_waitcnt lgkmcnt(0)
	s_load_b32 s4, s[2:3], 0xd4
	v_lshlrev_b32_e32 v11, 3, v60
	v_cndmask_b32_e32 v1, v64, v1, vcc_lo
	v_cmp_gt_i32_e32 vcc_lo, 32, v3
	v_cndmask_b32_e32 v3, v64, v3, vcc_lo
	v_cmp_gt_i32_e32 vcc_lo, 32, v4
	;; [unrolled: 2-line block ×3, first 2 shown]
	s_delay_alu instid0(VALU_DEP_2)
	v_lshlrev_b32_e32 v4, 2, v4
	v_lshlrev_b32_e32 v2, 2, v1
	v_cndmask_b32_e32 v5, v64, v5, vcc_lo
	v_cmp_gt_i32_e32 vcc_lo, 32, v6
	ds_bpermute_b32 v1, v2, v0
	v_dual_max_f32 v0, v0, v0 :: v_dual_lshlrev_b32 v5, 2, v5
	v_cndmask_b32_e32 v6, v64, v6, vcc_lo
	s_waitcnt lgkmcnt(0)
	s_delay_alu instid0(VALU_DEP_1) | instskip(NEXT) | instid1(VALU_DEP_1)
	v_dual_max_f32 v1, v1, v1 :: v_dual_lshlrev_b32 v6, 2, v6
	v_dual_max_f32 v0, v0, v1 :: v_dual_lshlrev_b32 v3, 2, v3
	ds_bpermute_b32 v1, v3, v0
	s_waitcnt lgkmcnt(0)
	v_max_f32_e32 v1, v1, v1
	s_delay_alu instid0(VALU_DEP_1) | instskip(SKIP_3) | instid1(VALU_DEP_1)
	v_max_f32_e32 v0, v0, v1
	ds_bpermute_b32 v1, v4, v0
	s_waitcnt lgkmcnt(0)
	v_max_f32_e32 v1, v1, v1
	v_max_f32_e32 v0, v0, v1
	ds_bpermute_b32 v1, v5, v0
	s_waitcnt lgkmcnt(0)
	v_max_f32_e32 v1, v1, v1
	s_delay_alu instid0(VALU_DEP_1) | instskip(SKIP_3) | instid1(VALU_DEP_1)
	v_max_f32_e32 v0, v0, v1
	ds_bpermute_b32 v1, v6, v0
	s_waitcnt lgkmcnt(0)
	v_max_f32_e32 v1, v1, v1
	v_max_f32_e32 v0, v0, v1
	s_delay_alu instid0(VALU_DEP_1) | instskip(NEXT) | instid1(VALU_DEP_1)
	v_sub_f32_e32 v1, v58, v0
	v_mul_f32_e32 v7, 0x3fb8aa3b, v1
	v_cmp_ngt_f32_e32 vcc_lo, 0xc2ce8ed0, v1
	s_delay_alu instid0(VALU_DEP_2) | instskip(SKIP_1) | instid1(VALU_DEP_1)
	v_fma_f32 v8, 0x3fb8aa3b, v1, -v7
	v_rndne_f32_e32 v9, v7
	v_dual_fmamk_f32 v8, v1, 0x32a5705f, v8 :: v_dual_sub_f32 v7, v7, v9
	s_delay_alu instid0(VALU_DEP_1)
	v_add_f32_e32 v7, v7, v8
	v_cvt_i32_f32_e32 v8, v9
	ds_load_b64 v[9:10], v63
	v_exp_f32_e32 v7, v7
	s_waitcnt_depctr 0xfff
	v_ldexp_f32 v7, v7, v8
	s_delay_alu instid0(VALU_DEP_1) | instskip(SKIP_1) | instid1(VALU_DEP_2)
	v_cndmask_b32_e32 v7, 0, v7, vcc_lo
	v_cmp_nlt_f32_e32 vcc_lo, 0x42b17218, v1
	v_cndmask_b32_e32 v7, 0x7f800000, v7, vcc_lo
	s_delay_alu instid0(VALU_DEP_1)
	v_mul_f32_e32 v1, v56, v7
	ds_bpermute_b32 v1, v2, v1
	s_waitcnt lgkmcnt(0)
	v_fmac_f32_e32 v1, v56, v7
	v_cvt_f16_f32_e32 v7, v7
	ds_bpermute_b32 v8, v3, v1
	v_pk_mul_f16 v9, v7, v9 op_sel_hi:[0,1]
	v_pk_mul_f16 v10, v7, v10 op_sel_hi:[0,1]
	v_add_nc_u32_e32 v7, v62, v11
	ds_store_b64 v63, v[9:10]
	ds_store_b64 v7, v[9:10]
	s_waitcnt lgkmcnt(2)
	v_add_f32_e32 v1, v1, v8
	ds_bpermute_b32 v8, v4, v1
	s_waitcnt lgkmcnt(0)
	v_add_f32_e32 v1, v1, v8
	ds_bpermute_b32 v8, v5, v1
	;; [unrolled: 3-line block ×3, first 2 shown]
	s_and_saveexec_b32 s1, s0
	s_cbranch_execz .LBB19_39
; %bb.38:
	s_waitcnt lgkmcnt(0)
	v_dual_add_f32 v1, v1, v8 :: v_dual_lshlrev_b32 v8, 2, v61
	ds_store_b32 v8, v1 offset:1280
.LBB19_39:
	s_or_b32 exec_lo, exec_lo, s1
	s_waitcnt lgkmcnt(0)
	s_barrier
	buffer_gl0_inv
	scratch_load_b32 v11, off, off          ; 4-byte Folded Reload
	ds_load_b32 v1, v20 offset:1280
	s_cmp_eq_u32 s4, 1
	s_mul_i32 s2, s33, s34
	s_cselect_b32 s1, -1, 0
	s_add_i32 s2, s2, s15
	s_waitcnt vmcnt(0)
	ds_load_u16 v8, v11
	ds_load_u16 v9, v11 offset:256
	ds_load_u16 v10, v11 offset:512
	;; [unrolled: 1-line block ×3, first 2 shown]
	s_waitcnt lgkmcnt(4)
	ds_bpermute_b32 v12, v2, v1
	s_mul_i32 s2, s2, s35
	s_delay_alu instid0(SALU_CYCLE_1) | instskip(NEXT) | instid1(SALU_CYCLE_1)
	s_add_i32 s2, s2, s12
	s_mul_i32 s3, s4, s2
	s_delay_alu instid0(SALU_CYCLE_1)
	s_add_i32 s3, s3, s14
	s_waitcnt lgkmcnt(4)
	v_cvt_f32_f16_e32 v8, v8
	s_waitcnt lgkmcnt(3)
	v_cvt_f32_f16_e32 v9, v9
	;; [unrolled: 2-line block ×3, first 2 shown]
	v_add_f32_e32 v8, 0, v8
	s_waitcnt lgkmcnt(0)
	s_delay_alu instid0(VALU_DEP_1) | instskip(SKIP_4) | instid1(VALU_DEP_1)
	v_dual_add_f32 v1, v1, v12 :: v_dual_add_f32 v8, v8, v9
	ds_bpermute_b32 v12, v3, v1
	v_cvt_f32_f16_e32 v9, v11
	v_add_f32_e32 v8, v8, v10
	s_waitcnt lgkmcnt(0)
	v_dual_add_f32 v10, v8, v9 :: v_dual_add_f32 v1, v1, v12
	ds_bpermute_b32 v12, v4, v1
	s_waitcnt lgkmcnt(0)
	v_add_f32_e32 v1, v1, v12
	ds_bpermute_b32 v12, v5, v1
	s_waitcnt lgkmcnt(0)
	v_add_f32_e32 v1, v1, v12
	;; [unrolled: 3-line block ×3, first 2 shown]
	s_delay_alu instid0(VALU_DEP_1) | instskip(SKIP_1) | instid1(VALU_DEP_2)
	v_div_scale_f32 v1, null, v56, v56, v10
	v_div_scale_f32 v11, vcc_lo, v10, v56, v10
	v_rcp_f32_e32 v8, v1
	s_waitcnt_depctr 0xfff
	v_fma_f32 v9, -v1, v8, 1.0
	s_delay_alu instid0(VALU_DEP_1) | instskip(NEXT) | instid1(VALU_DEP_1)
	v_fmac_f32_e32 v8, v9, v8
	v_mul_f32_e32 v9, v11, v8
	s_delay_alu instid0(VALU_DEP_1) | instskip(NEXT) | instid1(VALU_DEP_1)
	v_fma_f32 v12, -v1, v9, v11
	v_fmac_f32_e32 v9, v12, v8
	s_delay_alu instid0(VALU_DEP_1) | instskip(NEXT) | instid1(VALU_DEP_1)
	v_fma_f32 v1, -v1, v9, v11
	v_div_fmas_f32 v1, v1, v8, v9
	v_mov_b32_e32 v9, 0
	v_lshl_or_b32 v8, s3, 7, v17
	s_or_b32 s3, s15, 1
	s_delay_alu instid0(VALU_DEP_3) | instskip(SKIP_1) | instid1(VALU_DEP_2)
	v_div_fixup_f32 v1, v1, v56, v10
	s_cmp_ge_i32 s3, s34
	v_lshlrev_b64 v[8:9], 2, v[8:9]
	s_delay_alu instid0(VALU_DEP_2) | instskip(SKIP_1) | instid1(VALU_DEP_3)
	v_cndmask_b32_e64 v10, v10, v1, s1
	v_mov_b32_e32 v1, v59
	v_add_co_u32 v8, vcc_lo, s28, v8
	s_delay_alu instid0(VALU_DEP_4)
	v_add_co_ci_u32_e32 v9, vcc_lo, s29, v9, vcc_lo
	global_store_b32 v[8:9], v10, off
	s_waitcnt_vscnt null, 0x0
	s_barrier
	buffer_gl0_inv
	s_cbranch_scc1 .LBB19_43
; %bb.40:
	v_or_b32_e32 v1, 0x400, v20
	ds_load_b32 v1, v1 offset:128
	s_waitcnt lgkmcnt(0)
	ds_bpermute_b32 v8, v2, v1
	s_waitcnt lgkmcnt(0)
	v_dual_max_f32 v1, v1, v1 :: v_dual_max_f32 v8, v8, v8
	s_delay_alu instid0(VALU_DEP_1) | instskip(SKIP_3) | instid1(VALU_DEP_1)
	v_max_f32_e32 v1, v1, v8
	ds_bpermute_b32 v8, v3, v1
	s_waitcnt lgkmcnt(0)
	v_max_f32_e32 v8, v8, v8
	v_max_f32_e32 v1, v1, v8
	ds_bpermute_b32 v8, v4, v1
	s_waitcnt lgkmcnt(0)
	v_max_f32_e32 v8, v8, v8
	s_delay_alu instid0(VALU_DEP_1) | instskip(SKIP_3) | instid1(VALU_DEP_1)
	v_max_f32_e32 v1, v1, v8
	ds_bpermute_b32 v8, v5, v1
	s_waitcnt lgkmcnt(0)
	v_max_f32_e32 v8, v8, v8
	v_max_f32_e32 v1, v1, v8
	ds_bpermute_b32 v8, v6, v1
	s_waitcnt lgkmcnt(0)
	v_max_f32_e32 v8, v8, v8
	s_delay_alu instid0(VALU_DEP_1) | instskip(NEXT) | instid1(VALU_DEP_1)
	v_max_f32_e32 v1, v1, v8
	v_sub_f32_e32 v8, v59, v1
	s_delay_alu instid0(VALU_DEP_1) | instskip(SKIP_1) | instid1(VALU_DEP_2)
	v_mul_f32_e32 v9, 0x3fb8aa3b, v8
	v_cmp_ngt_f32_e32 vcc_lo, 0xc2ce8ed0, v8
	v_fma_f32 v10, 0x3fb8aa3b, v8, -v9
	v_rndne_f32_e32 v11, v9
	s_delay_alu instid0(VALU_DEP_1) | instskip(NEXT) | instid1(VALU_DEP_1)
	v_dual_fmamk_f32 v10, v8, 0x32a5705f, v10 :: v_dual_sub_f32 v9, v9, v11
	v_add_f32_e32 v9, v9, v10
	v_cvt_i32_f32_e32 v10, v11
	ds_load_b64 v[11:12], v63 offset:8
	v_exp_f32_e32 v9, v9
	s_waitcnt_depctr 0xfff
	v_ldexp_f32 v9, v9, v10
	s_delay_alu instid0(VALU_DEP_1) | instskip(SKIP_1) | instid1(VALU_DEP_2)
	v_cndmask_b32_e32 v9, 0, v9, vcc_lo
	v_cmp_nlt_f32_e32 vcc_lo, 0x42b17218, v8
	v_cndmask_b32_e32 v8, 0x7f800000, v9, vcc_lo
	s_delay_alu instid0(VALU_DEP_1)
	v_mul_f32_e32 v9, v57, v8
	ds_bpermute_b32 v9, v2, v9
	s_waitcnt lgkmcnt(0)
	v_fmac_f32_e32 v9, v57, v8
	v_cvt_f16_f32_e32 v8, v8
	ds_bpermute_b32 v10, v3, v9
	v_pk_mul_f16 v11, v8, v11 op_sel_hi:[0,1]
	v_pk_mul_f16 v12, v8, v12 op_sel_hi:[0,1]
	ds_store_b64 v63, v[11:12] offset:8
	ds_store_b64 v7, v[11:12]
	s_waitcnt lgkmcnt(2)
	v_dual_add_f32 v9, v9, v10 :: v_dual_add_nc_u32 v8, 0x500, v20
	ds_bpermute_b32 v10, v4, v9
	s_waitcnt lgkmcnt(0)
	v_add_f32_e32 v9, v9, v10
	ds_bpermute_b32 v10, v5, v9
	s_waitcnt lgkmcnt(0)
	v_add_f32_e32 v9, v9, v10
	ds_bpermute_b32 v10, v6, v9
	s_and_saveexec_b32 s3, s0
	s_cbranch_execz .LBB19_42
; %bb.41:
	v_lshlrev_b32_e32 v7, 2, v61
	s_waitcnt lgkmcnt(0)
	v_add_f32_e32 v9, v9, v10
	ds_store_b32 v7, v9 offset:1408
.LBB19_42:
	s_or_b32 exec_lo, exec_lo, s3
	s_waitcnt lgkmcnt(0)
	s_barrier
	buffer_gl0_inv
	scratch_load_b32 v11, off, off          ; 4-byte Folded Reload
	ds_load_b32 v7, v8 offset:128
	s_add_i32 s2, s2, s35
	s_waitcnt vmcnt(0)
	ds_load_u16 v8, v11
	ds_load_u16 v9, v11 offset:256
	ds_load_u16 v10, v11 offset:512
	;; [unrolled: 1-line block ×3, first 2 shown]
	s_waitcnt lgkmcnt(4)
	ds_bpermute_b32 v2, v2, v7
	s_mul_i32 s0, s4, s2
	s_delay_alu instid0(SALU_CYCLE_1)
	s_add_i32 s0, s0, s14
	s_waitcnt lgkmcnt(0)
	v_add_f32_e32 v2, v7, v2
	ds_bpermute_b32 v3, v3, v2
	s_waitcnt lgkmcnt(0)
	v_add_f32_e32 v2, v2, v3
	ds_bpermute_b32 v3, v4, v2
	;; [unrolled: 3-line block ×3, first 2 shown]
	v_cvt_f32_f16_e32 v5, v9
	s_waitcnt lgkmcnt(0)
	v_add_f32_e32 v2, v2, v3
	v_cvt_f32_f16_e32 v3, v8
	ds_bpermute_b32 v4, v6, v2
	v_add_f32_e32 v3, 0, v3
	v_cvt_f32_f16_e32 v6, v10
	s_delay_alu instid0(VALU_DEP_2) | instskip(SKIP_1) | instid1(VALU_DEP_2)
	v_add_f32_e32 v3, v3, v5
	v_cvt_f32_f16_e32 v5, v11
	v_add_f32_e32 v3, v3, v6
	s_delay_alu instid0(VALU_DEP_1) | instskip(SKIP_2) | instid1(VALU_DEP_1)
	v_add_f32_e32 v5, v3, v5
	s_waitcnt lgkmcnt(0)
	v_add_f32_e32 v57, v2, v4
	v_div_scale_f32 v3, null, v57, v57, v5
	v_div_scale_f32 v6, vcc_lo, v5, v57, v5
	s_delay_alu instid0(VALU_DEP_2) | instskip(SKIP_2) | instid1(VALU_DEP_1)
	v_rcp_f32_e32 v4, v3
	s_waitcnt_depctr 0xfff
	v_fma_f32 v2, -v3, v4, 1.0
	v_fmac_f32_e32 v4, v2, v4
	s_delay_alu instid0(VALU_DEP_1) | instskip(NEXT) | instid1(VALU_DEP_1)
	v_mul_f32_e32 v7, v6, v4
	v_fma_f32 v2, -v3, v7, v6
	s_delay_alu instid0(VALU_DEP_1) | instskip(SKIP_1) | instid1(VALU_DEP_2)
	v_fmac_f32_e32 v7, v2, v4
	v_lshl_or_b32 v2, s0, 7, v17
	v_fma_f32 v6, -v3, v7, v6
	v_mov_b32_e32 v3, 0
	s_delay_alu instid0(VALU_DEP_2) | instskip(NEXT) | instid1(VALU_DEP_2)
	v_div_fmas_f32 v4, v6, v4, v7
	v_lshlrev_b64 v[2:3], 2, v[2:3]
	s_delay_alu instid0(VALU_DEP_2) | instskip(NEXT) | instid1(VALU_DEP_2)
	v_div_fixup_f32 v4, v4, v57, v5
	v_add_co_u32 v2, vcc_lo, s28, v2
	s_delay_alu instid0(VALU_DEP_3) | instskip(NEXT) | instid1(VALU_DEP_3)
	v_add_co_ci_u32_e32 v3, vcc_lo, s29, v3, vcc_lo
	v_cndmask_b32_e64 v4, v5, v4, s1
	global_store_b32 v[2:3], v4, off
.LBB19_43:
	v_dual_mov_b32 v59, v1 :: v_dual_mov_b32 v58, v0
.LBB19_44:
	v_or_b32_e32 v0, s15, v60
	v_cmp_gt_u32_e32 vcc_lo, 2, v17
	s_waitcnt lgkmcnt(0)
	s_cmp_lg_u32 s4, 1
	s_cselect_b32 s1, -1, 0
	v_cmp_gt_i32_e64 s0, s34, v0
	s_and_b32 s1, vcc_lo, s1
	s_delay_alu instid0(VALU_DEP_1) | instid1(SALU_CYCLE_1)
	s_and_b32 s0, s1, s0
	s_delay_alu instid0(SALU_CYCLE_1)
	s_and_saveexec_b32 s1, s0
	s_cbranch_execz .LBB19_46
; %bb.45:
	v_mad_u64_u32 v[1:2], null, s33, s34, v[0:1]
	v_cmp_eq_u32_e32 vcc_lo, 1, v17
	s_delay_alu instid0(VALU_DEP_2) | instskip(SKIP_1) | instid1(VALU_DEP_2)
	v_mad_u64_u32 v[2:3], null, v1, s35, s[12:13]
	v_cndmask_b32_e32 v3, v56, v57, vcc_lo
	v_mad_u64_u32 v[0:1], null, s4, v2, s[14:15]
	v_dual_mov_b32 v1, 0 :: v_dual_cndmask_b32 v2, v58, v59
	s_delay_alu instid0(VALU_DEP_1) | instskip(NEXT) | instid1(VALU_DEP_1)
	v_lshlrev_b64 v[0:1], 3, v[0:1]
	v_add_co_u32 v0, vcc_lo, s30, v0
	s_delay_alu instid0(VALU_DEP_2)
	v_add_co_ci_u32_e32 v1, vcc_lo, s31, v1, vcc_lo
	global_store_b64 v[0:1], v[2:3], off
.LBB19_46:
	s_nop 0
	s_sendmsg sendmsg(MSG_DEALLOC_VGPRS)
	s_endpgm
	.section	.rodata,"a",@progbits
	.p2align	6, 0x0
	.amdhsa_kernel _ZL18flash_attn_ext_vecILi128ELi2EL9ggml_type6ELS0_3ELb0EEvPKcS2_S2_S2_S2_PKiPfP15HIP_vector_typeIfLj2EEffffjfiS6_IjLj3EEiiiiiiiiiiiliiliiiiil
		.amdhsa_group_segment_fixed_size 3584
		.amdhsa_private_segment_fixed_size 44
		.amdhsa_kernarg_size 464
		.amdhsa_user_sgpr_count 13
		.amdhsa_user_sgpr_dispatch_ptr 1
		.amdhsa_user_sgpr_queue_ptr 0
		.amdhsa_user_sgpr_kernarg_segment_ptr 1
		.amdhsa_user_sgpr_dispatch_id 0
		.amdhsa_user_sgpr_private_segment_size 0
		.amdhsa_wavefront_size32 1
		.amdhsa_uses_dynamic_stack 0
		.amdhsa_enable_private_segment 1
		.amdhsa_system_sgpr_workgroup_id_x 1
		.amdhsa_system_sgpr_workgroup_id_y 1
		.amdhsa_system_sgpr_workgroup_id_z 1
		.amdhsa_system_sgpr_workgroup_info 0
		.amdhsa_system_vgpr_workitem_id 2
		.amdhsa_next_free_vgpr 256
		.amdhsa_next_free_sgpr 52
		.amdhsa_reserve_vcc 1
		.amdhsa_float_round_mode_32 0
		.amdhsa_float_round_mode_16_64 0
		.amdhsa_float_denorm_mode_32 3
		.amdhsa_float_denorm_mode_16_64 3
		.amdhsa_dx10_clamp 1
		.amdhsa_ieee_mode 1
		.amdhsa_fp16_overflow 0
		.amdhsa_workgroup_processor_mode 1
		.amdhsa_memory_ordered 1
		.amdhsa_forward_progress 0
		.amdhsa_shared_vgpr_count 0
		.amdhsa_exception_fp_ieee_invalid_op 0
		.amdhsa_exception_fp_denorm_src 0
		.amdhsa_exception_fp_ieee_div_zero 0
		.amdhsa_exception_fp_ieee_overflow 0
		.amdhsa_exception_fp_ieee_underflow 0
		.amdhsa_exception_fp_ieee_inexact 0
		.amdhsa_exception_int_div_zero 0
	.end_amdhsa_kernel
	.section	.text._ZL18flash_attn_ext_vecILi128ELi2EL9ggml_type6ELS0_3ELb0EEvPKcS2_S2_S2_S2_PKiPfP15HIP_vector_typeIfLj2EEffffjfiS6_IjLj3EEiiiiiiiiiiiliiliiiiil,"axG",@progbits,_ZL18flash_attn_ext_vecILi128ELi2EL9ggml_type6ELS0_3ELb0EEvPKcS2_S2_S2_S2_PKiPfP15HIP_vector_typeIfLj2EEffffjfiS6_IjLj3EEiiiiiiiiiiiliiliiiiil,comdat
.Lfunc_end19:
	.size	_ZL18flash_attn_ext_vecILi128ELi2EL9ggml_type6ELS0_3ELb0EEvPKcS2_S2_S2_S2_PKiPfP15HIP_vector_typeIfLj2EEffffjfiS6_IjLj3EEiiiiiiiiiiiliiliiiiil, .Lfunc_end19-_ZL18flash_attn_ext_vecILi128ELi2EL9ggml_type6ELS0_3ELb0EEvPKcS2_S2_S2_S2_PKiPfP15HIP_vector_typeIfLj2EEffffjfiS6_IjLj3EEiiiiiiiiiiiliiliiiiil
                                        ; -- End function
	.section	.AMDGPU.csdata,"",@progbits
; Kernel info:
; codeLenInByte = 22612
; NumSgprs: 54
; NumVgprs: 256
; ScratchSize: 44
; MemoryBound: 0
; FloatMode: 240
; IeeeMode: 1
; LDSByteSize: 3584 bytes/workgroup (compile time only)
; SGPRBlocks: 6
; VGPRBlocks: 31
; NumSGPRsForWavesPerEU: 54
; NumVGPRsForWavesPerEU: 256
; Occupancy: 5
; WaveLimiterHint : 0
; COMPUTE_PGM_RSRC2:SCRATCH_EN: 1
; COMPUTE_PGM_RSRC2:USER_SGPR: 13
; COMPUTE_PGM_RSRC2:TRAP_HANDLER: 0
; COMPUTE_PGM_RSRC2:TGID_X_EN: 1
; COMPUTE_PGM_RSRC2:TGID_Y_EN: 1
; COMPUTE_PGM_RSRC2:TGID_Z_EN: 1
; COMPUTE_PGM_RSRC2:TIDIG_COMP_CNT: 2
	.section	.text._ZL33flash_attn_stream_k_fixup_uniformILi128ELi2ELi1EEvPfPK15HIP_vector_typeIfLj2EEiiiiiiS1_IjLj3EES5_S5_,"axG",@progbits,_ZL33flash_attn_stream_k_fixup_uniformILi128ELi2ELi1EEvPfPK15HIP_vector_typeIfLj2EEiiiiiiS1_IjLj3EES5_S5_,comdat
	.globl	_ZL33flash_attn_stream_k_fixup_uniformILi128ELi2ELi1EEvPfPK15HIP_vector_typeIfLj2EEiiiiiiS1_IjLj3EES5_S5_ ; -- Begin function _ZL33flash_attn_stream_k_fixup_uniformILi128ELi2ELi1EEvPfPK15HIP_vector_typeIfLj2EEiiiiiiS1_IjLj3EES5_S5_
	.p2align	8
	.type	_ZL33flash_attn_stream_k_fixup_uniformILi128ELi2ELi1EEvPfPK15HIP_vector_typeIfLj2EEiiiiiiS1_IjLj3EES5_S5_,@function
_ZL33flash_attn_stream_k_fixup_uniformILi128ELi2ELi1EEvPfPK15HIP_vector_typeIfLj2EEiiiiiiS1_IjLj3EES5_S5_: ; @_ZL33flash_attn_stream_k_fixup_uniformILi128ELi2ELi1EEvPfPK15HIP_vector_typeIfLj2EEiiiiiiS1_IjLj3EES5_S5_
; %bb.0:
	s_clause 0x1
	s_load_b256 s[4:11], s[0:1], 0x1c
	s_load_b128 s[16:19], s[0:1], 0x3c
	s_waitcnt lgkmcnt(0)
	s_mul_hi_u32 s2, s7, s13
	s_delay_alu instid0(SALU_CYCLE_1) | instskip(NEXT) | instid1(SALU_CYCLE_1)
	s_add_i32 s2, s13, s2
	s_lshr_b32 s2, s2, s8
	s_delay_alu instid0(SALU_CYCLE_1) | instskip(SKIP_2) | instid1(SALU_CYCLE_1)
	s_mul_i32 s3, s2, s9
	s_load_b64 s[8:9], s[0:1], 0x10
	s_sub_i32 s7, s13, s3
	s_mul_hi_u32 s3, s7, s10
	s_delay_alu instid0(SALU_CYCLE_1) | instskip(NEXT) | instid1(SALU_CYCLE_1)
	s_add_i32 s3, s7, s3
	s_lshr_b32 s3, s3, s11
	s_delay_alu instid0(SALU_CYCLE_1) | instskip(NEXT) | instid1(SALU_CYCLE_1)
	s_mul_i32 s10, s3, s16
	s_sub_i32 s10, s7, s10
	s_delay_alu instid0(SALU_CYCLE_1) | instskip(NEXT) | instid1(SALU_CYCLE_1)
	s_mul_hi_u32 s7, s10, s17
	s_add_i32 s7, s10, s7
	s_delay_alu instid0(SALU_CYCLE_1) | instskip(NEXT) | instid1(SALU_CYCLE_1)
	s_lshr_b32 s7, s7, s18
	s_mul_i32 s11, s7, s19
	s_delay_alu instid0(SALU_CYCLE_1) | instskip(NEXT) | instid1(SALU_CYCLE_1)
	s_sub_i32 s10, s10, s11
	s_lshl_b32 s11, s10, 1
	s_delay_alu instid0(SALU_CYCLE_1) | instskip(SKIP_4) | instid1(SALU_CYCLE_1)
	s_add_i32 s11, s11, s14
	s_waitcnt lgkmcnt(0)
	s_cmp_lt_i32 s11, s8
	s_cselect_b32 s11, -1, 0
	s_add_i32 s12, s7, s15
	s_cmp_lt_i32 s12, s5
	s_cselect_b32 s12, -1, 0
	s_delay_alu instid0(SALU_CYCLE_1) | instskip(NEXT) | instid1(SALU_CYCLE_1)
	s_and_b32 s11, s11, s12
	s_and_not1_b32 vcc_lo, exec_lo, s11
	s_cbranch_vccnz .LBB20_6
; %bb.1:
	s_mul_i32 s2, s2, s8
	s_mul_i32 s5, s3, s5
	s_add_i32 s2, s2, s14
	s_delay_alu instid0(SALU_CYCLE_1) | instskip(NEXT) | instid1(SALU_CYCLE_1)
	s_mul_i32 s2, s2, s9
	s_add_i32 s8, s2, s15
	s_load_b128 s[0:3], s[0:1], 0x0
	s_add_i32 s5, s8, s5
	s_mul_i32 s8, s9, s10
	s_add_i32 s5, s5, s7
	s_lshl_b32 s7, s8, 8
	s_lshl_b32 s5, s5, 7
	s_add_i32 s10, s14, s15
	s_add_i32 s7, s7, s5
	s_mul_i32 s5, s13, s6
	v_or_b32_e32 v1, s7, v0
	s_add_i32 s9, s5, s6
	s_delay_alu instid0(VALU_DEP_1) | instskip(NEXT) | instid1(VALU_DEP_1)
	v_ashrrev_i32_e32 v2, 31, v1
	v_lshlrev_b64 v[1:2], 2, v[1:2]
	s_waitcnt lgkmcnt(0)
	s_delay_alu instid0(VALU_DEP_1) | instskip(NEXT) | instid1(VALU_DEP_2)
	v_add_co_u32 v1, vcc_lo, s0, v1
	v_add_co_ci_u32_e32 v2, vcc_lo, s1, v2, vcc_lo
	s_lshl_b32 s0, s9, 1
	s_delay_alu instid0(SALU_CYCLE_1) | instskip(SKIP_2) | instid1(SALU_CYCLE_1)
	s_add_i32 s0, s10, s0
	global_load_b32 v5, v[1:2], off
	s_add_i32 s0, s0, -2
	s_ashr_i32 s1, s0, 31
	s_delay_alu instid0(SALU_CYCLE_1) | instskip(NEXT) | instid1(SALU_CYCLE_1)
	s_lshl_b64 s[0:1], s[0:1], 3
	s_add_u32 s0, s2, s0
	s_addc_u32 s1, s3, s1
	s_add_i32 s7, s9, -2
	s_load_b32 s11, s[0:1], 0x4
	s_cmp_lt_i32 s7, s5
	s_cbranch_scc1 .LBB20_4
; %bb.2:
	s_lshl_b32 s14, s4, 3
	s_load_b32 s12, s[0:1], 0x0
	s_ashr_i32 s15, s14, 31
	s_delay_alu instid0(SALU_CYCLE_1) | instskip(NEXT) | instid1(SALU_CYCLE_1)
	s_lshl_b64 s[0:1], s[14:15], 2
	s_add_u32 s7, s2, s0
	s_addc_u32 s8, s3, s1
	s_add_i32 s13, s13, 1
	s_lshl_b32 s1, s10, 7
	s_mul_i32 s0, s6, s13
	s_delay_alu instid0(SALU_CYCLE_1)
	s_lshl_b32 s6, s0, 8
	s_lshl_b32 s0, s0, 1
	s_add_i32 s1, s1, s6
	s_add_i32 s0, s10, s0
	v_or_b32_e32 v0, s1, v0
	s_lshl_b32 s1, s4, 1
	s_waitcnt lgkmcnt(0)
	v_mov_b32_e32 v6, s11
	s_add_i32 s0, s0, s1
	s_add_i32 s4, s9, -1
	v_dual_mov_b32 v0, s12 :: v_dual_add_nc_u32 v3, 0xfffffe00, v0
	s_add_i32 s0, s0, -4
.LBB20_3:                               ; =>This Inner Loop Header: Depth=1
	s_delay_alu instid0(VALU_DEP_1) | instskip(SKIP_1) | instid1(SALU_CYCLE_1)
	v_ashrrev_i32_e32 v4, 31, v3
	s_ashr_i32 s1, s0, 31
	s_lshl_b64 s[10:11], s[0:1], 3
	s_delay_alu instid0(SALU_CYCLE_1) | instskip(NEXT) | instid1(VALU_DEP_1)
	s_add_u32 s10, s2, s10
	v_lshlrev_b64 v[7:8], 2, v[3:4]
	s_addc_u32 s11, s3, s11
	s_add_i32 s4, s4, -1
	s_add_i32 s0, s0, -2
	s_cmp_le_i32 s4, s5
	s_load_b64 s[10:11], s[10:11], 0x0
	v_add_co_u32 v7, vcc_lo, s7, v7
	v_add_co_ci_u32_e32 v8, vcc_lo, s8, v8, vcc_lo
	global_load_b32 v4, v[7:8], off
	v_max_f32_e32 v7, v0, v0
	s_waitcnt lgkmcnt(0)
	v_max_f32_e64 v8, s10, s10
	s_delay_alu instid0(VALU_DEP_1) | instskip(NEXT) | instid1(VALU_DEP_1)
	v_max_f32_e32 v7, v7, v8
	v_sub_f32_e32 v8, s10, v7
	s_delay_alu instid0(VALU_DEP_1) | instskip(NEXT) | instid1(VALU_DEP_1)
	v_dual_sub_f32 v0, v0, v7 :: v_dual_mul_f32 v9, 0x3fb8aa3b, v8
	v_fma_f32 v10, 0x3fb8aa3b, v8, -v9
	v_rndne_f32_e32 v11, v9
	s_delay_alu instid0(VALU_DEP_3) | instskip(NEXT) | instid1(VALU_DEP_2)
	v_mul_f32_e32 v12, 0x3fb8aa3b, v0
	v_dual_fmac_f32 v10, 0x32a5705f, v8 :: v_dual_sub_f32 v9, v9, v11
	v_cvt_i32_f32_e32 v11, v11
	s_delay_alu instid0(VALU_DEP_3) | instskip(SKIP_1) | instid1(VALU_DEP_4)
	v_fma_f32 v13, 0x3fb8aa3b, v0, -v12
	v_rndne_f32_e32 v14, v12
	v_add_f32_e32 v9, v9, v10
	v_cmp_ngt_f32_e32 vcc_lo, 0xc2ce8ed0, v8
	s_delay_alu instid0(VALU_DEP_3) | instskip(NEXT) | instid1(VALU_DEP_3)
	v_sub_f32_e32 v10, v12, v14
	v_exp_f32_e32 v9, v9
	s_waitcnt_depctr 0xfff
	v_ldexp_f32 v9, v9, v11
	v_cvt_i32_f32_e32 v11, v14
	s_delay_alu instid0(VALU_DEP_2) | instskip(SKIP_1) | instid1(VALU_DEP_2)
	v_cndmask_b32_e32 v9, 0, v9, vcc_lo
	v_cmp_nlt_f32_e32 vcc_lo, 0x42b17218, v8
	v_cndmask_b32_e32 v9, 0x7f800000, v9, vcc_lo
	v_cmp_ngt_f32_e32 vcc_lo, 0xc2ce8ed0, v0
	v_fmac_f32_e32 v13, 0x32a5705f, v0
	s_delay_alu instid0(VALU_DEP_1) | instskip(NEXT) | instid1(VALU_DEP_1)
	v_add_f32_e32 v10, v10, v13
	v_exp_f32_e32 v10, v10
	s_waitcnt_depctr 0xfff
	v_ldexp_f32 v10, v10, v11
	s_delay_alu instid0(VALU_DEP_1)
	v_dual_mov_b32 v11, v6 :: v_dual_cndmask_b32 v10, 0, v10
	v_cmp_le_f32_e32 vcc_lo, 0xc1a00000, v8
	s_waitcnt vmcnt(1)
	v_dual_cndmask_b32 v8, 0, v9 :: v_dual_mov_b32 v9, v5
	v_cmp_nlt_f32_e32 vcc_lo, 0x42b17218, v0
	v_cndmask_b32_e32 v5, 0x7f800000, v10, vcc_lo
	s_delay_alu instid0(VALU_DEP_3) | instskip(SKIP_2) | instid1(VALU_DEP_3)
	v_mul_f32_e32 v10, s11, v8
	v_cmp_le_f32_e32 vcc_lo, 0xc1a00000, v0
	v_mov_b32_e32 v0, v7
	v_mov_b32_e32 v6, v10
	s_waitcnt vmcnt(0)
	v_dual_cndmask_b32 v12, 0, v5 :: v_dual_mul_f32 v5, v4, v8
	s_delay_alu instid0(VALU_DEP_1) | instskip(NEXT) | instid1(VALU_DEP_2)
	v_dual_fmac_f32 v6, v11, v12 :: v_dual_add_nc_u32 v3, 0xffffff00, v3
	v_fmac_f32_e32 v5, v9, v12
	s_cbranch_scc0 .LBB20_3
	s_branch .LBB20_5
.LBB20_4:
	s_waitcnt lgkmcnt(0)
	v_mov_b32_e32 v6, s11
.LBB20_5:
	s_waitcnt vmcnt(0)
	s_delay_alu instid0(VALU_DEP_1) | instskip(NEXT) | instid1(VALU_DEP_1)
	v_div_scale_f32 v0, null, v6, v6, v5
	v_rcp_f32_e32 v3, v0
	s_waitcnt_depctr 0xfff
	v_fma_f32 v4, -v0, v3, 1.0
	s_delay_alu instid0(VALU_DEP_1) | instskip(SKIP_1) | instid1(VALU_DEP_1)
	v_fmac_f32_e32 v3, v4, v3
	v_div_scale_f32 v4, vcc_lo, v5, v6, v5
	v_mul_f32_e32 v7, v4, v3
	s_delay_alu instid0(VALU_DEP_1) | instskip(NEXT) | instid1(VALU_DEP_1)
	v_fma_f32 v8, -v0, v7, v4
	v_fmac_f32_e32 v7, v8, v3
	s_delay_alu instid0(VALU_DEP_1) | instskip(NEXT) | instid1(VALU_DEP_1)
	v_fma_f32 v0, -v0, v7, v4
	v_div_fmas_f32 v0, v0, v3, v7
	s_delay_alu instid0(VALU_DEP_1)
	v_div_fixup_f32 v0, v0, v6, v5
	global_store_b32 v[1:2], v0, off
.LBB20_6:
	s_nop 0
	s_sendmsg sendmsg(MSG_DEALLOC_VGPRS)
	s_endpgm
	.section	.rodata,"a",@progbits
	.p2align	6, 0x0
	.amdhsa_kernel _ZL33flash_attn_stream_k_fixup_uniformILi128ELi2ELi1EEvPfPK15HIP_vector_typeIfLj2EEiiiiiiS1_IjLj3EES5_S5_
		.amdhsa_group_segment_fixed_size 0
		.amdhsa_private_segment_fixed_size 0
		.amdhsa_kernarg_size 76
		.amdhsa_user_sgpr_count 13
		.amdhsa_user_sgpr_dispatch_ptr 0
		.amdhsa_user_sgpr_queue_ptr 0
		.amdhsa_user_sgpr_kernarg_segment_ptr 1
		.amdhsa_user_sgpr_dispatch_id 0
		.amdhsa_user_sgpr_private_segment_size 0
		.amdhsa_wavefront_size32 1
		.amdhsa_uses_dynamic_stack 0
		.amdhsa_enable_private_segment 0
		.amdhsa_system_sgpr_workgroup_id_x 1
		.amdhsa_system_sgpr_workgroup_id_y 1
		.amdhsa_system_sgpr_workgroup_id_z 1
		.amdhsa_system_sgpr_workgroup_info 0
		.amdhsa_system_vgpr_workitem_id 0
		.amdhsa_next_free_vgpr 15
		.amdhsa_next_free_sgpr 20
		.amdhsa_reserve_vcc 1
		.amdhsa_float_round_mode_32 0
		.amdhsa_float_round_mode_16_64 0
		.amdhsa_float_denorm_mode_32 3
		.amdhsa_float_denorm_mode_16_64 3
		.amdhsa_dx10_clamp 1
		.amdhsa_ieee_mode 1
		.amdhsa_fp16_overflow 0
		.amdhsa_workgroup_processor_mode 1
		.amdhsa_memory_ordered 1
		.amdhsa_forward_progress 0
		.amdhsa_shared_vgpr_count 0
		.amdhsa_exception_fp_ieee_invalid_op 0
		.amdhsa_exception_fp_denorm_src 0
		.amdhsa_exception_fp_ieee_div_zero 0
		.amdhsa_exception_fp_ieee_overflow 0
		.amdhsa_exception_fp_ieee_underflow 0
		.amdhsa_exception_fp_ieee_inexact 0
		.amdhsa_exception_int_div_zero 0
	.end_amdhsa_kernel
	.section	.text._ZL33flash_attn_stream_k_fixup_uniformILi128ELi2ELi1EEvPfPK15HIP_vector_typeIfLj2EEiiiiiiS1_IjLj3EES5_S5_,"axG",@progbits,_ZL33flash_attn_stream_k_fixup_uniformILi128ELi2ELi1EEvPfPK15HIP_vector_typeIfLj2EEiiiiiiS1_IjLj3EES5_S5_,comdat
.Lfunc_end20:
	.size	_ZL33flash_attn_stream_k_fixup_uniformILi128ELi2ELi1EEvPfPK15HIP_vector_typeIfLj2EEiiiiiiS1_IjLj3EES5_S5_, .Lfunc_end20-_ZL33flash_attn_stream_k_fixup_uniformILi128ELi2ELi1EEvPfPK15HIP_vector_typeIfLj2EEiiiiiiS1_IjLj3EES5_S5_
                                        ; -- End function
	.section	.AMDGPU.csdata,"",@progbits
; Kernel info:
; codeLenInByte = 976
; NumSgprs: 22
; NumVgprs: 15
; ScratchSize: 0
; MemoryBound: 0
; FloatMode: 240
; IeeeMode: 1
; LDSByteSize: 0 bytes/workgroup (compile time only)
; SGPRBlocks: 2
; VGPRBlocks: 1
; NumSGPRsForWavesPerEU: 22
; NumVGPRsForWavesPerEU: 15
; Occupancy: 16
; WaveLimiterHint : 0
; COMPUTE_PGM_RSRC2:SCRATCH_EN: 0
; COMPUTE_PGM_RSRC2:USER_SGPR: 13
; COMPUTE_PGM_RSRC2:TRAP_HANDLER: 0
; COMPUTE_PGM_RSRC2:TGID_X_EN: 1
; COMPUTE_PGM_RSRC2:TGID_Y_EN: 1
; COMPUTE_PGM_RSRC2:TGID_Z_EN: 1
; COMPUTE_PGM_RSRC2:TIDIG_COMP_CNT: 0
	.section	.text._ZL33flash_attn_stream_k_fixup_generalILi128ELi2ELi1EEvPfPK15HIP_vector_typeIfLj2EEiiiiS1_IjLj3EES5_S5_S5_,"axG",@progbits,_ZL33flash_attn_stream_k_fixup_generalILi128ELi2ELi1EEvPfPK15HIP_vector_typeIfLj2EEiiiiS1_IjLj3EES5_S5_S5_,comdat
	.globl	_ZL33flash_attn_stream_k_fixup_generalILi128ELi2ELi1EEvPfPK15HIP_vector_typeIfLj2EEiiiiS1_IjLj3EES5_S5_S5_ ; -- Begin function _ZL33flash_attn_stream_k_fixup_generalILi128ELi2ELi1EEvPfPK15HIP_vector_typeIfLj2EEiiiiS1_IjLj3EES5_S5_S5_
	.p2align	8
	.type	_ZL33flash_attn_stream_k_fixup_generalILi128ELi2ELi1EEvPfPK15HIP_vector_typeIfLj2EEiiiiS1_IjLj3EES5_S5_S5_,@function
_ZL33flash_attn_stream_k_fixup_generalILi128ELi2ELi1EEvPfPK15HIP_vector_typeIfLj2EEiiiiS1_IjLj3EES5_S5_S5_: ; @_ZL33flash_attn_stream_k_fixup_generalILi128ELi2ELi1EEvPfPK15HIP_vector_typeIfLj2EEiiiiS1_IjLj3EES5_S5_S5_
; %bb.0:
	s_clause 0x1
	s_load_b128 s[4:7], s[0:1], 0x10
	s_load_b32 s20, s[0:1], 0x50
	s_mov_b32 s2, 0
	s_waitcnt lgkmcnt(0)
	s_mul_hi_i32 s3, s7, s13
	s_mul_i32 s12, s7, s13
	s_cmp_lg_u64 s[2:3], 0
	s_cbranch_scc0 .LBB21_21
; %bb.1:
	v_cvt_f32_ubyte0_e32 v1, 0
	v_cvt_f32_u32_e32 v2, s20
	s_sub_u32 s10, 0, s20
	s_subb_u32 s11, 0, 0
	s_delay_alu instid0(VALU_DEP_1) | instskip(NEXT) | instid1(VALU_DEP_1)
	v_fmamk_f32 v1, v1, 0x4f800000, v2
	v_rcp_f32_e32 v1, v1
	s_waitcnt_depctr 0xfff
	v_mul_f32_e32 v1, 0x5f7ffffc, v1
	s_delay_alu instid0(VALU_DEP_1) | instskip(NEXT) | instid1(VALU_DEP_1)
	v_mul_f32_e32 v2, 0x2f800000, v1
	v_trunc_f32_e32 v2, v2
	s_delay_alu instid0(VALU_DEP_1) | instskip(SKIP_1) | instid1(VALU_DEP_2)
	v_fmamk_f32 v1, v2, 0xcf800000, v1
	v_cvt_u32_f32_e32 v2, v2
	v_cvt_u32_f32_e32 v1, v1
	s_delay_alu instid0(VALU_DEP_2) | instskip(NEXT) | instid1(VALU_DEP_2)
	v_readfirstlane_b32 s8, v2
	v_readfirstlane_b32 s9, v1
	s_delay_alu instid0(VALU_DEP_2) | instskip(NEXT) | instid1(VALU_DEP_1)
	s_mul_i32 s16, s10, s8
	s_mul_hi_u32 s18, s10, s9
	s_mul_i32 s17, s11, s9
	s_add_i32 s16, s18, s16
	s_mul_i32 s19, s10, s9
	s_add_i32 s16, s16, s17
	s_mul_hi_u32 s18, s9, s19
	s_mul_hi_u32 s21, s8, s19
	s_mul_i32 s17, s8, s19
	s_mul_hi_u32 s19, s9, s16
	s_mul_i32 s9, s9, s16
	s_mul_hi_u32 s22, s8, s16
	s_add_u32 s9, s18, s9
	s_addc_u32 s18, 0, s19
	s_add_u32 s9, s9, s17
	s_mul_i32 s16, s8, s16
	s_addc_u32 s9, s18, s21
	s_addc_u32 s17, s22, 0
	s_add_u32 s9, s9, s16
	s_addc_u32 s16, 0, s17
	v_add_co_u32 v1, s9, v1, s9
	s_delay_alu instid0(VALU_DEP_1) | instskip(SKIP_1) | instid1(VALU_DEP_1)
	s_cmp_lg_u32 s9, 0
	s_addc_u32 s8, s8, s16
	v_readfirstlane_b32 s9, v1
	s_mul_i32 s16, s10, s8
	s_delay_alu instid0(VALU_DEP_1)
	s_mul_hi_u32 s17, s10, s9
	s_mul_i32 s11, s11, s9
	s_add_i32 s16, s17, s16
	s_mul_i32 s10, s10, s9
	s_add_i32 s16, s16, s11
	s_mul_hi_u32 s17, s8, s10
	s_mul_i32 s18, s8, s10
	s_mul_hi_u32 s10, s9, s10
	s_mul_hi_u32 s19, s9, s16
	s_mul_i32 s9, s9, s16
	s_mul_hi_u32 s11, s8, s16
	s_add_u32 s9, s10, s9
	s_addc_u32 s10, 0, s19
	s_add_u32 s9, s9, s18
	s_mul_i32 s16, s8, s16
	s_addc_u32 s9, s10, s17
	s_addc_u32 s10, s11, 0
	s_add_u32 s9, s9, s16
	s_addc_u32 s10, 0, s10
	v_add_co_u32 v1, s9, v1, s9
	s_delay_alu instid0(VALU_DEP_1) | instskip(SKIP_2) | instid1(SALU_CYCLE_1)
	s_cmp_lg_u32 s9, 0
	s_addc_u32 s16, s8, s10
	s_ashr_i32 s8, s3, 31
	s_add_u32 s10, s12, s8
	s_addc_u32 s11, s3, s8
	v_readfirstlane_b32 s3, v1
	s_mov_b32 s9, s8
	s_delay_alu instid0(SALU_CYCLE_1) | instskip(NEXT) | instid1(SALU_CYCLE_1)
	s_xor_b64 s[10:11], s[10:11], s[8:9]
	s_mul_i32 s18, s10, s16
	s_delay_alu instid0(VALU_DEP_1)
	s_mul_hi_u32 s19, s10, s3
	s_mul_hi_u32 s17, s10, s16
	;; [unrolled: 1-line block ×3, first 2 shown]
	s_mul_i32 s3, s11, s3
	s_add_u32 s18, s19, s18
	s_addc_u32 s17, 0, s17
	s_mul_hi_u32 s21, s11, s16
	s_add_u32 s3, s18, s3
	s_mul_i32 s16, s11, s16
	s_addc_u32 s3, s17, s22
	s_addc_u32 s17, s21, 0
	s_add_u32 s3, s3, s16
	s_addc_u32 s16, 0, s17
	s_mul_i32 s18, s20, s3
	s_add_u32 s17, s3, 1
	v_sub_co_u32 v1, s10, s10, s18
	s_mul_hi_u32 s18, s20, s3
	s_addc_u32 s19, s16, 0
	s_mul_i32 s21, s20, s16
	s_delay_alu instid0(VALU_DEP_1)
	v_sub_co_u32 v2, s22, v1, s20
	s_add_u32 s23, s3, 2
	s_addc_u32 s24, s16, 0
	s_add_i32 s18, s18, s21
	s_cmp_lg_u32 s10, 0
	v_readfirstlane_b32 s10, v2
	s_subb_u32 s11, s11, s18
	s_cmp_lg_u32 s22, 0
	s_subb_u32 s18, s11, 0
	s_delay_alu instid0(VALU_DEP_1) | instskip(SKIP_4) | instid1(SALU_CYCLE_1)
	s_cmp_ge_u32 s10, s20
	s_cselect_b32 s10, -1, 0
	s_cmp_eq_u32 s18, 0
	v_readfirstlane_b32 s18, v1
	s_cselect_b32 s10, s10, -1
	s_cmp_lg_u32 s10, 0
	s_cselect_b32 s10, s23, s17
	s_cselect_b32 s17, s24, s19
	s_cmp_ge_u32 s18, s20
	s_cselect_b32 s18, -1, 0
	s_cmp_eq_u32 s11, 0
	s_cselect_b32 s11, s18, -1
	s_delay_alu instid0(SALU_CYCLE_1) | instskip(SKIP_2) | instid1(SALU_CYCLE_1)
	s_cmp_lg_u32 s11, 0
	s_cselect_b32 s11, s17, s16
	s_cselect_b32 s10, s10, s3
	s_xor_b64 s[10:11], s[10:11], s[8:9]
	s_delay_alu instid0(SALU_CYCLE_1)
	s_sub_u32 s16, s10, s8
	s_load_b128 s[8:11], s[0:1], 0x44
	s_and_not1_b32 vcc_lo, exec_lo, s2
	s_cbranch_vccnz .LBB21_3
.LBB21_2:
	v_cvt_f32_u32_e32 v1, s20
	s_sub_i32 s3, 0, s20
	s_delay_alu instid0(VALU_DEP_1) | instskip(SKIP_2) | instid1(VALU_DEP_1)
	v_rcp_iflag_f32_e32 v1, v1
	s_waitcnt_depctr 0xfff
	v_mul_f32_e32 v1, 0x4f7ffffe, v1
	v_cvt_u32_f32_e32 v1, v1
	s_delay_alu instid0(VALU_DEP_1) | instskip(NEXT) | instid1(VALU_DEP_1)
	v_readfirstlane_b32 s2, v1
	s_mul_i32 s3, s3, s2
	s_delay_alu instid0(SALU_CYCLE_1) | instskip(NEXT) | instid1(SALU_CYCLE_1)
	s_mul_hi_u32 s3, s2, s3
	s_add_i32 s2, s2, s3
	s_delay_alu instid0(SALU_CYCLE_1) | instskip(NEXT) | instid1(SALU_CYCLE_1)
	s_mul_hi_u32 s2, s12, s2
	s_mul_i32 s3, s2, s20
	s_waitcnt lgkmcnt(0)
	s_add_i32 s11, s2, 1
	s_sub_i32 s3, s12, s3
	s_delay_alu instid0(SALU_CYCLE_1)
	s_sub_i32 s12, s3, s20
	s_cmp_ge_u32 s3, s20
	s_cselect_b32 s2, s11, s2
	s_cselect_b32 s3, s12, s3
	s_add_i32 s11, s2, 1
	s_cmp_ge_u32 s3, s20
	s_cselect_b32 s16, s11, s2
.LBB21_3:
	s_waitcnt lgkmcnt(0)
	s_add_i32 s11, s13, 1
	s_mov_b32 s2, 0
	s_mul_hi_i32 s3, s7, s11
	s_mul_i32 s11, s7, s11
	s_cmp_lg_u64 s[2:3], 0
	s_cbranch_scc0 .LBB21_22
; %bb.4:
	v_cvt_f32_ubyte0_e32 v1, 0
	v_cvt_f32_u32_e32 v2, s20
	s_sub_u32 s18, 0, s20
	s_subb_u32 s19, 0, 0
	s_delay_alu instid0(VALU_DEP_1) | instskip(NEXT) | instid1(VALU_DEP_1)
	v_fmamk_f32 v1, v1, 0x4f800000, v2
	v_rcp_f32_e32 v1, v1
	s_waitcnt_depctr 0xfff
	v_mul_f32_e32 v1, 0x5f7ffffc, v1
	s_delay_alu instid0(VALU_DEP_1) | instskip(NEXT) | instid1(VALU_DEP_1)
	v_mul_f32_e32 v2, 0x2f800000, v1
	v_trunc_f32_e32 v2, v2
	s_delay_alu instid0(VALU_DEP_1) | instskip(SKIP_1) | instid1(VALU_DEP_2)
	v_fmamk_f32 v1, v2, 0xcf800000, v1
	v_cvt_u32_f32_e32 v2, v2
	v_cvt_u32_f32_e32 v1, v1
	s_delay_alu instid0(VALU_DEP_2) | instskip(NEXT) | instid1(VALU_DEP_2)
	v_readfirstlane_b32 s12, v2
	v_readfirstlane_b32 s17, v1
	s_delay_alu instid0(VALU_DEP_2) | instskip(NEXT) | instid1(VALU_DEP_1)
	s_mul_i32 s21, s18, s12
	s_mul_hi_u32 s23, s18, s17
	s_mul_i32 s22, s19, s17
	s_add_i32 s21, s23, s21
	s_mul_i32 s24, s18, s17
	s_add_i32 s21, s21, s22
	s_mul_hi_u32 s23, s17, s24
	s_mul_hi_u32 s25, s12, s24
	s_mul_i32 s22, s12, s24
	s_mul_hi_u32 s24, s17, s21
	s_mul_i32 s17, s17, s21
	s_mul_hi_u32 s26, s12, s21
	s_add_u32 s17, s23, s17
	s_addc_u32 s23, 0, s24
	s_add_u32 s17, s17, s22
	s_mul_i32 s21, s12, s21
	s_addc_u32 s17, s23, s25
	s_addc_u32 s22, s26, 0
	s_add_u32 s17, s17, s21
	s_addc_u32 s21, 0, s22
	v_add_co_u32 v1, s17, v1, s17
	s_delay_alu instid0(VALU_DEP_1) | instskip(SKIP_1) | instid1(VALU_DEP_1)
	s_cmp_lg_u32 s17, 0
	s_addc_u32 s12, s12, s21
	v_readfirstlane_b32 s17, v1
	s_mul_i32 s21, s18, s12
	s_delay_alu instid0(VALU_DEP_1)
	s_mul_hi_u32 s22, s18, s17
	s_mul_i32 s19, s19, s17
	s_add_i32 s21, s22, s21
	s_mul_i32 s18, s18, s17
	s_add_i32 s21, s21, s19
	s_mul_hi_u32 s22, s12, s18
	s_mul_i32 s23, s12, s18
	s_mul_hi_u32 s18, s17, s18
	s_mul_hi_u32 s24, s17, s21
	s_mul_i32 s17, s17, s21
	s_mul_hi_u32 s19, s12, s21
	s_add_u32 s17, s18, s17
	s_addc_u32 s18, 0, s24
	s_add_u32 s17, s17, s23
	s_mul_i32 s21, s12, s21
	s_addc_u32 s17, s18, s22
	s_addc_u32 s18, s19, 0
	s_add_u32 s17, s17, s21
	s_addc_u32 s18, 0, s18
	v_add_co_u32 v1, s17, v1, s17
	s_delay_alu instid0(VALU_DEP_1) | instskip(SKIP_2) | instid1(SALU_CYCLE_1)
	s_cmp_lg_u32 s17, 0
	s_addc_u32 s12, s12, s18
	s_ashr_i32 s18, s3, 31
	s_add_u32 s22, s11, s18
	s_addc_u32 s23, s3, s18
	v_readfirstlane_b32 s3, v1
	s_mov_b32 s19, s18
	s_delay_alu instid0(SALU_CYCLE_1) | instskip(NEXT) | instid1(SALU_CYCLE_1)
	s_xor_b64 s[22:23], s[22:23], s[18:19]
	s_mul_i32 s21, s22, s12
	s_delay_alu instid0(VALU_DEP_1)
	s_mul_hi_u32 s24, s22, s3
	s_mul_hi_u32 s17, s22, s12
	;; [unrolled: 1-line block ×3, first 2 shown]
	s_mul_i32 s3, s23, s3
	s_add_u32 s21, s24, s21
	s_addc_u32 s17, 0, s17
	s_mul_hi_u32 s25, s23, s12
	s_add_u32 s3, s21, s3
	s_mul_i32 s12, s23, s12
	s_addc_u32 s3, s17, s26
	s_addc_u32 s17, s25, 0
	s_add_u32 s3, s3, s12
	s_addc_u32 s12, 0, s17
	s_mul_i32 s21, s20, s3
	s_add_u32 s17, s3, 1
	v_sub_co_u32 v1, s21, s22, s21
	s_mul_hi_u32 s22, s20, s3
	s_addc_u32 s24, s12, 0
	s_mul_i32 s25, s20, s12
	s_delay_alu instid0(VALU_DEP_1)
	v_sub_co_u32 v2, s26, v1, s20
	s_add_u32 s27, s3, 2
	s_addc_u32 s28, s12, 0
	s_add_i32 s22, s22, s25
	s_cmp_lg_u32 s21, 0
	v_readfirstlane_b32 s21, v2
	s_subb_u32 s22, s23, s22
	s_cmp_lg_u32 s26, 0
	s_subb_u32 s23, s22, 0
	s_delay_alu instid0(VALU_DEP_1) | instskip(SKIP_4) | instid1(SALU_CYCLE_1)
	s_cmp_ge_u32 s21, s20
	s_cselect_b32 s21, -1, 0
	s_cmp_eq_u32 s23, 0
	v_readfirstlane_b32 s23, v1
	s_cselect_b32 s21, s21, -1
	s_cmp_lg_u32 s21, 0
	s_cselect_b32 s17, s27, s17
	s_cselect_b32 s21, s28, s24
	s_cmp_ge_u32 s23, s20
	s_cselect_b32 s23, -1, 0
	s_cmp_eq_u32 s22, 0
	s_cselect_b32 s22, s23, -1
	s_delay_alu instid0(SALU_CYCLE_1) | instskip(SKIP_2) | instid1(SALU_CYCLE_1)
	s_cmp_lg_u32 s22, 0
	s_cselect_b32 s23, s21, s12
	s_cselect_b32 s22, s17, s3
	s_xor_b64 s[22:23], s[22:23], s[18:19]
	s_delay_alu instid0(SALU_CYCLE_1)
	s_sub_u32 s18, s22, s18
	s_and_not1_b32 vcc_lo, exec_lo, s2
	s_cbranch_vccnz .LBB21_6
.LBB21_5:
	v_cvt_f32_u32_e32 v1, s20
	s_sub_i32 s3, 0, s20
	s_delay_alu instid0(VALU_DEP_1) | instskip(SKIP_2) | instid1(VALU_DEP_1)
	v_rcp_iflag_f32_e32 v1, v1
	s_waitcnt_depctr 0xfff
	v_mul_f32_e32 v1, 0x4f7ffffe, v1
	v_cvt_u32_f32_e32 v1, v1
	s_delay_alu instid0(VALU_DEP_1) | instskip(NEXT) | instid1(VALU_DEP_1)
	v_readfirstlane_b32 s2, v1
	s_mul_i32 s3, s3, s2
	s_delay_alu instid0(SALU_CYCLE_1) | instskip(NEXT) | instid1(SALU_CYCLE_1)
	s_mul_hi_u32 s3, s2, s3
	s_add_i32 s2, s2, s3
	s_delay_alu instid0(SALU_CYCLE_1) | instskip(NEXT) | instid1(SALU_CYCLE_1)
	s_mul_hi_u32 s2, s11, s2
	s_mul_i32 s3, s2, s20
	s_delay_alu instid0(SALU_CYCLE_1)
	s_sub_i32 s3, s11, s3
	s_add_i32 s11, s2, 1
	s_sub_i32 s12, s3, s20
	s_cmp_ge_u32 s3, s20
	s_cselect_b32 s2, s11, s2
	s_cselect_b32 s3, s12, s3
	s_add_i32 s11, s2, 1
	s_cmp_ge_u32 s3, s20
	s_cselect_b32 s18, s11, s2
.LBB21_6:
	s_delay_alu instid0(SALU_CYCLE_1) | instskip(SKIP_3) | instid1(SALU_CYCLE_1)
	s_cmp_eq_u32 s16, s18
	s_mul_hi_u32 s2, s16, s8
	s_cselect_b32 s3, -1, 0
	s_add_i32 s2, s2, s16
	s_lshr_b32 s11, s2, s9
	s_delay_alu instid0(SALU_CYCLE_1) | instskip(NEXT) | instid1(SALU_CYCLE_1)
	s_mul_i32 s2, s11, s10
	s_cmp_eq_u32 s2, s16
	s_mul_hi_u32 s2, s18, s8
	s_cselect_b32 s12, -1, 0
	s_add_i32 s2, s2, s18
	s_delay_alu instid0(SALU_CYCLE_1) | instskip(NEXT) | instid1(SALU_CYCLE_1)
	s_lshr_b32 s2, s2, s9
	s_cmp_eq_u32 s11, s2
	s_mul_i32 s2, s2, s10
	s_cselect_b32 s17, -1, 0
	s_cmp_lg_u32 s2, s18
	s_cselect_b32 s2, -1, 0
	s_or_b32 s3, s3, s12
	s_and_b32 s2, s17, s2
	s_delay_alu instid0(SALU_CYCLE_1) | instskip(NEXT) | instid1(SALU_CYCLE_1)
	s_or_b32 s2, s3, s2
	s_and_b32 vcc_lo, exec_lo, s2
	s_cbranch_vccnz .LBB21_24
; %bb.7:
	s_load_b256 s[24:31], s[0:1], 0x20
	s_waitcnt lgkmcnt(0)
	s_mul_hi_u32 s2, s16, s24
	s_delay_alu instid0(SALU_CYCLE_1) | instskip(NEXT) | instid1(SALU_CYCLE_1)
	s_add_i32 s2, s2, s16
	s_lshr_b32 s18, s2, s25
	s_load_b32 s2, s[0:1], 0x40
	s_mul_i32 s3, s18, s26
	s_delay_alu instid0(SALU_CYCLE_1) | instskip(NEXT) | instid1(SALU_CYCLE_1)
	s_sub_i32 s3, s16, s3
	s_mul_hi_u32 s12, s3, s27
	s_delay_alu instid0(SALU_CYCLE_1) | instskip(NEXT) | instid1(SALU_CYCLE_1)
	s_add_i32 s12, s3, s12
	s_lshr_b32 s21, s12, s28
	s_delay_alu instid0(SALU_CYCLE_1) | instskip(NEXT) | instid1(SALU_CYCLE_1)
	s_mul_i32 s12, s21, s29
	s_sub_i32 s3, s3, s12
	s_delay_alu instid0(SALU_CYCLE_1) | instskip(NEXT) | instid1(SALU_CYCLE_1)
	s_mul_hi_u32 s12, s3, s30
	s_add_i32 s12, s3, s12
	s_delay_alu instid0(SALU_CYCLE_1) | instskip(SKIP_3) | instid1(SALU_CYCLE_1)
	s_lshr_b32 s22, s12, s31
	s_mov_b32 s12, 0
	s_waitcnt lgkmcnt(0)
	s_mul_i32 s2, s22, s2
	s_sub_i32 s2, s3, s2
	s_delay_alu instid0(SALU_CYCLE_1) | instskip(NEXT) | instid1(SALU_CYCLE_1)
	s_mul_hi_u32 s3, s2, s8
	s_add_i32 s2, s2, s3
	s_delay_alu instid0(SALU_CYCLE_1) | instskip(NEXT) | instid1(SALU_CYCLE_1)
	s_lshr_b32 s23, s2, s9
	s_lshl_b32 s2, s23, 1
	s_delay_alu instid0(SALU_CYCLE_1) | instskip(NEXT) | instid1(SALU_CYCLE_1)
	s_add_i32 s2, s2, s14
	s_cmp_lt_i32 s2, s4
	s_cselect_b32 s2, -1, 0
	s_add_i32 s3, s22, s15
	s_delay_alu instid0(SALU_CYCLE_1) | instskip(SKIP_1) | instid1(SALU_CYCLE_1)
	s_cmp_lt_i32 s3, s6
	s_cselect_b32 s3, -1, 0
	s_and_b32 s2, s2, s3
	s_delay_alu instid0(SALU_CYCLE_1)
	s_and_not1_b32 vcc_lo, exec_lo, s2
	s_cbranch_vccnz .LBB21_24
; %bb.8:
	s_load_b128 s[0:3], s[0:1], 0x0
	s_lshl_b32 s24, s20, 3
	s_mov_b32 s25, s12
	s_add_i32 s17, s14, s15
	s_lshl_b64 s[24:25], s[24:25], 2
	s_mul_i32 s4, s18, s4
	s_mul_i32 s21, s21, s6
	v_cvt_f32_ubyte0_e32 v4, 0
	v_cvt_f32_u32_e32 v5, s20
	s_waitcnt lgkmcnt(0)
	s_add_u32 s18, s2, s24
	s_addc_u32 s19, s3, s25
	s_add_i32 s4, s4, s14
	s_delay_alu instid0(SALU_CYCLE_1) | instskip(SKIP_4) | instid1(SALU_CYCLE_1)
	s_mul_i32 s4, s4, s5
	s_mul_i32 s5, s5, s23
	s_add_i32 s4, s4, s15
	s_lshl_b32 s5, s5, 8
	s_add_i32 s4, s4, s21
	s_add_i32 s4, s4, s22
	s_delay_alu instid0(SALU_CYCLE_1) | instskip(NEXT) | instid1(SALU_CYCLE_1)
	s_lshl_b32 s4, s4, 7
	s_add_i32 s5, s5, s4
	s_delay_alu instid0(SALU_CYCLE_1) | instskip(SKIP_1) | instid1(VALU_DEP_2)
	v_or_b32_e32 v1, s5, v0
	v_lshl_or_b32 v0, s17, 7, v0
	v_ashrrev_i32_e32 v2, 31, v1
	s_delay_alu instid0(VALU_DEP_1) | instskip(NEXT) | instid1(VALU_DEP_1)
	v_lshlrev_b64 v[1:2], 2, v[1:2]
	v_add_co_u32 v1, vcc_lo, s0, v1
	s_delay_alu instid0(VALU_DEP_2) | instskip(SKIP_1) | instid1(SALU_CYCLE_1)
	v_add_co_ci_u32_e32 v2, vcc_lo, s1, v2, vcc_lo
	s_lshl_b32 s0, s13, 1
	s_add_i32 s0, s0, s17
	global_load_b32 v3, v[1:2], off
	s_ashr_i32 s1, s0, 31
	s_delay_alu instid0(SALU_CYCLE_1) | instskip(NEXT) | instid1(SALU_CYCLE_1)
	s_lshl_b64 s[0:1], s[0:1], 3
	s_add_u32 s0, s2, s0
	s_addc_u32 s1, s3, s1
	s_add_i32 s14, s13, -1
	s_load_b64 s[0:1], s[0:1], 0x0
	v_fmac_f32_e32 v5, 0x4f800000, v4
	s_sub_i32 s6, 0, s20
	s_waitcnt lgkmcnt(0)
	v_mov_b32_e32 v8, s0
	s_delay_alu instid0(VALU_DEP_2) | instskip(SKIP_2) | instid1(VALU_DEP_2)
	v_rcp_f32_e32 v4, v5
	v_cvt_f32_u32_e32 v5, s20
	v_mov_b32_e32 v7, s1
	v_rcp_iflag_f32_e32 v5, v5
	s_waitcnt_depctr 0xfff
	v_mul_f32_e32 v4, 0x5f7ffffc, v4
	s_delay_alu instid0(VALU_DEP_1) | instskip(SKIP_1) | instid1(VALU_DEP_2)
	v_mul_f32_e32 v6, 0x2f800000, v4
	v_mul_f32_e32 v9, 0x4f7ffffe, v5
	v_trunc_f32_e32 v6, v6
	s_delay_alu instid0(VALU_DEP_1) | instskip(SKIP_1) | instid1(VALU_DEP_4)
	v_fmac_f32_e32 v4, 0xcf800000, v6
	v_cvt_u32_f32_e32 v5, v6
	v_cvt_u32_f32_e32 v6, v9
	s_delay_alu instid0(VALU_DEP_3)
	v_cvt_u32_f32_e32 v4, v4
.LBB21_9:                               ; =>This Inner Loop Header: Depth=1
	s_mul_hi_i32 s13, s14, s7
	s_mul_i32 s4, s14, s7
	s_cmp_lg_u64 s[12:13], 0
	s_mov_b32 s5, -1
                                        ; implicit-def: $sgpr0_sgpr1
	s_cbranch_scc0 .LBB21_11
; %bb.10:                               ;   in Loop: Header=BB21_9 Depth=1
	v_readfirstlane_b32 s0, v4
	v_readfirstlane_b32 s1, v5
	s_sub_u32 s5, 0, s20
	s_subb_u32 s15, 0, 0
	s_delay_alu instid0(VALU_DEP_2) | instskip(NEXT) | instid1(VALU_DEP_1)
	s_mul_hi_u32 s21, s5, s0
	s_mul_i32 s22, s5, s1
	s_mul_i32 s23, s15, s0
	s_add_i32 s21, s21, s22
	s_mul_i32 s22, s5, s0
	s_add_i32 s21, s21, s23
	s_mul_hi_u32 s23, s0, s22
	s_mul_i32 s24, s0, s21
	s_mul_hi_u32 s0, s0, s21
	s_add_u32 s23, s23, s24
	s_mul_i32 s25, s1, s22
	s_addc_u32 s0, 0, s0
	s_mul_hi_u32 s22, s1, s22
	s_mul_hi_u32 s24, s1, s21
	s_add_u32 s23, s23, s25
	s_addc_u32 s0, s0, s22
	s_mul_i32 s21, s1, s21
	s_addc_u32 s22, s24, 0
	s_add_u32 s0, s0, s21
	s_addc_u32 s21, 0, s22
	v_add_co_u32 v9, s0, v4, s0
	s_delay_alu instid0(VALU_DEP_1) | instskip(SKIP_1) | instid1(VALU_DEP_1)
	s_cmp_lg_u32 s0, 0
	s_addc_u32 s1, s1, s21
	v_readfirstlane_b32 s0, v9
	s_mul_i32 s21, s5, s1
	s_delay_alu instid0(VALU_DEP_1)
	s_mul_hi_u32 s22, s5, s0
	s_mul_i32 s15, s15, s0
	s_add_i32 s21, s22, s21
	s_mul_i32 s5, s5, s0
	s_add_i32 s21, s21, s15
	s_mul_hi_u32 s15, s1, s5
	s_mul_i32 s23, s1, s5
	s_mul_i32 s24, s0, s21
	s_mul_hi_u32 s5, s0, s5
	s_mul_hi_u32 s0, s0, s21
	s_add_u32 s5, s5, s24
	s_addc_u32 s0, 0, s0
	s_mul_hi_u32 s22, s1, s21
	s_add_u32 s5, s5, s23
	s_addc_u32 s0, s0, s15
	s_mul_i32 s5, s1, s21
	s_addc_u32 s15, s22, 0
	s_add_u32 s0, s0, s5
	s_addc_u32 s5, 0, s15
	v_add_co_u32 v9, s0, v9, s0
	s_delay_alu instid0(VALU_DEP_1) | instskip(SKIP_2) | instid1(SALU_CYCLE_1)
	s_cmp_lg_u32 s0, 0
	s_addc_u32 s5, s1, s5
	s_ashr_i32 s0, s13, 31
	s_add_u32 s22, s4, s0
	s_addc_u32 s23, s13, s0
	v_readfirstlane_b32 s13, v9
	s_mov_b32 s1, s0
	s_delay_alu instid0(SALU_CYCLE_1) | instskip(NEXT) | instid1(SALU_CYCLE_1)
	s_xor_b64 s[22:23], s[22:23], s[0:1]
	s_mul_i32 s15, s22, s5
	s_delay_alu instid0(VALU_DEP_1)
	s_mul_hi_u32 s21, s22, s13
	s_mul_hi_u32 s24, s22, s5
	s_add_u32 s15, s21, s15
	s_mul_i32 s25, s23, s13
	s_addc_u32 s21, 0, s24
	s_mul_hi_u32 s13, s23, s13
	s_mul_hi_u32 s24, s23, s5
	s_add_u32 s15, s15, s25
	s_addc_u32 s13, s21, s13
	s_mul_i32 s5, s23, s5
	s_addc_u32 s15, s24, 0
	s_add_u32 s5, s13, s5
	s_addc_u32 s13, 0, s15
	s_mul_i32 s21, s20, s5
	s_add_u32 s15, s5, 1
	v_sub_co_u32 v9, s21, s22, s21
	s_addc_u32 s22, s13, 0
	s_mul_i32 s25, s20, s13
	s_mul_hi_u32 s27, s20, s5
	s_delay_alu instid0(VALU_DEP_1)
	v_sub_co_u32 v10, s26, v9, s20
	s_add_u32 s24, s5, 2
	s_addc_u32 s28, s13, 0
	s_add_i32 s27, s27, s25
	s_cmp_lg_u32 s21, 0
	v_readfirstlane_b32 s21, v10
	s_subb_u32 s23, s23, s27
	s_cmp_lg_u32 s26, 0
	s_subb_u32 s25, s23, 0
	s_delay_alu instid0(VALU_DEP_1) | instskip(SKIP_4) | instid1(SALU_CYCLE_1)
	s_cmp_ge_u32 s21, s20
	s_cselect_b32 s21, -1, 0
	s_cmp_eq_u32 s25, 0
	v_readfirstlane_b32 s25, v9
	s_cselect_b32 s21, s21, -1
	s_cmp_lg_u32 s21, 0
	s_cselect_b32 s15, s24, s15
	s_cselect_b32 s21, s28, s22
	s_cmp_ge_u32 s25, s20
	s_cselect_b32 s22, -1, 0
	s_cmp_eq_u32 s23, 0
	s_cselect_b32 s22, s22, -1
	s_delay_alu instid0(SALU_CYCLE_1) | instskip(SKIP_4) | instid1(SALU_CYCLE_1)
	s_cmp_lg_u32 s22, 0
	s_cselect_b32 s23, s21, s13
	s_cselect_b32 s22, s15, s5
	s_mov_b32 s5, 0
	s_xor_b64 s[22:23], s[22:23], s[0:1]
	s_sub_u32 s0, s22, s0
.LBB21_11:                              ;   in Loop: Header=BB21_9 Depth=1
	s_and_not1_b32 vcc_lo, exec_lo, s5
	s_cbranch_vccnz .LBB21_13
; %bb.12:                               ;   in Loop: Header=BB21_9 Depth=1
	v_readfirstlane_b32 s0, v6
	s_delay_alu instid0(VALU_DEP_1) | instskip(NEXT) | instid1(SALU_CYCLE_1)
	s_mul_i32 s1, s6, s0
	s_mul_hi_u32 s1, s0, s1
	s_delay_alu instid0(SALU_CYCLE_1) | instskip(NEXT) | instid1(SALU_CYCLE_1)
	s_add_i32 s0, s0, s1
	s_mul_hi_u32 s0, s4, s0
	s_delay_alu instid0(SALU_CYCLE_1) | instskip(NEXT) | instid1(SALU_CYCLE_1)
	s_mul_i32 s1, s0, s20
	s_sub_i32 s1, s4, s1
	s_add_i32 s4, s0, 1
	s_sub_i32 s5, s1, s20
	s_cmp_ge_u32 s1, s20
	s_cselect_b32 s0, s4, s0
	s_cselect_b32 s1, s5, s1
	s_add_i32 s4, s0, 1
	s_cmp_ge_u32 s1, s20
	s_cselect_b32 s0, s4, s0
.LBB21_13:                              ;   in Loop: Header=BB21_9 Depth=1
	s_delay_alu instid0(SALU_CYCLE_1)
	s_cmp_lg_u32 s16, s0
	s_cbranch_scc0 .LBB21_17
; %bb.14:                               ;   in Loop: Header=BB21_9 Depth=1
	s_add_i32 s1, s14, s20
	s_mov_b32 s5, s12
	s_lshl_b32 s1, s1, 1
	s_mov_b32 s15, s16
	s_add_i32 s4, s1, s17
	s_mul_hi_u32 s1, s0, s8
	s_lshl_b64 s[4:5], s[4:5], 3
	s_delay_alu instid0(SALU_CYCLE_1) | instskip(SKIP_2) | instid1(SALU_CYCLE_1)
	s_add_u32 s4, s2, s4
	s_addc_u32 s5, s3, s5
	s_add_i32 s1, s1, s0
	s_lshr_b32 s1, s1, s9
	s_delay_alu instid0(SALU_CYCLE_1) | instskip(NEXT) | instid1(SALU_CYCLE_1)
	s_mul_i32 s13, s1, s10
	s_cmp_eq_u32 s13, s0
	s_cselect_b32 s13, -1, 0
	s_cmp_lt_u32 s1, s11
	s_cselect_b32 s1, -1, 0
	s_delay_alu instid0(SALU_CYCLE_1)
	s_or_b32 s1, s1, s13
	s_mov_b32 s13, -1
	s_and_b32 vcc_lo, exec_lo, s1
	s_mov_b32 s1, s14
	s_cbranch_vccnz .LBB21_16
; %bb.15:                               ;   in Loop: Header=BB21_9 Depth=1
	s_add_i32 s1, s14, -1
	s_mov_b32 s13, 0
	s_mov_b32 s15, s0
.LBB21_16:                              ;   in Loop: Header=BB21_9 Depth=1
	v_lshl_add_u32 v9, s14, 8, v0
	s_load_b64 s[4:5], s[4:5], 0x0
	s_delay_alu instid0(VALU_DEP_1) | instskip(NEXT) | instid1(VALU_DEP_1)
	v_ashrrev_i32_e32 v10, 31, v9
	v_lshlrev_b64 v[9:10], 2, v[9:10]
	s_delay_alu instid0(VALU_DEP_1) | instskip(NEXT) | instid1(VALU_DEP_2)
	v_add_co_u32 v9, vcc_lo, s18, v9
	v_add_co_ci_u32_e32 v10, vcc_lo, s19, v10, vcc_lo
	s_waitcnt lgkmcnt(0)
	v_max_f32_e64 v11, s4, s4
	global_load_b32 v10, v[9:10], off
	v_max_f32_e32 v9, v8, v8
	s_delay_alu instid0(VALU_DEP_1) | instskip(NEXT) | instid1(VALU_DEP_1)
	v_max_f32_e32 v9, v9, v11
	v_sub_f32_e32 v12, v8, v9
	s_delay_alu instid0(VALU_DEP_1) | instskip(NEXT) | instid1(VALU_DEP_1)
	v_dual_mul_f32 v14, 0x3fb8aa3b, v12 :: v_dual_sub_f32 v11, s4, v9
	v_rndne_f32_e32 v18, v14
	s_delay_alu instid0(VALU_DEP_2) | instskip(SKIP_2) | instid1(VALU_DEP_4)
	v_mul_f32_e32 v13, 0x3fb8aa3b, v11
	v_fma_f32 v17, 0x3fb8aa3b, v12, -v14
	v_cmp_ngt_f32_e32 vcc_lo, 0xc2ce8ed0, v11
	v_sub_f32_e32 v14, v14, v18
	s_delay_alu instid0(VALU_DEP_4) | instskip(SKIP_2) | instid1(VALU_DEP_3)
	v_fma_f32 v15, 0x3fb8aa3b, v11, -v13
	v_rndne_f32_e32 v16, v13
	v_fmac_f32_e32 v17, 0x32a5705f, v12
	v_fmac_f32_e32 v15, 0x32a5705f, v11
	s_delay_alu instid0(VALU_DEP_2) | instskip(NEXT) | instid1(VALU_DEP_1)
	v_dual_sub_f32 v13, v13, v16 :: v_dual_add_f32 v14, v14, v17
	v_add_f32_e32 v13, v13, v15
	s_delay_alu instid0(VALU_DEP_2) | instskip(SKIP_2) | instid1(VALU_DEP_3)
	v_exp_f32_e32 v14, v14
	v_cvt_i32_f32_e32 v15, v16
	v_cvt_i32_f32_e32 v16, v18
	v_exp_f32_e32 v13, v13
	s_waitcnt_depctr 0xfff
	v_ldexp_f32 v14, v14, v16
	v_ldexp_f32 v13, v13, v15
	s_delay_alu instid0(VALU_DEP_1) | instskip(SKIP_1) | instid1(VALU_DEP_4)
	v_cndmask_b32_e32 v13, 0, v13, vcc_lo
	v_cmp_ngt_f32_e32 vcc_lo, 0xc2ce8ed0, v12
	v_cndmask_b32_e32 v14, 0, v14, vcc_lo
	v_cmp_nlt_f32_e32 vcc_lo, 0x42b17218, v11
	s_delay_alu instid0(VALU_DEP_4) | instskip(SKIP_1) | instid1(VALU_DEP_4)
	v_cndmask_b32_e32 v13, 0x7f800000, v13, vcc_lo
	v_cmp_nlt_f32_e32 vcc_lo, 0x42b17218, v12
	v_cndmask_b32_e32 v14, 0x7f800000, v14, vcc_lo
	v_cmp_le_f32_e32 vcc_lo, 0xc1a00000, v11
	s_delay_alu instid0(VALU_DEP_4) | instskip(SKIP_1) | instid1(VALU_DEP_4)
	v_cndmask_b32_e32 v11, 0, v13, vcc_lo
	v_cmp_le_f32_e32 vcc_lo, 0xc1a00000, v12
	v_cndmask_b32_e32 v12, 0, v14, vcc_lo
	s_waitcnt vmcnt(0)
	s_delay_alu instid0(VALU_DEP_3) | instskip(NEXT) | instid1(VALU_DEP_1)
	v_mul_f32_e32 v10, v10, v11
	v_dual_mul_f32 v11, s5, v11 :: v_dual_fmac_f32 v10, v3, v12
	s_delay_alu instid0(VALU_DEP_1)
	v_fmac_f32_e32 v11, v7, v12
	s_cbranch_execz .LBB21_18
	s_branch .LBB21_19
.LBB21_17:                              ;   in Loop: Header=BB21_9 Depth=1
                                        ; implicit-def: $sgpr13
                                        ; implicit-def: $vgpr10
                                        ; implicit-def: $vgpr9
                                        ; implicit-def: $vgpr11
                                        ; implicit-def: $sgpr1
                                        ; implicit-def: $sgpr15
.LBB21_18:                              ;   in Loop: Header=BB21_9 Depth=1
	v_mov_b32_e32 v11, v7
	s_waitcnt vmcnt(0)
	v_dual_mov_b32 v9, v8 :: v_dual_mov_b32 v10, v3
	s_add_i32 s1, s14, -1
	s_mov_b32 s13, 0
	s_mov_b32 s15, s16
.LBB21_19:                              ;   in Loop: Header=BB21_9 Depth=1
	s_and_not1_b32 vcc_lo, exec_lo, s13
	s_cbranch_vccz .LBB21_23
; %bb.20:                               ;   in Loop: Header=BB21_9 Depth=1
	v_dual_mov_b32 v7, v11 :: v_dual_mov_b32 v8, v9
	s_waitcnt vmcnt(0)
	v_mov_b32_e32 v3, v10
	s_mov_b32 s16, s15
	s_mov_b32 s14, s1
	s_branch .LBB21_9
.LBB21_21:
                                        ; implicit-def: $sgpr16_sgpr17
	s_load_b128 s[8:11], s[0:1], 0x44
	s_branch .LBB21_2
.LBB21_22:
                                        ; implicit-def: $sgpr18_sgpr19
	s_branch .LBB21_5
.LBB21_23:
	v_div_scale_f32 v0, null, v11, v11, v10
	s_waitcnt vmcnt(0)
	s_delay_alu instid0(VALU_DEP_1) | instskip(SKIP_2) | instid1(VALU_DEP_1)
	v_rcp_f32_e32 v3, v0
	s_waitcnt_depctr 0xfff
	v_fma_f32 v4, -v0, v3, 1.0
	v_fmac_f32_e32 v3, v4, v3
	v_div_scale_f32 v4, vcc_lo, v10, v11, v10
	s_delay_alu instid0(VALU_DEP_1) | instskip(NEXT) | instid1(VALU_DEP_1)
	v_mul_f32_e32 v5, v4, v3
	v_fma_f32 v6, -v0, v5, v4
	s_delay_alu instid0(VALU_DEP_1) | instskip(NEXT) | instid1(VALU_DEP_1)
	v_fmac_f32_e32 v5, v6, v3
	v_fma_f32 v0, -v0, v5, v4
	s_delay_alu instid0(VALU_DEP_1) | instskip(NEXT) | instid1(VALU_DEP_1)
	v_div_fmas_f32 v0, v0, v3, v5
	v_div_fixup_f32 v0, v0, v11, v10
	global_store_b32 v[1:2], v0, off
.LBB21_24:
	s_nop 0
	s_sendmsg sendmsg(MSG_DEALLOC_VGPRS)
	s_endpgm
	.section	.rodata,"a",@progbits
	.p2align	6, 0x0
	.amdhsa_kernel _ZL33flash_attn_stream_k_fixup_generalILi128ELi2ELi1EEvPfPK15HIP_vector_typeIfLj2EEiiiiS1_IjLj3EES5_S5_S5_
		.amdhsa_group_segment_fixed_size 0
		.amdhsa_private_segment_fixed_size 0
		.amdhsa_kernarg_size 336
		.amdhsa_user_sgpr_count 13
		.amdhsa_user_sgpr_dispatch_ptr 0
		.amdhsa_user_sgpr_queue_ptr 0
		.amdhsa_user_sgpr_kernarg_segment_ptr 1
		.amdhsa_user_sgpr_dispatch_id 0
		.amdhsa_user_sgpr_private_segment_size 0
		.amdhsa_wavefront_size32 1
		.amdhsa_uses_dynamic_stack 0
		.amdhsa_enable_private_segment 0
		.amdhsa_system_sgpr_workgroup_id_x 1
		.amdhsa_system_sgpr_workgroup_id_y 1
		.amdhsa_system_sgpr_workgroup_id_z 1
		.amdhsa_system_sgpr_workgroup_info 0
		.amdhsa_system_vgpr_workitem_id 0
		.amdhsa_next_free_vgpr 19
		.amdhsa_next_free_sgpr 32
		.amdhsa_reserve_vcc 1
		.amdhsa_float_round_mode_32 0
		.amdhsa_float_round_mode_16_64 0
		.amdhsa_float_denorm_mode_32 3
		.amdhsa_float_denorm_mode_16_64 3
		.amdhsa_dx10_clamp 1
		.amdhsa_ieee_mode 1
		.amdhsa_fp16_overflow 0
		.amdhsa_workgroup_processor_mode 1
		.amdhsa_memory_ordered 1
		.amdhsa_forward_progress 0
		.amdhsa_shared_vgpr_count 0
		.amdhsa_exception_fp_ieee_invalid_op 0
		.amdhsa_exception_fp_denorm_src 0
		.amdhsa_exception_fp_ieee_div_zero 0
		.amdhsa_exception_fp_ieee_overflow 0
		.amdhsa_exception_fp_ieee_underflow 0
		.amdhsa_exception_fp_ieee_inexact 0
		.amdhsa_exception_int_div_zero 0
	.end_amdhsa_kernel
	.section	.text._ZL33flash_attn_stream_k_fixup_generalILi128ELi2ELi1EEvPfPK15HIP_vector_typeIfLj2EEiiiiS1_IjLj3EES5_S5_S5_,"axG",@progbits,_ZL33flash_attn_stream_k_fixup_generalILi128ELi2ELi1EEvPfPK15HIP_vector_typeIfLj2EEiiiiS1_IjLj3EES5_S5_S5_,comdat
.Lfunc_end21:
	.size	_ZL33flash_attn_stream_k_fixup_generalILi128ELi2ELi1EEvPfPK15HIP_vector_typeIfLj2EEiiiiS1_IjLj3EES5_S5_S5_, .Lfunc_end21-_ZL33flash_attn_stream_k_fixup_generalILi128ELi2ELi1EEvPfPK15HIP_vector_typeIfLj2EEiiiiS1_IjLj3EES5_S5_S5_
                                        ; -- End function
	.section	.AMDGPU.csdata,"",@progbits
; Kernel info:
; codeLenInByte = 3220
; NumSgprs: 34
; NumVgprs: 19
; ScratchSize: 0
; MemoryBound: 0
; FloatMode: 240
; IeeeMode: 1
; LDSByteSize: 0 bytes/workgroup (compile time only)
; SGPRBlocks: 4
; VGPRBlocks: 2
; NumSGPRsForWavesPerEU: 34
; NumVGPRsForWavesPerEU: 19
; Occupancy: 16
; WaveLimiterHint : 0
; COMPUTE_PGM_RSRC2:SCRATCH_EN: 0
; COMPUTE_PGM_RSRC2:USER_SGPR: 13
; COMPUTE_PGM_RSRC2:TRAP_HANDLER: 0
; COMPUTE_PGM_RSRC2:TGID_X_EN: 1
; COMPUTE_PGM_RSRC2:TGID_Y_EN: 1
; COMPUTE_PGM_RSRC2:TGID_Z_EN: 1
; COMPUTE_PGM_RSRC2:TIDIG_COMP_CNT: 0
	.section	.text._ZL18flash_attn_ext_vecILi128ELi2EL9ggml_type6ELS0_3ELb1EEvPKcS2_S2_S2_S2_PKiPfP15HIP_vector_typeIfLj2EEffffjfiS6_IjLj3EEiiiiiiiiiiiliiliiiiil,"axG",@progbits,_ZL18flash_attn_ext_vecILi128ELi2EL9ggml_type6ELS0_3ELb1EEvPKcS2_S2_S2_S2_PKiPfP15HIP_vector_typeIfLj2EEffffjfiS6_IjLj3EEiiiiiiiiiiiliiliiiiil,comdat
	.globl	_ZL18flash_attn_ext_vecILi128ELi2EL9ggml_type6ELS0_3ELb1EEvPKcS2_S2_S2_S2_PKiPfP15HIP_vector_typeIfLj2EEffffjfiS6_IjLj3EEiiiiiiiiiiiliiliiiiil ; -- Begin function _ZL18flash_attn_ext_vecILi128ELi2EL9ggml_type6ELS0_3ELb1EEvPKcS2_S2_S2_S2_PKiPfP15HIP_vector_typeIfLj2EEffffjfiS6_IjLj3EEiiiiiiiiiiiliiliiiiil
	.p2align	8
	.type	_ZL18flash_attn_ext_vecILi128ELi2EL9ggml_type6ELS0_3ELb1EEvPKcS2_S2_S2_S2_PKiPfP15HIP_vector_typeIfLj2EEffffjfiS6_IjLj3EEiiiiiiiiiiiliiliiiiil,@function
_ZL18flash_attn_ext_vecILi128ELi2EL9ggml_type6ELS0_3ELb1EEvPKcS2_S2_S2_S2_PKiPfP15HIP_vector_typeIfLj2EEffffjfiS6_IjLj3EEiiiiiiiiiiiliiliiiiil: ; @_ZL18flash_attn_ext_vecILi128ELi2EL9ggml_type6ELS0_3ELb1EEvPKcS2_S2_S2_S2_PKiPfP15HIP_vector_typeIfLj2EEffffjfiS6_IjLj3EEiiiiiiiiiiiliiliiiiil
; %bb.0:
	s_clause 0x2
	s_load_b64 s[34:35], s[2:3], 0x64
	s_load_b64 s[38:39], s[2:3], 0x80
	;; [unrolled: 1-line block ×3, first 2 shown]
	v_mov_b32_e32 v67, 1.0
	s_load_b64 s[36:37], s[2:3], 0x50
	s_waitcnt lgkmcnt(0)
	v_cvt_f32_u32_e32 v1, s35
	s_sub_i32 s5, 0, s35
	s_delay_alu instid0(VALU_DEP_1) | instskip(SKIP_2) | instid1(VALU_DEP_1)
	v_rcp_iflag_f32_e32 v1, v1
	s_waitcnt_depctr 0xfff
	v_mul_f32_e32 v1, 0x4f7ffffe, v1
	v_cvt_u32_f32_e32 v1, v1
	s_delay_alu instid0(VALU_DEP_1) | instskip(NEXT) | instid1(VALU_DEP_1)
	v_readfirstlane_b32 s4, v1
	s_mul_i32 s5, s5, s4
	s_delay_alu instid0(SALU_CYCLE_1) | instskip(NEXT) | instid1(SALU_CYCLE_1)
	s_mul_hi_u32 s5, s4, s5
	s_add_i32 s4, s4, s5
	s_delay_alu instid0(SALU_CYCLE_1) | instskip(NEXT) | instid1(SALU_CYCLE_1)
	s_mul_hi_u32 s4, s15, s4
	s_mul_i32 s5, s4, s35
	s_add_i32 s6, s4, 1
	s_sub_i32 s5, s15, s5
	s_delay_alu instid0(SALU_CYCLE_1)
	s_sub_i32 s7, s5, s35
	s_cmp_ge_u32 s5, s35
	s_cselect_b32 s4, s6, s4
	s_cselect_b32 s5, s7, s5
	s_add_i32 s6, s4, 1
	s_cmp_ge_u32 s5, s35
	s_cselect_b32 s33, s6, s4
	s_abs_i32 s4, s39
	s_abs_i32 s8, s35
	v_cvt_f32_u32_e32 v1, s4
	s_sub_i32 s6, 0, s4
	s_xor_b32 s7, s35, s39
	s_delay_alu instid0(SALU_CYCLE_1) | instskip(NEXT) | instid1(VALU_DEP_1)
	s_ashr_i32 s7, s7, 31
	v_rcp_iflag_f32_e32 v1, v1
	s_waitcnt_depctr 0xfff
	v_mul_f32_e32 v1, 0x4f7ffffe, v1
	s_delay_alu instid0(VALU_DEP_1) | instskip(NEXT) | instid1(VALU_DEP_1)
	v_cvt_u32_f32_e32 v1, v1
	v_readfirstlane_b32 s5, v1
	s_delay_alu instid0(VALU_DEP_1) | instskip(NEXT) | instid1(SALU_CYCLE_1)
	s_mul_i32 s6, s6, s5
	s_mul_hi_u32 s6, s5, s6
	s_delay_alu instid0(SALU_CYCLE_1) | instskip(SKIP_4) | instid1(SALU_CYCLE_1)
	s_add_i32 s5, s5, s6
	s_mul_i32 s6, s33, s35
	s_mul_hi_u32 s5, s8, s5
	s_sub_i32 s12, s15, s6
	s_mul_i32 s9, s5, s4
	s_sub_i32 s6, s8, s9
	s_add_i32 s8, s5, 1
	s_sub_i32 s9, s6, s4
	s_cmp_ge_u32 s6, s4
	s_cselect_b32 s5, s8, s5
	s_cselect_b32 s6, s9, s6
	s_add_i32 s8, s5, 1
	s_cmp_ge_u32 s6, s4
	s_cselect_b32 s4, s8, s5
	s_abs_i32 s39, s40
	s_xor_b32 s4, s4, s7
	v_cvt_f32_u32_e32 v1, s39
	s_sub_i32 s43, s4, s7
	s_load_b128 s[8:11], s[2:3], 0x40
	s_abs_i32 s42, s43
	s_delay_alu instid0(SALU_CYCLE_1) | instskip(SKIP_1) | instid1(VALU_DEP_1)
	v_cvt_f32_u32_e32 v2, s42
	v_rcp_iflag_f32_e32 v1, v1
	v_rcp_iflag_f32_e32 v2, v2
	s_waitcnt_depctr 0xfff
	v_dual_mul_f32 v1, 0x4f7ffffe, v1 :: v_dual_mul_f32 v2, 0x4f7ffffe, v2
	s_delay_alu instid0(VALU_DEP_1) | instskip(SKIP_2) | instid1(VALU_DEP_3)
	v_cvt_u32_f32_e32 v1, v1
	s_waitcnt lgkmcnt(0)
	v_cmp_le_f32_e64 s4, s9, 0
	v_cvt_u32_f32_e32 v2, v2
	s_delay_alu instid0(VALU_DEP_3) | instskip(NEXT) | instid1(VALU_DEP_3)
	v_readfirstlane_b32 s9, v1
	s_and_b32 vcc_lo, exec_lo, s4
	s_delay_alu instid0(VALU_DEP_2)
	v_readfirstlane_b32 s40, v2
	s_cbranch_vccnz .LBB22_2
; %bb.1:
	s_sub_i32 s4, s12, s36
	s_add_i32 s5, s12, 1
	s_lshl_b32 s4, s4, 1
	v_mov_b32_e32 v1, s10
	s_or_b32 s4, s4, 1
	s_cmp_lt_u32 s12, s36
	s_cselect_b32 vcc_lo, -1, 0
	s_delay_alu instid0(VALU_DEP_1)
	v_cndmask_b32_e32 v3, s11, v1, vcc_lo
	s_and_b32 s6, vcc_lo, exec_lo
	s_cselect_b32 s4, s5, s4
	s_mov_b32 s5, 0x3e76c4e1
	v_cvt_f32_i32_e32 v1, s4
	v_cmp_neq_f32_e32 vcc_lo, 1.0, v3
	s_delay_alu instid0(VALU_DEP_2) | instskip(NEXT) | instid1(VALU_DEP_1)
	v_cndmask_b32_e32 v4, 1.0, v1, vcc_lo
	v_cmp_eq_f32_e32 vcc_lo, 0, v4
	v_cndmask_b32_e64 v5, |v3|, 1.0, vcc_lo
	s_delay_alu instid0(VALU_DEP_1) | instskip(NEXT) | instid1(VALU_DEP_1)
	v_frexp_mant_f32_e32 v1, v5
	v_cmp_gt_f32_e64 s4, 0x3f2aaaab, v1
	s_delay_alu instid0(VALU_DEP_1) | instskip(NEXT) | instid1(VALU_DEP_1)
	v_cndmask_b32_e64 v2, 1.0, 2.0, s4
	v_mul_f32_e32 v1, v1, v2
	s_delay_alu instid0(VALU_DEP_1) | instskip(SKIP_1) | instid1(VALU_DEP_2)
	v_add_f32_e32 v2, 1.0, v1
	v_add_f32_e32 v7, -1.0, v1
	v_rcp_f32_e32 v6, v2
	s_waitcnt_depctr 0xfff
	v_mul_f32_e32 v8, v7, v6
	s_delay_alu instid0(VALU_DEP_1) | instskip(NEXT) | instid1(VALU_DEP_1)
	v_dual_add_f32 v9, -1.0, v2 :: v_dual_mul_f32 v10, v2, v8
	v_sub_f32_e32 v1, v1, v9
	v_cndmask_b32_e64 v3, v3, 1.0, vcc_lo
	s_delay_alu instid0(VALU_DEP_3) | instskip(NEXT) | instid1(VALU_DEP_2)
	v_fma_f32 v2, v8, v2, -v10
	v_cmp_eq_f32_e64 s6, 0, v3
	s_delay_alu instid0(VALU_DEP_2) | instskip(NEXT) | instid1(VALU_DEP_1)
	v_fmac_f32_e32 v2, v8, v1
	v_add_f32_e32 v1, v10, v2
	s_delay_alu instid0(VALU_DEP_1) | instskip(NEXT) | instid1(VALU_DEP_1)
	v_dual_sub_f32 v10, v1, v10 :: v_dual_sub_f32 v9, v7, v1
	v_dual_sub_f32 v2, v10, v2 :: v_dual_sub_f32 v7, v7, v9
	s_delay_alu instid0(VALU_DEP_1) | instskip(NEXT) | instid1(VALU_DEP_1)
	v_sub_f32_e32 v1, v7, v1
	v_add_f32_e32 v1, v2, v1
	s_delay_alu instid0(VALU_DEP_1) | instskip(NEXT) | instid1(VALU_DEP_1)
	v_add_f32_e32 v1, v9, v1
	v_mul_f32_e32 v1, v6, v1
	s_delay_alu instid0(VALU_DEP_1) | instskip(NEXT) | instid1(VALU_DEP_1)
	v_add_f32_e32 v6, v8, v1
	v_sub_f32_e32 v2, v6, v8
	v_mul_f32_e32 v7, v6, v6
	s_delay_alu instid0(VALU_DEP_2) | instskip(NEXT) | instid1(VALU_DEP_2)
	v_sub_f32_e32 v8, v1, v2
	v_fma_f32 v9, v6, v6, -v7
	s_delay_alu instid0(VALU_DEP_2) | instskip(NEXT) | instid1(VALU_DEP_1)
	v_add_f32_e32 v1, v8, v8
	v_fmac_f32_e32 v9, v6, v1
	v_cvt_f64_f32_e32 v[1:2], v5
	s_delay_alu instid0(VALU_DEP_2) | instskip(NEXT) | instid1(VALU_DEP_1)
	v_add_f32_e32 v10, v7, v9
	v_fmaak_f32 v11, s5, v10, 0x3e91f4c4
	v_sub_f32_e32 v7, v10, v7
	v_mul_f32_e32 v14, v6, v10
	s_delay_alu instid0(VALU_DEP_3) | instskip(NEXT) | instid1(VALU_DEP_3)
	v_fmaak_f32 v11, v10, v11, 0x3ecccdef
	v_sub_f32_e32 v7, v9, v7
	s_delay_alu instid0(VALU_DEP_2) | instskip(NEXT) | instid1(VALU_DEP_1)
	v_mul_f32_e32 v12, v10, v11
	v_fma_f32 v9, v10, v11, -v12
	s_delay_alu instid0(VALU_DEP_1) | instskip(NEXT) | instid1(VALU_DEP_1)
	v_fmac_f32_e32 v9, v7, v11
	v_add_f32_e32 v11, v12, v9
	v_frexp_exp_i32_f64_e32 v1, v[1:2]
	s_delay_alu instid0(VALU_DEP_2) | instskip(NEXT) | instid1(VALU_DEP_1)
	v_sub_f32_e32 v12, v11, v12
	v_sub_f32_e32 v2, v9, v12
	v_fma_f32 v12, v10, v6, -v14
	s_delay_alu instid0(VALU_DEP_2) | instskip(NEXT) | instid1(VALU_DEP_2)
	v_add_f32_e32 v2, 0x31739010, v2
	v_dual_add_f32 v13, 0x3f2aaaaa, v11 :: v_dual_fmac_f32 v12, v10, v8
	v_ldexp_f32 v8, v8, 1
	s_delay_alu instid0(VALU_DEP_2) | instskip(NEXT) | instid1(VALU_DEP_1)
	v_dual_add_f32 v9, 0xbf2aaaaa, v13 :: v_dual_fmac_f32 v12, v7, v6
	v_sub_f32_e32 v9, v11, v9
	s_delay_alu instid0(VALU_DEP_1) | instskip(NEXT) | instid1(VALU_DEP_3)
	v_add_f32_e32 v2, v2, v9
	v_add_f32_e32 v9, v14, v12
	s_delay_alu instid0(VALU_DEP_2) | instskip(NEXT) | instid1(VALU_DEP_1)
	v_add_f32_e32 v7, v13, v2
	v_sub_f32_e32 v10, v13, v7
	s_delay_alu instid0(VALU_DEP_3) | instskip(SKIP_2) | instid1(VALU_DEP_4)
	v_mul_f32_e32 v11, v9, v7
	v_sub_f32_e32 v13, v9, v14
	v_subrev_co_ci_u32_e64 v1, s4, 0, v1, s4
	v_add_f32_e32 v2, v2, v10
	s_delay_alu instid0(VALU_DEP_4) | instskip(NEXT) | instid1(VALU_DEP_4)
	v_fma_f32 v10, v9, v7, -v11
	v_sub_f32_e32 v12, v12, v13
	s_delay_alu instid0(VALU_DEP_4) | instskip(NEXT) | instid1(VALU_DEP_3)
	v_cvt_f32_i32_e32 v1, v1
	v_fmac_f32_e32 v10, v9, v2
	v_ldexp_f32 v2, v6, 1
	s_delay_alu instid0(VALU_DEP_2) | instskip(NEXT) | instid1(VALU_DEP_1)
	v_fmac_f32_e32 v10, v12, v7
	v_add_f32_e32 v6, v11, v10
	s_delay_alu instid0(VALU_DEP_1) | instskip(NEXT) | instid1(VALU_DEP_1)
	v_add_f32_e32 v7, v2, v6
	v_dual_sub_f32 v2, v7, v2 :: v_dual_sub_f32 v9, v6, v11
	s_delay_alu instid0(VALU_DEP_1) | instskip(NEXT) | instid1(VALU_DEP_2)
	v_sub_f32_e32 v2, v6, v2
	v_sub_f32_e32 v9, v10, v9
	s_delay_alu instid0(VALU_DEP_1) | instskip(NEXT) | instid1(VALU_DEP_1)
	v_add_f32_e32 v6, v8, v9
	v_dual_mul_f32 v11, 0x3f317218, v1 :: v_dual_add_f32 v2, v6, v2
	s_delay_alu instid0(VALU_DEP_1) | instskip(NEXT) | instid1(VALU_DEP_2)
	v_fma_f32 v10, 0x3f317218, v1, -v11
	v_add_f32_e32 v8, v7, v2
	s_delay_alu instid0(VALU_DEP_1) | instskip(NEXT) | instid1(VALU_DEP_1)
	v_sub_f32_e32 v7, v8, v7
	v_dual_fmamk_f32 v1, v1, 0xb102e308, v10 :: v_dual_sub_f32 v2, v2, v7
	s_delay_alu instid0(VALU_DEP_1) | instskip(NEXT) | instid1(VALU_DEP_1)
	v_add_f32_e32 v6, v11, v1
	v_add_f32_e32 v9, v6, v8
	s_delay_alu instid0(VALU_DEP_1) | instskip(NEXT) | instid1(VALU_DEP_1)
	v_dual_sub_f32 v11, v6, v11 :: v_dual_sub_f32 v10, v9, v6
	v_sub_f32_e32 v12, v9, v10
	s_delay_alu instid0(VALU_DEP_2) | instskip(NEXT) | instid1(VALU_DEP_2)
	v_sub_f32_e32 v1, v1, v11
	v_dual_sub_f32 v7, v8, v10 :: v_dual_sub_f32 v6, v6, v12
	s_delay_alu instid0(VALU_DEP_2) | instskip(NEXT) | instid1(VALU_DEP_2)
	v_add_f32_e32 v8, v1, v2
	v_add_f32_e32 v6, v7, v6
	s_delay_alu instid0(VALU_DEP_1) | instskip(NEXT) | instid1(VALU_DEP_1)
	v_add_f32_e32 v6, v8, v6
	v_dual_sub_f32 v7, v8, v1 :: v_dual_add_f32 v10, v9, v6
	s_delay_alu instid0(VALU_DEP_1) | instskip(SKIP_1) | instid1(VALU_DEP_3)
	v_sub_f32_e32 v8, v8, v7
	v_sub_f32_e32 v2, v2, v7
	;; [unrolled: 1-line block ×3, first 2 shown]
	s_delay_alu instid0(VALU_DEP_3) | instskip(NEXT) | instid1(VALU_DEP_1)
	v_sub_f32_e32 v1, v1, v8
	v_add_f32_e32 v1, v2, v1
	s_delay_alu instid0(VALU_DEP_3) | instskip(NEXT) | instid1(VALU_DEP_1)
	v_sub_f32_e32 v2, v6, v7
	v_add_f32_e32 v1, v1, v2
	s_delay_alu instid0(VALU_DEP_1) | instskip(NEXT) | instid1(VALU_DEP_1)
	v_add_f32_e32 v2, v10, v1
	v_mul_f32_e32 v7, v4, v2
	v_sub_f32_e32 v6, v2, v10
	s_delay_alu instid0(VALU_DEP_2) | instskip(NEXT) | instid1(VALU_DEP_2)
	v_fma_f32 v2, v4, v2, -v7
	v_sub_f32_e32 v1, v1, v6
	v_cmp_class_f32_e64 s4, v7, 0x204
	s_delay_alu instid0(VALU_DEP_2) | instskip(NEXT) | instid1(VALU_DEP_1)
	v_fmac_f32_e32 v2, v4, v1
	v_add_f32_e32 v1, v7, v2
	s_delay_alu instid0(VALU_DEP_1) | instskip(NEXT) | instid1(VALU_DEP_1)
	v_cndmask_b32_e64 v6, v1, v7, s4
	v_cmp_eq_f32_e64 s4, 0x42b17218, v6
	s_delay_alu instid0(VALU_DEP_1) | instskip(SKIP_1) | instid1(VALU_DEP_2)
	v_cndmask_b32_e64 v8, 0, 0x37000000, s4
	v_cmp_neq_f32_e64 s4, 0x7f800000, |v6|
	v_sub_f32_e32 v9, v6, v8
	v_trunc_f32_e32 v6, v4
	s_delay_alu instid0(VALU_DEP_2) | instskip(NEXT) | instid1(VALU_DEP_1)
	v_mul_f32_e32 v10, 0x3fb8aa3b, v9
	v_fma_f32 v11, 0x3fb8aa3b, v9, -v10
	v_rndne_f32_e32 v12, v10
	s_delay_alu instid0(VALU_DEP_1) | instskip(NEXT) | instid1(VALU_DEP_1)
	v_dual_fmamk_f32 v11, v9, 0x32a5705f, v11 :: v_dual_sub_f32 v10, v10, v12
	v_add_f32_e32 v10, v10, v11
	v_sub_f32_e32 v1, v1, v7
	v_cvt_i32_f32_e32 v7, v12
	s_delay_alu instid0(VALU_DEP_3) | instskip(NEXT) | instid1(VALU_DEP_2)
	v_exp_f32_e32 v10, v10
	v_sub_f32_e32 v1, v2, v1
	s_delay_alu instid0(VALU_DEP_1)
	v_cndmask_b32_e64 v1, 0, v1, s4
	v_cmp_ngt_f32_e64 s4, 0xc2ce8ed0, v9
	s_waitcnt_depctr 0xfff
	v_ldexp_f32 v2, v10, v7
	v_mul_f32_e32 v7, 0.5, v4
	v_add_f32_e32 v1, v8, v1
	s_delay_alu instid0(VALU_DEP_3) | instskip(NEXT) | instid1(VALU_DEP_3)
	v_cndmask_b32_e64 v2, 0, v2, s4
	v_trunc_f32_e32 v10, v7
	v_cmp_nlt_f32_e64 s4, 0x42b17218, v9
	s_delay_alu instid0(VALU_DEP_2) | instskip(NEXT) | instid1(VALU_DEP_2)
	v_cmp_neq_f32_e64 s5, v10, v7
	v_cndmask_b32_e64 v2, 0x7f800000, v2, s4
	v_cmp_eq_f32_e64 s4, v6, v4
	s_delay_alu instid0(VALU_DEP_2) | instskip(NEXT) | instid1(VALU_DEP_2)
	v_fma_f32 v1, v2, v1, v2
	s_and_b32 vcc_lo, s4, s5
	v_cmp_class_f32_e64 s5, v2, 0x204
	v_cndmask_b32_e32 v6, 1.0, v3, vcc_lo
	s_delay_alu instid0(VALU_DEP_2) | instskip(SKIP_1) | instid1(VALU_DEP_2)
	v_cndmask_b32_e64 v1, v1, v2, s5
	v_cmp_gt_f32_e64 s5, 0, v4
	v_bfi_b32 v1, 0x7fffffff, v1, v6
	v_cndmask_b32_e32 v6, 0, v3, vcc_lo
	s_delay_alu instid0(VALU_DEP_3)
	s_xor_b32 s5, s5, s6
	v_cmp_eq_f32_e32 vcc_lo, 0x7f800000, v5
	v_cndmask_b32_e64 v2, 0x7f800000, 0, s5
	v_cndmask_b32_e64 v4, 0x7fc00000, v1, s4
	v_cmp_gt_f32_e64 s4, 0, v3
	s_or_b32 vcc_lo, vcc_lo, s6
	s_delay_alu instid0(VALU_DEP_3) | instskip(NEXT) | instid1(VALU_DEP_2)
	v_bfi_b32 v2, 0x7fffffff, v2, v6
	v_cndmask_b32_e64 v1, v1, v4, s4
	s_delay_alu instid0(VALU_DEP_1) | instskip(SKIP_1) | instid1(VALU_DEP_2)
	v_cndmask_b32_e32 v1, v1, v2, vcc_lo
	v_cmp_o_f32_e32 vcc_lo, v3, v3
	v_cndmask_b32_e32 v67, 0x7fc00000, v1, vcc_lo
.LBB22_2:
	s_load_b64 s[0:1], s[0:1], 0x4
	v_bfe_u32 v61, v0, 10, 10
	v_and_b32_e32 v60, 0x3ff, v0
	s_load_b512 s[16:31], s[2:3], 0x0
	v_bfe_u32 v0, v0, 20, 10
	s_lshl_b32 s15, s13, 1
	v_lshlrev_b32_e32 v62, 8, v61
	s_mov_b32 s6, exec_lo
	s_waitcnt lgkmcnt(0)
	v_mul_u32_u24_e32 v1, s1, v61
	s_lshr_b32 s0, s0, 16
	s_delay_alu instid0(SALU_CYCLE_1)
	s_mul_i32 s0, s0, s1
	s_delay_alu instid0(VALU_DEP_1) | instid1(SALU_CYCLE_1)
	v_mad_u32_u24 v1, s0, v60, v1
	v_cmp_lt_u32_e64 s0, 1, v61
	s_delay_alu instid0(VALU_DEP_2) | instskip(NEXT) | instid1(VALU_DEP_1)
	v_add_lshl_u32 v17, v1, v0, 4
	v_dual_mov_b32 v12, 0 :: v_dual_add_nc_u32 v1, 0x400, v17
	v_add_nc_u32_e32 v0, 0x604, v17
	ds_store_2addr_b32 v0, v12, v12 offset1:1
	ds_store_2addr_b32 v1, v12, v12 offset0:128 offset1:131
	v_cmpx_gt_u32_e32 2, v61
	s_cbranch_execz .LBB22_13
; %bb.3:
	v_or_b32_e32 v0, s15, v61
	v_lshl_add_u32 v1, v60, 2, v62
	s_mov_b32 s1, exec_lo
	s_delay_alu instid0(VALU_DEP_2)
	v_cmpx_le_i32_e64 s34, v0
	s_xor_b32 s1, exec_lo, s1
	s_cbranch_execz .LBB22_7
; %bb.4:
	v_mov_b32_e32 v0, 0
	s_mov_b32 s4, exec_lo
	ds_store_b32 v1, v0
	v_cmpx_gt_u32_e32 4, v60
	s_cbranch_execz .LBB22_6
; %bb.5:
	v_lshl_add_u32 v2, v60, 2, v1
	v_mov_b32_e32 v1, v0
	ds_store_b64 v2, v[0:1] offset:128
.LBB22_6:
	s_or_b32 exec_lo, exec_lo, s4
                                        ; implicit-def: $vgpr1
.LBB22_7:
	s_and_not1_saveexec_b32 s1, s1
	s_cbranch_execz .LBB22_13
; %bb.8:
	s_load_b128 s[44:47], s[2:3], 0x70
	v_lshlrev_b32_e32 v2, 4, v60
	s_mov_b32 s7, exec_lo
	s_waitcnt lgkmcnt(0)
	v_mul_lo_u32 v0, v61, s44
	s_mul_i32 s1, s33, s46
	s_mul_i32 s4, s15, s44
	;; [unrolled: 1-line block ×3, first 2 shown]
	s_add_i32 s1, s1, s4
	s_delay_alu instid0(SALU_CYCLE_1) | instskip(NEXT) | instid1(SALU_CYCLE_1)
	s_add_i32 s1, s1, s5
	s_ashr_i32 s4, s1, 31
	s_delay_alu instid0(VALU_DEP_1) | instskip(SKIP_3) | instid1(VALU_DEP_2)
	v_ashrrev_i32_e32 v3, 31, v0
	s_add_u32 s1, s16, s1
	s_addc_u32 s4, s17, s4
	v_add_co_u32 v0, vcc_lo, s1, v0
	v_add_co_ci_u32_e32 v3, vcc_lo, s4, v3, vcc_lo
	s_delay_alu instid0(VALU_DEP_2) | instskip(NEXT) | instid1(VALU_DEP_2)
	v_add_co_u32 v2, vcc_lo, v0, v2
	v_add_co_ci_u32_e32 v3, vcc_lo, 0, v3, vcc_lo
	v_mbcnt_lo_u32_b32 v0, -1, 0
	global_load_b128 v[7:10], v[2:3], off
	v_xor_b32_e32 v4, 4, v0
	v_xor_b32_e32 v13, 2, v0
	;; [unrolled: 1-line block ×3, first 2 shown]
	s_delay_alu instid0(VALU_DEP_3) | instskip(SKIP_1) | instid1(VALU_DEP_4)
	v_cmp_gt_i32_e32 vcc_lo, 32, v4
	v_cndmask_b32_e32 v4, v0, v4, vcc_lo
	v_cmp_gt_i32_e32 vcc_lo, 32, v13
	v_cndmask_b32_e32 v13, v0, v13, vcc_lo
	;; [unrolled: 2-line block ×3, first 2 shown]
	s_waitcnt vmcnt(0)
	s_delay_alu instid0(VALU_DEP_1) | instskip(SKIP_2) | instid1(VALU_DEP_2)
	v_dual_mul_f32 v5, s8, v10 :: v_dual_lshlrev_b32 v0, 2, v0
	v_dual_mul_f32 v2, s8, v7 :: v_dual_mul_f32 v3, s8, v8
	v_dual_mul_f32 v7, s8, v9 :: v_dual_lshlrev_b32 v4, 2, v4
	v_max_f32_e64 v6, |v2|, |v2|
	v_fma_f32 v8, s8, v8, v2
	s_delay_alu instid0(VALU_DEP_2) | instskip(NEXT) | instid1(VALU_DEP_1)
	v_max_f32_e64 v6, v6, |v3|
	v_max3_f32 v6, v6, |v7|, |v5|
	ds_bpermute_b32 v11, v4, v6
	s_waitcnt lgkmcnt(0)
	v_max_f32_e32 v11, v11, v11
	s_delay_alu instid0(VALU_DEP_1) | instskip(SKIP_3) | instid1(VALU_DEP_1)
	v_dual_max_f32 v6, v6, v11 :: v_dual_lshlrev_b32 v13, 2, v13
	ds_bpermute_b32 v11, v13, v6
	s_waitcnt lgkmcnt(0)
	v_max_f32_e32 v11, v11, v11
	v_max_f32_e32 v6, v6, v11
	ds_bpermute_b32 v11, v0, v6
	s_waitcnt lgkmcnt(0)
	v_dual_fmac_f32 v8, s8, v9 :: v_dual_max_f32 v9, v11, v11
	s_delay_alu instid0(VALU_DEP_1) | instskip(SKIP_2) | instid1(VALU_DEP_1)
	v_dual_fmac_f32 v8, s8, v10 :: v_dual_max_f32 v9, v6, v9
	ds_bpermute_b32 v4, v4, v8
	v_div_scale_f32 v6, null, 0x42fe0000, 0x42fe0000, v9
	v_rcp_f32_e32 v10, v6
	s_waitcnt lgkmcnt(0)
	v_add_f32_e32 v4, v8, v4
	s_waitcnt_depctr 0xfff
	v_fma_f32 v8, -v6, v10, 1.0
	ds_bpermute_b32 v11, v13, v4
	v_div_scale_f32 v13, vcc_lo, v9, 0x42fe0000, v9
	v_fmac_f32_e32 v10, v8, v10
	s_delay_alu instid0(VALU_DEP_1) | instskip(NEXT) | instid1(VALU_DEP_1)
	v_mul_f32_e32 v8, v13, v10
	v_fma_f32 v14, -v6, v8, v13
	s_delay_alu instid0(VALU_DEP_1) | instskip(SKIP_2) | instid1(VALU_DEP_2)
	v_fmac_f32_e32 v8, v14, v10
	s_waitcnt lgkmcnt(0)
	v_add_f32_e32 v4, v4, v11
	v_fma_f32 v11, -v6, v8, v13
	ds_bpermute_b32 v6, v0, v4
	v_div_fmas_f32 v0, v11, v10, v8
	v_mov_b32_e32 v8, 0
	s_delay_alu instid0(VALU_DEP_2) | instskip(NEXT) | instid1(VALU_DEP_1)
	v_div_fixup_f32 v0, v0, 0x42fe0000, v9
	v_cmpx_neq_f32_e32 0, v0
	s_cbranch_execz .LBB22_10
; %bb.9:
	v_div_scale_f32 v8, null, v0, v0, v2
	v_div_scale_f32 v9, null, v0, v0, v3
	;; [unrolled: 1-line block ×4, first 2 shown]
	s_delay_alu instid0(VALU_DEP_4) | instskip(NEXT) | instid1(VALU_DEP_3)
	v_rcp_f32_e32 v10, v8
	v_rcp_f32_e32 v14, v9
	s_delay_alu instid0(VALU_DEP_2) | instskip(NEXT) | instid1(VALU_DEP_1)
	v_rcp_f32_e32 v15, v11
	v_rcp_f32_e32 v16, v13
	v_div_scale_f32 v20, vcc_lo, v2, v0, v2
	v_fma_f32 v18, -v8, v10, 1.0
	s_delay_alu instid0(TRANS32_DEP_3)
	v_fma_f32 v19, -v9, v14, 1.0
	s_waitcnt_depctr 0xfff
	v_fma_f32 v21, -v11, v15, 1.0
	v_fma_f32 v22, -v13, v16, 1.0
	v_fmac_f32_e32 v10, v18, v10
	v_div_scale_f32 v18, s1, v3, v0, v3
	s_delay_alu instid0(VALU_DEP_3) | instskip(SKIP_3) | instid1(VALU_DEP_3)
	v_dual_fmac_f32 v15, v21, v15 :: v_dual_fmac_f32 v16, v22, v16
	v_div_scale_f32 v21, s5, v5, v0, v5
	v_fmac_f32_e32 v14, v19, v14
	v_div_scale_f32 v19, s4, v7, v0, v7
	v_mul_f32_e32 v25, v21, v16
	s_delay_alu instid0(VALU_DEP_2) | instskip(NEXT) | instid1(VALU_DEP_2)
	v_dual_mul_f32 v23, v18, v14 :: v_dual_mul_f32 v24, v19, v15
	v_fma_f32 v29, -v13, v25, v21
	s_delay_alu instid0(VALU_DEP_2) | instskip(NEXT) | instid1(VALU_DEP_3)
	v_fma_f32 v27, -v9, v23, v18
	v_fma_f32 v28, -v11, v24, v19
	s_delay_alu instid0(VALU_DEP_2) | instskip(NEXT) | instid1(VALU_DEP_4)
	v_fmac_f32_e32 v23, v27, v14
	v_dual_mul_f32 v22, v20, v10 :: v_dual_fmac_f32 v25, v29, v16
	s_delay_alu instid0(VALU_DEP_2) | instskip(NEXT) | instid1(VALU_DEP_2)
	v_fma_f32 v9, -v9, v23, v18
	v_fma_f32 v26, -v8, v22, v20
	s_delay_alu instid0(VALU_DEP_1) | instskip(NEXT) | instid1(VALU_DEP_1)
	v_fmac_f32_e32 v22, v26, v10
	v_fma_f32 v8, -v8, v22, v20
	s_delay_alu instid0(VALU_DEP_1) | instskip(SKIP_3) | instid1(VALU_DEP_2)
	v_div_fmas_f32 v8, v8, v10, v22
	s_mov_b32 vcc_lo, s1
	v_div_fmas_f32 v9, v9, v14, v23
	s_mov_b32 vcc_lo, s4
	v_div_fixup_f32 v2, v8, v0, v2
	s_delay_alu instid0(VALU_DEP_2) | instskip(SKIP_1) | instid1(VALU_DEP_3)
	v_div_fixup_f32 v3, v9, v0, v3
	v_fmac_f32_e32 v24, v28, v15
	v_trunc_f32_e32 v14, v2
	s_delay_alu instid0(VALU_DEP_2) | instskip(NEXT) | instid1(VALU_DEP_1)
	v_fma_f32 v11, -v11, v24, v19
	v_div_fmas_f32 v10, v11, v15, v24
	v_fma_f32 v11, -v13, v25, v21
	s_mov_b32 vcc_lo, s5
	s_delay_alu instid0(VALU_DEP_2) | instskip(NEXT) | instid1(VALU_DEP_2)
	v_div_fixup_f32 v7, v10, v0, v7
	v_div_fmas_f32 v10, v11, v16, v25
	s_delay_alu instid0(VALU_DEP_2) | instskip(NEXT) | instid1(VALU_DEP_2)
	v_trunc_f32_e32 v9, v7
	v_div_fixup_f32 v5, v10, v0, v5
	v_trunc_f32_e32 v10, v3
	s_delay_alu instid0(VALU_DEP_3) | instskip(NEXT) | instid1(VALU_DEP_3)
	v_sub_f32_e32 v11, v7, v9
	v_trunc_f32_e32 v8, v5
	s_delay_alu instid0(VALU_DEP_3) | instskip(NEXT) | instid1(VALU_DEP_3)
	v_sub_f32_e32 v13, v3, v10
	v_cmp_ge_f32_e64 s1, |v11|, 0.5
	s_delay_alu instid0(VALU_DEP_3) | instskip(NEXT) | instid1(VALU_DEP_2)
	v_sub_f32_e32 v15, v5, v8
	v_cndmask_b32_e64 v11, 0, 1.0, s1
	s_delay_alu instid0(VALU_DEP_4) | instskip(NEXT) | instid1(VALU_DEP_2)
	v_cmp_ge_f32_e64 s1, |v13|, 0.5
	v_bfi_b32 v7, 0x7fffffff, v11, v7
	s_delay_alu instid0(VALU_DEP_2) | instskip(SKIP_2) | instid1(VALU_DEP_4)
	v_cndmask_b32_e64 v13, 0, 1.0, s1
	v_sub_f32_e32 v11, v2, v14
	v_cmp_ge_f32_e64 s1, |v15|, 0.5
	v_add_f32_e32 v7, v9, v7
	s_delay_alu instid0(VALU_DEP_4) | instskip(NEXT) | instid1(VALU_DEP_3)
	v_bfi_b32 v3, 0x7fffffff, v13, v3
	v_cndmask_b32_e64 v15, 0, 1.0, s1
	v_cmp_ge_f32_e64 s1, |v11|, 0.5
	s_delay_alu instid0(VALU_DEP_3) | instskip(NEXT) | instid1(VALU_DEP_3)
	v_add_f32_e32 v3, v10, v3
	v_bfi_b32 v5, 0x7fffffff, v15, v5
	s_delay_alu instid0(VALU_DEP_3) | instskip(NEXT) | instid1(VALU_DEP_3)
	v_cndmask_b32_e64 v9, 0, 1.0, s1
	v_cvt_i32_f32_e32 v3, v3
	s_delay_alu instid0(VALU_DEP_3) | instskip(NEXT) | instid1(VALU_DEP_3)
	v_add_f32_e32 v5, v8, v5
	v_bfi_b32 v2, 0x7fffffff, v9, v2
	s_delay_alu instid0(VALU_DEP_3) | instskip(NEXT) | instid1(VALU_DEP_3)
	v_and_b32_e32 v3, 0xff, v3
	v_cvt_i32_f32_e32 v5, v5
	s_delay_alu instid0(VALU_DEP_2) | instskip(NEXT) | instid1(VALU_DEP_1)
	v_dual_add_f32 v2, v14, v2 :: v_dual_lshlrev_b32 v3, 8, v3
	v_cvt_i32_f32_e32 v2, v2
	s_delay_alu instid0(VALU_DEP_1) | instskip(SKIP_1) | instid1(VALU_DEP_1)
	v_and_b32_e32 v2, 0xff, v2
	v_cvt_i32_f32_e32 v7, v7
	v_and_b32_e32 v7, 0xff, v7
	s_delay_alu instid0(VALU_DEP_1) | instskip(NEXT) | instid1(VALU_DEP_1)
	v_lshlrev_b32_e32 v7, 16, v7
	v_lshl_or_b32 v5, v5, 24, v7
	s_delay_alu instid0(VALU_DEP_1)
	v_or3_b32 v8, v5, v3, v2
.LBB22_10:
	s_or_b32 exec_lo, exec_lo, s7
	v_and_b32_e32 v2, 7, v60
	s_mov_b32 s1, exec_lo
	ds_store_b32 v1, v8
	v_cmpx_eq_u32_e32 0, v2
	s_cbranch_execz .LBB22_12
; %bb.11:
	s_waitcnt lgkmcnt(1)
	v_dual_add_f32 v1, v4, v6 :: v_dual_add_nc_u32 v2, v62, v60
	ds_store_b64 v2, v[0:1] offset:128
.LBB22_12:
	s_or_b32 exec_lo, exec_lo, s1
.LBB22_13:
	s_delay_alu instid0(SALU_CYCLE_1)
	s_or_b32 exec_lo, exec_lo, s6
	v_and_b32_e32 v18, 1, v60
	s_waitcnt lgkmcnt(0)
	s_barrier
	buffer_gl0_inv
	s_cmp_eq_u64 s[26:27], 0
	v_lshlrev_b32_e32 v69, 2, v18
	s_mov_b32 s36, s38
	ds_load_b128 v[0:3], v12 offset:128
	ds_load_b128 v[4:7], v12 offset:144
	ds_load_2addr_b32 v[24:25], v69 offset1:2
	ds_load_2addr_b32 v[26:27], v69 offset0:4 offset1:6
	ds_load_2addr_b32 v[28:29], v69 offset0:8 offset1:10
	;; [unrolled: 1-line block ×12, first 2 shown]
	ds_load_b128 v[8:11], v12 offset:384
	ds_load_b128 v[12:15], v12 offset:400
	ds_load_2addr_b32 v[50:51], v69 offset0:84 offset1:86
	ds_load_2addr_b32 v[52:53], v69 offset0:88 offset1:90
	;; [unrolled: 1-line block ×3, first 2 shown]
	s_waitcnt lgkmcnt(0)
	s_barrier
	buffer_gl0_inv
	s_cbranch_scc1 .LBB22_15
; %bb.14:
	s_load_b32 s1, s[2:3], 0xd0
	s_mov_b32 s5, 0
	s_waitcnt lgkmcnt(0)
	s_mul_i32 s1, s1, s33
	s_delay_alu instid0(SALU_CYCLE_1) | instskip(NEXT) | instid1(SALU_CYCLE_1)
	s_add_i32 s4, s1, s13
	s_lshl_b64 s[4:5], s[4:5], 2
	s_delay_alu instid0(SALU_CYCLE_1)
	s_add_u32 s4, s26, s4
	s_addc_u32 s5, s27, s5
	s_load_b32 s36, s[4:5], 0x0
.LBB22_15:
	s_mov_b32 s16, 0
	s_mov_b32 s4, 0xfeffffff
	;; [unrolled: 1-line block ×3, first 2 shown]
	s_delay_alu instid0(SALU_CYCLE_1) | instskip(SKIP_2) | instid1(VALU_DEP_2)
	v_dual_mov_b32 v57, s17 :: v_dual_lshlrev_b32 v16, 5, v61
	v_dual_mov_b32 v56, s16 :: v_dual_add_nc_u32 v63, 0x600, v17
	s_mov_b32 s5, s4
	v_add_nc_u32_e32 v17, v16, v60
	v_dual_mov_b32 v59, s5 :: v_dual_lshlrev_b32 v20, 2, v60
	v_mov_b32_e32 v58, s4
	v_mbcnt_lo_u32_b32 v64, -1, 0
	s_delay_alu instid0(VALU_DEP_4)
	v_lshlrev_b32_e32 v19, 1, v17
	s_lshl_b32 s8, s14, 7
	s_waitcnt lgkmcnt(0)
	s_cmp_ge_i32 s8, s36
	scratch_store_b32 off, v19, off         ; 4-byte Folded Spill
	s_cbranch_scc1 .LBB22_44
; %bb.16:
	s_clause 0x2
	scratch_store_b32 off, v17, off offset:28
	scratch_store_b32 off, v62, off offset:24
	;; [unrolled: 1-line block ×3, first 2 shown]
	s_clause 0x1
	s_load_b128 s[4:7], s[2:3], 0x98
	s_load_b64 s[26:27], s[2:3], 0x8c
	s_sub_i32 s1, 0, s42
	s_sub_i32 s10, 0, s39
	s_mul_i32 s1, s1, s40
	s_abs_i32 s11, s12
	s_mul_hi_u32 s1, s40, s1
	s_mul_i32 s10, s10, s9
	s_add_i32 s40, s40, s1
	s_mul_hi_u32 s1, s9, s10
	s_mul_hi_u32 s10, s11, s40
	s_ashr_i32 s53, s33, 31
	s_add_i32 s9, s9, s1
	s_mul_i32 s1, s10, s42
	s_ashr_i32 s17, s12, 31
	s_ashr_i32 s43, s43, 31
	s_sub_i32 s1, s11, s1
	s_abs_i32 s13, s33
	s_xor_b32 s17, s17, s43
	s_add_i32 s43, s10, 1
	s_waitcnt lgkmcnt(0)
	s_mul_i32 s5, s33, s5
	s_mul_hi_u32 s40, s33, s4
	s_mul_i32 s44, s53, s4
	s_add_i32 s40, s40, s5
	s_sub_i32 s5, s1, s42
	s_add_i32 s40, s40, s44
	s_cmp_ge_u32 s1, s42
	v_and_b32_e32 v17, 0x7e, v60
	s_cselect_b32 s10, s43, s10
	s_cselect_b32 s1, s5, s1
	s_add_i32 s5, s10, 1
	s_cmp_ge_u32 s1, s42
	s_mul_i32 s48, s33, s4
	s_cselect_b32 s1, s5, s10
	s_mul_hi_u32 s5, s13, s9
	s_xor_b32 s1, s1, s17
	s_mul_i32 s5, s5, s39
	s_sub_i32 s46, s1, s17
	s_sub_i32 s1, s13, s5
	s_mul_i32 s44, s46, s27
	s_mul_i32 s46, s46, s7
	s_ashr_i32 s45, s44, 31
	s_ashr_i32 s47, s46, 31
	s_sub_i32 s5, s1, s39
	s_load_b64 s[10:11], s[2:3], 0xc8
	s_cmp_ge_u32 s1, s39
	v_add_nc_u32_e32 v17, v16, v17
	s_cselect_b32 s1, s5, s1
	v_bfe_u32 v56, v60, 3, 27
	s_sub_i32 s5, s1, s39
	s_cmp_ge_u32 s1, s39
	v_add_nc_u32_e32 v19, s38, v17
	s_cselect_b32 s1, s5, s1
	s_load_b32 s5, s[2:3], 0xd4
	s_xor_b32 s1, s1, s53
	s_load_b64 s[42:43], s[2:3], 0xa8
	s_sub_i32 s50, s1, s53
	scratch_store_b32 off, v20, off offset:36 ; 4-byte Folded Spill
	s_ashr_i32 s9, s50, 31
	v_and_b32_e32 v72, 12, v20
	v_ashrrev_i32_e32 v20, 31, v19
	v_mul_hi_u32_u24_e32 v57, 20, v56
	v_mul_u32_u24_e32 v56, 20, v56
	v_mul_lo_u32 v23, v16, s6
	s_waitcnt lgkmcnt(0)
	s_mul_i32 s1, s50, s11
	s_mul_hi_u32 s7, s50, s10
	s_mul_i32 s9, s9, s10
	s_add_i32 s49, s7, s1
	s_mul_i32 s7, s15, s41
	s_add_i32 s49, s49, s9
	s_ashr_i32 s13, s7, 31
	s_cmp_lg_u64 s[22:23], 0
	s_mul_i32 s50, s50, s10
	s_cselect_b32 s4, -1, 0
	s_lshl_b32 s10, s5, 7
	s_cmp_lt_i32 s15, s34
	s_mov_b32 s9, s16
	s_cselect_b32 s1, -1, 0
	v_lshlrev_b64 v[19:20], 1, v[19:20]
	s_and_b32 s27, s4, s1
	s_or_b32 s1, s15, 1
	v_mad_u64_u32 v[58:59], null, s33, s42, v[56:57]
	s_cmp_lt_i32 s1, s34
	s_mul_i32 s53, s53, s42
	s_cselect_b32 s5, -1, 0
	v_ashrrev_i32_e32 v73, 31, v23
	s_and_b32 s39, s4, s5
	s_ashr_i32 s4, s38, 31
	v_add_co_u32 v21, s5, v17, s38
	s_add_u32 s17, s18, s44
	v_add_co_ci_u32_e64 v22, null, 0, s4, s5
	s_addc_u32 s52, s19, s45
	s_add_u32 s41, s17, s48
	s_addc_u32 s51, s52, s40
	s_lshl_b64 s[4:5], s[8:9], 1
	v_lshlrev_b64 v[21:22], 1, v[21:22]
	s_add_u32 s9, s22, s4
	s_addc_u32 s11, s23, s5
	s_add_u32 s9, s9, s50
	s_addc_u32 s11, s11, s49
	v_add_co_u32 v70, vcc_lo, s9, v19
	s_mul_i32 s38, s33, s43
	v_add_co_ci_u32_e32 v71, vcc_lo, s11, v20, vcc_lo
	v_add3_u32 v57, s38, s53, v59
	v_add_co_u32 v19, vcc_lo, s9, v21
	v_add_co_ci_u32_e32 v20, vcc_lo, s11, v22, vcc_lo
	v_add_co_u32 v59, vcc_lo, v58, v72
	s_delay_alu instid0(VALU_DEP_4)
	v_add_co_ci_u32_e32 v75, vcc_lo, 0, v57, vcc_lo
	v_add_co_u32 v21, vcc_lo, v58, v23
	v_add_co_ci_u32_e32 v22, vcc_lo, v57, v73, vcc_lo
	v_add_nc_u32_e32 v76, s6, v23
	v_add_co_u32 v23, vcc_lo, v59, v23
	v_add_co_ci_u32_e32 v56, vcc_lo, v75, v73, vcc_lo
	v_add_co_u32 v72, vcc_lo, v58, s46
	v_add_co_ci_u32_e32 v73, vcc_lo, s47, v57, vcc_lo
	v_ashrrev_i32_e32 v81, 31, v76
	v_add_co_u32 v74, vcc_lo, v59, s46
	v_add_nc_u32_e32 v77, s6, v76
	v_add_co_ci_u32_e32 v75, vcc_lo, s47, v75, vcc_lo
	v_add_co_u32 v57, vcc_lo, v72, v76
	v_add_co_ci_u32_e32 v58, vcc_lo, v73, v81, vcc_lo
	s_delay_alu instid0(VALU_DEP_4)
	v_ashrrev_i32_e32 v83, 31, v77
	v_add_co_u32 v59, vcc_lo, v74, v76
	v_add_nc_u32_e32 v78, s6, v77
	v_add_co_ci_u32_e32 v90, vcc_lo, v75, v81, vcc_lo
	v_add_co_u32 v94, vcc_lo, v72, v77
	v_add_co_ci_u32_e32 v95, vcc_lo, v73, v83, vcc_lo
	s_delay_alu instid0(VALU_DEP_4)
	;; [unrolled: 7-line block ×3, first 2 shown]
	v_ashrrev_i32_e32 v85, 31, v79
	v_add_co_u32 v102, vcc_lo, v74, v78
	v_dual_add_f32 v1, v1, v1 :: v_dual_add_nc_u32 v80, s6, v79
	v_add_co_ci_u32_e32 v103, vcc_lo, v75, v84, vcc_lo
	v_add_co_u32 v104, vcc_lo, v72, v79
	v_add_co_ci_u32_e32 v105, vcc_lo, v73, v85, vcc_lo
	v_dual_add_f32 v7, v7, v7 :: v_dual_add_nc_u32 v76, 31, v16
	v_ashrrev_i32_e32 v86, 31, v80
	v_add_co_u32 v106, vcc_lo, v74, v79
	v_dual_add_f32 v3, v3, v3 :: v_dual_add_nc_u32 v82, s6, v80
	v_add_co_ci_u32_e32 v107, vcc_lo, v75, v85, vcc_lo
	v_add_co_u32 v108, vcc_lo, v72, v80
	v_mul_lo_u32 v76, s6, v76
	v_add_co_ci_u32_e32 v109, vcc_lo, v73, v86, vcc_lo
	v_add_nc_u32_e32 v77, 30, v16
	v_ashrrev_i32_e32 v87, 31, v82
	v_add_co_u32 v110, vcc_lo, v74, v80
	v_add_co_ci_u32_e32 v111, vcc_lo, v75, v86, vcc_lo
	v_add_co_u32 v114, vcc_lo, v72, v82
	v_mul_lo_u32 v77, s6, v77
	v_add_co_ci_u32_e32 v115, vcc_lo, v73, v87, vcc_lo
	v_add_co_u32 v116, vcc_lo, v74, v82
	v_ashrrev_i32_e32 v78, 31, v76
	v_add_co_ci_u32_e32 v117, vcc_lo, v75, v87, vcc_lo
	v_add_co_u32 v118, vcc_lo, v74, v76
	s_delay_alu instid0(VALU_DEP_3)
	v_add_co_ci_u32_e32 v119, vcc_lo, v75, v78, vcc_lo
	v_add_co_u32 v120, vcc_lo, v72, v76
	v_ashrrev_i32_e32 v76, 31, v77
	v_add_co_ci_u32_e32 v121, vcc_lo, v73, v78, vcc_lo
	v_add_co_u32 v122, vcc_lo, v74, v77
	v_add_nc_u32_e32 v84, 29, v16
	s_delay_alu instid0(VALU_DEP_4) | instskip(SKIP_2) | instid1(VALU_DEP_4)
	v_add_co_ci_u32_e32 v123, vcc_lo, v75, v76, vcc_lo
	v_add_co_u32 v124, vcc_lo, v72, v77
	v_add_co_ci_u32_e32 v125, vcc_lo, v73, v76, vcc_lo
	v_mul_lo_u32 v76, s6, v84
	v_dual_add_f32 v11, v11, v11 :: v_dual_add_nc_u32 v78, 28, v16
	v_add_nc_u32_e32 v81, 27, v16
	v_add_nc_u32_e32 v85, 26, v16
	v_cmp_eq_u32_e64 s1, 0, v18
	s_delay_alu instid0(VALU_DEP_4)
	v_mul_lo_u32 v78, s6, v78
	v_dual_add_f32 v5, v5, v5 :: v_dual_add_nc_u32 v18, s6, v82
	v_ashrrev_i32_e32 v148, 31, v76
	v_add_co_u32 v150, vcc_lo, v74, v76
	v_mul_lo_u32 v81, s6, v81
	v_mul_lo_u32 v77, s6, v85
	s_delay_alu instid0(VALU_DEP_4)
	v_add_co_ci_u32_e32 v151, vcc_lo, v75, v148, vcc_lo
	v_ashrrev_i32_e32 v85, 31, v78
	v_add_co_u32 v152, vcc_lo, v72, v76
	v_add_co_ci_u32_e32 v148, vcc_lo, v73, v148, vcc_lo
	v_add_co_u32 v153, vcc_lo, v74, v78
	v_add_nc_u32_e32 v79, s6, v18
	v_add_nc_u32_e32 v88, 25, v16
	v_add_co_ci_u32_e32 v154, vcc_lo, v75, v85, vcc_lo
	v_ashrrev_i32_e32 v87, 31, v81
	v_add_co_u32 v155, vcc_lo, v72, v78
	v_add_co_ci_u32_e32 v156, vcc_lo, v73, v85, vcc_lo
	v_add_co_u32 v157, vcc_lo, v74, v81
	v_dual_add_f32 v9, v9, v9 :: v_dual_add_nc_u32 v80, s6, v79
	v_mul_lo_u32 v88, s6, v88
	v_add_nc_u32_e32 v89, 24, v16
	v_add_co_ci_u32_e32 v158, vcc_lo, v75, v87, vcc_lo
	v_ashrrev_i32_e32 v93, 31, v77
	v_add_co_u32 v159, vcc_lo, v72, v81
	v_add_co_ci_u32_e32 v160, vcc_lo, v73, v87, vcc_lo
	v_dual_add_f32 v13, v13, v13 :: v_dual_add_nc_u32 v82, s6, v80
	v_add_co_u32 v161, vcc_lo, v74, v77
	v_mul_lo_u32 v89, s6, v89
	v_add_nc_u32_e32 v92, 23, v16
	v_add_co_ci_u32_e32 v162, vcc_lo, v75, v93, vcc_lo
	v_ashrrev_i32_e32 v129, 31, v88
	v_add_co_u32 v163, vcc_lo, v72, v77
	v_add_nc_u32_e32 v83, s6, v82
	v_add_co_ci_u32_e32 v164, vcc_lo, v73, v93, vcc_lo
	v_add_co_u32 v165, vcc_lo, v74, v88
	v_mul_lo_u32 v92, s6, v92
	v_add_nc_u32_e32 v99, 22, v16
	v_add_co_ci_u32_e32 v166, vcc_lo, v75, v129, vcc_lo
	v_ashrrev_i32_e32 v130, 31, v89
	v_add_co_u32 v167, vcc_lo, v72, v88
	v_add_nc_u32_e32 v86, s6, v83
	v_add_co_ci_u32_e32 v168, vcc_lo, v73, v129, vcc_lo
	v_add_co_u32 v169, vcc_lo, v74, v89
	v_mul_lo_u32 v99, s6, v99
	v_add_nc_u32_e32 v112, 21, v16
	v_add_co_ci_u32_e32 v170, vcc_lo, v75, v130, vcc_lo
	v_add_nc_u32_e32 v84, s6, v86
	v_ashrrev_i32_e32 v131, 31, v92
	v_add_co_u32 v171, vcc_lo, v72, v89
	v_add_co_ci_u32_e32 v172, vcc_lo, v73, v130, vcc_lo
	v_add_co_u32 v173, vcc_lo, v74, v92
	v_mul_lo_u32 v112, s6, v112
	v_add_nc_u32_e32 v91, s6, v84
	v_add_nc_u32_e32 v113, 20, v16
	v_add_co_ci_u32_e32 v174, vcc_lo, v75, v131, vcc_lo
	v_ashrrev_i32_e32 v133, 31, v99
	v_add_co_u32 v175, vcc_lo, v72, v92
	v_add_co_ci_u32_e32 v176, vcc_lo, v73, v131, vcc_lo
	v_add_co_u32 v177, vcc_lo, v74, v99
	v_add_nc_u32_e32 v98, s6, v91
	v_mul_lo_u32 v113, s6, v113
	v_add_nc_u32_e32 v127, 19, v16
	v_add_co_ci_u32_e32 v178, vcc_lo, v75, v133, vcc_lo
	v_ashrrev_i32_e32 v134, 31, v112
	v_add_co_u32 v179, vcc_lo, v72, v99
	v_add_co_ci_u32_e32 v180, vcc_lo, v73, v133, vcc_lo
	v_add_nc_u32_e32 v126, s6, v98
	v_add_co_u32 v181, vcc_lo, v74, v112
	v_mul_lo_u32 v127, s6, v127
	v_add_co_ci_u32_e32 v182, vcc_lo, v75, v134, vcc_lo
	v_ashrrev_i32_e32 v135, 31, v113
	v_add_co_u32 v183, vcc_lo, v72, v112
	v_add_nc_u32_e32 v128, s6, v126
	v_add_co_ci_u32_e32 v184, vcc_lo, v73, v134, vcc_lo
	v_add_co_u32 v185, vcc_lo, v74, v113
	v_add_co_ci_u32_e32 v186, vcc_lo, v75, v135, vcc_lo
	v_ashrrev_i32_e32 v136, 31, v127
	v_add_co_u32 v187, vcc_lo, v72, v113
	v_add_nc_u32_e32 v132, s6, v128
	v_add_co_ci_u32_e32 v188, vcc_lo, v73, v135, vcc_lo
	v_add_co_u32 v189, vcc_lo, v74, v127
	v_add_co_ci_u32_e32 v190, vcc_lo, v75, v136, vcc_lo
	s_delay_alu instid0(VALU_DEP_4) | instskip(SKIP_3) | instid1(VALU_DEP_4)
	v_ashrrev_i32_e32 v137, 31, v132
	v_add_co_u32 v191, vcc_lo, v72, v127
	v_add_co_ci_u32_e32 v192, vcc_lo, v73, v136, vcc_lo
	v_add_co_u32 v193, vcc_lo, v74, v132
	v_add_co_ci_u32_e32 v194, vcc_lo, v75, v137, vcc_lo
	v_ashrrev_i32_e32 v138, 31, v128
	v_add_co_u32 v195, vcc_lo, v72, v132
	v_add_co_ci_u32_e32 v196, vcc_lo, v73, v137, vcc_lo
	v_add_co_u32 v197, vcc_lo, v74, v128
	s_delay_alu instid0(VALU_DEP_4) | instskip(SKIP_4) | instid1(VALU_DEP_4)
	v_add_co_ci_u32_e32 v198, vcc_lo, v75, v138, vcc_lo
	v_ashrrev_i32_e32 v139, 31, v126
	v_add_co_u32 v199, vcc_lo, v72, v128
	v_add_co_ci_u32_e32 v200, vcc_lo, v73, v138, vcc_lo
	v_add_co_u32 v201, vcc_lo, v74, v126
	v_add_co_ci_u32_e32 v202, vcc_lo, v75, v139, vcc_lo
	v_ashrrev_i32_e32 v140, 31, v98
	v_add_co_u32 v203, vcc_lo, v72, v126
	v_add_co_ci_u32_e32 v204, vcc_lo, v73, v139, vcc_lo
	v_add_co_u32 v205, vcc_lo, v74, v98
	s_delay_alu instid0(VALU_DEP_4) | instskip(SKIP_4) | instid1(VALU_DEP_4)
	v_add_co_ci_u32_e32 v206, vcc_lo, v75, v140, vcc_lo
	;; [unrolled: 11-line block ×4, first 2 shown]
	v_ashrrev_i32_e32 v145, 31, v82
	v_add_co_u32 v223, vcc_lo, v72, v83
	v_add_co_ci_u32_e32 v224, vcc_lo, v73, v144, vcc_lo
	v_add_co_u32 v225, vcc_lo, v74, v82
	v_add_co_ci_u32_e32 v226, vcc_lo, v75, v145, vcc_lo
	v_ashrrev_i32_e32 v146, 31, v80
	v_add_co_u32 v227, vcc_lo, v72, v82
	v_add_co_ci_u32_e32 v228, vcc_lo, v73, v145, vcc_lo
	v_add_co_u32 v229, vcc_lo, v74, v80
	s_delay_alu instid0(VALU_DEP_4)
	v_add_co_ci_u32_e32 v230, vcc_lo, v75, v146, vcc_lo
	v_ashrrev_i32_e32 v147, 31, v79
	v_add_co_u32 v231, vcc_lo, v72, v80
	v_add_co_ci_u32_e32 v232, vcc_lo, v73, v146, vcc_lo
	v_and_b32_e32 v76, 30, v64
	v_add_co_u32 v233, vcc_lo, v74, v79
	v_add_co_ci_u32_e32 v234, vcc_lo, v75, v147, vcc_lo
	v_ashrrev_i32_e32 v149, 31, v18
	v_add_co_u32 v235, vcc_lo, v72, v79
	v_add_nc_u32_e32 v76, 2, v76
	v_xor_b32_e32 v77, 1, v64
	v_add_co_ci_u32_e32 v236, vcc_lo, v73, v147, vcc_lo
	v_add_co_u32 v237, vcc_lo, v74, v18
	v_add_co_ci_u32_e32 v238, vcc_lo, v75, v149, vcc_lo
	s_delay_alu instid0(VALU_DEP_4)
	v_cmp_lt_i32_e32 vcc_lo, v77, v76
	v_xor_b32_e32 v75, 8, v64
	v_mul_lo_u32 v112, v17, s26
	v_xor_b32_e32 v76, 16, v64
	s_mov_b32 s11, s16
	v_cndmask_b32_e32 v74, v64, v77, vcc_lo
	v_add_co_u32 v18, vcc_lo, v72, v18
	v_add_co_ci_u32_e32 v239, vcc_lo, v73, v149, vcc_lo
	v_xor_b32_e32 v73, 2, v64
	s_delay_alu instid0(VALU_DEP_4)
	v_lshlrev_b32_e32 v72, 2, v74
	v_xor_b32_e32 v74, 4, v64
	v_add_nc_u32_e32 v80, s26, v112
	v_add_co_u32 v98, s16, s48, v69
	v_cmp_gt_i32_e32 vcc_lo, 32, v73
	v_add_co_ci_u32_e64 v99, null, s40, 0, s16
	s_delay_alu instid0(VALU_DEP_4)
	v_ashrrev_i32_e32 v81, 31, v80
	v_lshlrev_b32_e32 v77, 1, v16
	v_cndmask_b32_e32 v73, v64, v73, vcc_lo
	v_cmp_gt_i32_e32 vcc_lo, 32, v74
	v_lshlrev_b32_e32 v16, 1, v17
	s_mul_i32 s9, s8, s6
	s_mul_i32 s38, s8, s26
	v_dual_cndmask_b32 v74, v64, v74 :: v_dual_lshlrev_b32 v61, 2, v73
	v_cmp_gt_i32_e32 vcc_lo, 32, v75
	s_mul_i32 s6, s10, s6
	s_clause 0x2
	scratch_store_b32 off, v63, off offset:32
	scratch_store_b32 off, v61, off offset:4
	;; [unrolled: 1-line block ×3, first 2 shown]
	v_cndmask_b32_e32 v75, v64, v75, vcc_lo
	v_cmp_gt_i32_e32 vcc_lo, 32, v76
	v_dual_cndmask_b32 v76, v64, v76 :: v_dual_lshlrev_b32 v61, 2, v74
	v_add_co_u32 v78, vcc_lo, v98, v80
	v_add_co_ci_u32_e32 v79, vcc_lo, v99, v81, vcc_lo
	scratch_store_b32 off, v61, off offset:8 ; 4-byte Folded Spill
	v_add_co_u32 v78, vcc_lo, s17, v78
	s_lshl_b64 s[16:17], s[10:11], 1
	s_add_u32 s4, s50, s4
	s_addc_u32 s5, s49, s5
	s_add_u32 s4, s22, s4
	s_addc_u32 s5, s23, s5
	v_add_co_u32 v16, s4, s4, v16
	v_add_co_ci_u32_e32 v79, vcc_lo, s52, v79, vcc_lo
	v_add_co_ci_u32_e64 v17, null, s5, 0, s4
	v_add_co_u32 v80, vcc_lo, s41, v80
	v_add_co_ci_u32_e32 v81, vcc_lo, s51, v81, vcc_lo
	v_add_co_u32 v82, vcc_lo, v16, 2
	s_delay_alu instid0(VALU_DEP_4)
	v_add_co_ci_u32_e32 v83, vcc_lo, 0, v17, vcc_lo
	v_add_co_u32 v84, vcc_lo, v19, 2
	s_add_u32 s4, s20, s46
	v_add_co_ci_u32_e32 v85, vcc_lo, 0, v20, vcc_lo
	s_addc_u32 s5, s21, s47
	v_add_co_u32 v16, vcc_lo, s4, v23
	v_add_co_ci_u32_e32 v17, vcc_lo, s5, v56, vcc_lo
	v_add_co_u32 v86, vcc_lo, s4, v21
	v_add_co_ci_u32_e32 v87, vcc_lo, s5, v22, vcc_lo
	s_delay_alu instid0(VALU_DEP_4) | instskip(NEXT) | instid1(VALU_DEP_4)
	v_add_co_u32 v88, vcc_lo, v16, 4
	v_add_co_ci_u32_e32 v89, vcc_lo, 0, v17, vcc_lo
	v_add_co_u32 v16, vcc_lo, v59, s20
	v_add_co_ci_u32_e32 v17, vcc_lo, s21, v90, vcc_lo
	;; [unrolled: 2-line block ×3, first 2 shown]
	s_delay_alu instid0(VALU_DEP_4) | instskip(NEXT) | instid1(VALU_DEP_4)
	v_add_co_u32 v92, vcc_lo, v16, 4
	v_add_co_ci_u32_e32 v93, vcc_lo, 0, v17, vcc_lo
	v_add_co_u32 v94, vcc_lo, s20, v94
	v_add_co_ci_u32_e32 v95, vcc_lo, s21, v95, vcc_lo
	v_add_co_u32 v16, vcc_lo, v98, s44
	v_add_co_ci_u32_e32 v17, vcc_lo, s45, v99, vcc_lo
	v_ashrrev_i32_e32 v19, 31, v112
	v_add_co_u32 v20, vcc_lo, v96, s20
	v_add_co_ci_u32_e32 v21, vcc_lo, s21, v97, vcc_lo
	v_add_co_u32 v16, vcc_lo, v16, v112
	s_delay_alu instid0(VALU_DEP_4) | instskip(NEXT) | instid1(VALU_DEP_4)
	v_add_co_ci_u32_e32 v17, vcc_lo, v17, v19, vcc_lo
	v_add_co_u32 v96, vcc_lo, v20, 4
	s_delay_alu instid0(VALU_DEP_4) | instskip(NEXT) | instid1(VALU_DEP_4)
	v_add_co_ci_u32_e32 v97, vcc_lo, 0, v21, vcc_lo
	v_add_co_u32 v98, vcc_lo, s18, v16
	s_delay_alu instid0(VALU_DEP_4) | instskip(SKIP_4) | instid1(VALU_DEP_4)
	v_add_co_ci_u32_e32 v99, vcc_lo, s19, v17, vcc_lo
	v_add_co_u32 v16, vcc_lo, v102, s20
	v_add_co_ci_u32_e32 v17, vcc_lo, s21, v103, vcc_lo
	v_add_co_u32 v100, vcc_lo, s20, v100
	;; [unrolled: 2-line block ×3, first 2 shown]
	s_delay_alu instid0(VALU_DEP_4) | instskip(SKIP_4) | instid1(VALU_DEP_4)
	v_add_co_ci_u32_e32 v103, vcc_lo, 0, v17, vcc_lo
	v_add_co_u32 v16, vcc_lo, v106, s20
	v_add_co_ci_u32_e32 v17, vcc_lo, s21, v107, vcc_lo
	v_add_co_u32 v104, vcc_lo, s20, v104
	;; [unrolled: 2-line block ×3, first 2 shown]
	s_delay_alu instid0(VALU_DEP_4)
	v_add_co_ci_u32_e32 v107, vcc_lo, 0, v17, vcc_lo
	v_add_co_u32 v108, vcc_lo, s20, v108
	v_add_co_ci_u32_e32 v109, vcc_lo, s21, v109, vcc_lo
	s_add_u32 s4, s48, s44
	s_addc_u32 s5, s40, s45
	v_add_co_u32 v16, vcc_lo, v110, s20
	s_add_u32 s4, s18, s4
	v_add_co_ci_u32_e32 v17, vcc_lo, s21, v111, vcc_lo
	s_addc_u32 s5, s19, s5
	v_add_co_u32 v110, vcc_lo, s4, v112
	v_add_co_ci_u32_e32 v111, vcc_lo, s5, v19, vcc_lo
	v_add_co_u32 v112, vcc_lo, v16, 4
	v_add_co_ci_u32_e32 v113, vcc_lo, 0, v17, vcc_lo
	;; [unrolled: 2-line block ×5, first 2 shown]
	s_delay_alu instid0(VALU_DEP_4) | instskip(NEXT) | instid1(VALU_DEP_4)
	v_add_co_u32 v116, vcc_lo, v16, 4
	v_add_co_ci_u32_e32 v117, vcc_lo, 0, v17, vcc_lo
	s_delay_alu instid0(VALU_DEP_4) | instskip(NEXT) | instid1(VALU_DEP_4)
	v_add_co_u32 v118, vcc_lo, v19, 4
	v_add_co_ci_u32_e32 v119, vcc_lo, 0, v20, vcc_lo
	v_add_co_u32 v16, vcc_lo, v122, s20
	v_add_co_ci_u32_e32 v17, vcc_lo, s21, v123, vcc_lo
	v_add_co_u32 v120, vcc_lo, s20, v120
	v_add_co_ci_u32_e32 v121, vcc_lo, s21, v121, vcc_lo
	s_delay_alu instid0(VALU_DEP_4) | instskip(NEXT) | instid1(VALU_DEP_4)
	v_add_co_u32 v122, vcc_lo, v16, 4
	v_add_co_ci_u32_e32 v123, vcc_lo, 0, v17, vcc_lo
	v_add_co_u32 v16, vcc_lo, v150, s20
	v_add_co_ci_u32_e32 v17, vcc_lo, s21, v151, vcc_lo
	;; [unrolled: 7-line block ×24, first 2 shown]
	v_add_co_u32 v212, vcc_lo, s20, v235
	v_add_co_ci_u32_e32 v213, vcc_lo, s21, v236, vcc_lo
	s_delay_alu instid0(VALU_DEP_4) | instskip(NEXT) | instid1(VALU_DEP_4)
	v_add_co_u32 v214, vcc_lo, v16, 4
	v_add_co_ci_u32_e32 v215, vcc_lo, 0, v17, vcc_lo
	v_add_co_u32 v216, vcc_lo, s20, v18
	ds_load_b128 v[16:19], v63
	v_lshlrev_b32_e32 v61, 2, v75
	v_lshlrev_b32_e32 v76, 2, v76
	v_add_co_ci_u32_e32 v217, vcc_lo, s21, v239, vcc_lo
	v_dual_mov_b32 v56, 0 :: v_dual_mov_b32 v57, 0
	v_or_b32_e32 v218, 8, v69
	v_or_b32_e32 v219, 16, v69
	;; [unrolled: 1-line block ×3, first 2 shown]
	v_dual_add_f32 v222, v15, v15 :: v_dual_and_b32 v221, 4, v60
	v_dual_mov_b32 v20, 0xfeffffff :: v_dual_mov_b32 v15, 0xfeffffff
	s_mul_i32 s5, s10, s26
	s_mov_b32 s11, 0xbbbac73d
	scratch_store_b32 off, v61, off offset:12 ; 4-byte Folded Spill
                                        ; implicit-def: $vgpr223
.LBB22_17:                              ; =>This Inner Loop Header: Depth=1
	v_add_co_u32 v224, vcc_lo, v110, s38
	v_add_co_ci_u32_e32 v225, vcc_lo, 0, v111, vcc_lo
	s_clause 0x7
	global_load_b32 v22, v[224:225], off
	global_load_u16 v21, v[224:225], off offset:4
	global_load_b32 v23, v[224:225], off offset:22
	global_load_u16 v226, v[224:225], off offset:26
	global_load_b32 v58, v[224:225], off offset:44
	;; [unrolled: 2-line block ×3, first 2 shown]
	global_load_u16 v228, v[224:225], off offset:70
	v_add_co_u32 v224, vcc_lo, v98, s38
	v_add_co_ci_u32_e32 v225, vcc_lo, 0, v99, vcc_lo
	s_clause 0x7
	global_load_b32 v229, v[224:225], off offset:6
	global_load_b32 v230, v[224:225], off offset:14
	global_load_b32 v231, v[224:225], off offset:28
	global_load_b32 v232, v[224:225], off offset:36
	global_load_b32 v233, v[224:225], off offset:50
	global_load_b32 v240, v[224:225], off offset:58
	global_load_b32 v234, v[224:225], off offset:72
	global_load_b32 v224, v[224:225], off offset:80
	s_waitcnt vmcnt(14)
	v_perm_b32 v21, v22, v21, 0x1000706
	s_waitcnt vmcnt(12)
	v_perm_b32 v226, v23, v226, 0x1000706
	s_waitcnt vmcnt(10)
	v_perm_b32 v227, v58, v227, 0x1000706
	v_ashrrev_i32_e32 v225, v69, v21
	v_ashrrev_i32_e32 v241, v219, v21
	s_waitcnt vmcnt(7)
	v_and_b32_e32 v237, 0xf0f0f0f, v229
	s_waitcnt vmcnt(6)
	v_and_b32_e32 v239, 0xf0f0f0f, v230
	v_lshrrev_b32_e32 v229, 4, v229
	v_lshlrev_b32_e32 v235, 18, v225
	v_lshlrev_b32_e32 v236, 25, v225
	v_ashrrev_i32_e32 v243, v69, v226
	s_waitcnt vmcnt(5)
	v_and_b32_e32 v244, 0xf0f0f0f, v231
	v_and_b32_e32 v229, 0xf0f0f0f, v229
	;; [unrolled: 1-line block ×4, first 2 shown]
	v_ashrrev_i32_e32 v245, v218, v226
	s_waitcnt vmcnt(4)
	v_and_b32_e32 v246, 0xf0f0f0f, v232
	v_ashrrev_i32_e32 v247, v219, v226
	v_lshrrev_b32_e32 v231, 4, v231
	v_or3_b32 v235, v236, v237, v235
	v_ashrrev_i32_e32 v236, v218, v21
	v_ashrrev_i32_e32 v21, v220, v21
	;; [unrolled: 1-line block ×3, first 2 shown]
	v_and_b32_e32 v231, 0xf0f0f0f, v231
	v_ashrrev_i32_e32 v249, v69, v227
	v_lshlrev_b32_e32 v237, 18, v236
	v_lshlrev_b32_e32 v238, 25, v236
	;; [unrolled: 1-line block ×4, first 2 shown]
	s_waitcnt vmcnt(3)
	v_and_b32_e32 v250, 0xf0f0f0f, v233
	v_and_b32_e32 v237, 0x100000, v237
	;; [unrolled: 1-line block ×5, first 2 shown]
	v_ashrrev_i32_e32 v251, v218, v227
	s_waitcnt vmcnt(2)
	v_and_b32_e32 v252, 0xf0f0f0f, v240
	v_or3_b32 v237, v238, v239, v237
	v_lshlrev_b32_e32 v238, 18, v241
	v_lshlrev_b32_e32 v239, 25, v241
	v_ashrrev_i32_e32 v253, v219, v227
	v_lshrrev_b32_e32 v233, 4, v233
	v_ashrrev_i32_e32 v227, v220, v227
	v_and_b32_e32 v238, 0x100000, v238
	v_and_b32_e32 v239, 0x10000000, v239
	v_perm_b32 v228, v59, v228, 0x1000706
	v_and_b32_e32 v233, 0xf0f0f0f, v233
	s_delay_alu instid0(VALU_DEP_3)
	v_or3_b32 v229, v239, v229, v238
	v_lshlrev_b32_e32 v238, 4, v21
	v_lshlrev_b32_e32 v239, 18, v21
	v_ashrrev_i32_e32 v62, v69, v228
	v_ashrrev_i32_e32 v65, v218, v228
	v_ashrrev_i32_e32 v61, v219, v228
	v_and_b32_e32 v238, 16, v238
	v_and_b32_e32 v239, 0x100000, v239
	v_ashrrev_i32_e32 v68, v220, v228
	v_lshlrev_b32_e32 v21, 11, v21
	s_delay_alu instid0(VALU_DEP_3) | instskip(SKIP_4) | instid1(VALU_DEP_4)
	v_or3_b32 v242, v239, v242, v238
	v_lshlrev_b32_e32 v238, 18, v243
	v_lshlrev_b32_e32 v239, 25, v243
	v_lshlrev_b32_e32 v228, 4, v68
	v_and_b32_e32 v21, 0x1000, v21
	v_and_b32_e32 v238, 0x100000, v238
	s_delay_alu instid0(VALU_DEP_4) | instskip(NEXT) | instid1(VALU_DEP_4)
	v_and_b32_e32 v239, 0x10000000, v239
	v_and_b32_e32 v228, 16, v228
	s_delay_alu instid0(VALU_DEP_2) | instskip(SKIP_2) | instid1(VALU_DEP_2)
	v_or3_b32 v244, v239, v244, v238
	v_lshlrev_b32_e32 v238, 18, v245
	v_lshlrev_b32_e32 v239, 25, v245
	v_and_b32_e32 v238, 0x100000, v238
	s_delay_alu instid0(VALU_DEP_2) | instskip(NEXT) | instid1(VALU_DEP_1)
	v_and_b32_e32 v239, 0x10000000, v239
	v_or3_b32 v246, v239, v246, v238
	v_lshlrev_b32_e32 v238, 18, v247
	v_lshlrev_b32_e32 v239, 25, v247
	s_delay_alu instid0(VALU_DEP_2) | instskip(NEXT) | instid1(VALU_DEP_2)
	v_and_b32_e32 v238, 0x100000, v238
	v_and_b32_e32 v239, 0x10000000, v239
	s_delay_alu instid0(VALU_DEP_1) | instskip(SKIP_2) | instid1(VALU_DEP_2)
	v_or3_b32 v231, v239, v231, v238
	v_lshlrev_b32_e32 v238, 4, v226
	v_lshlrev_b32_e32 v239, 18, v226
	v_and_b32_e32 v238, 16, v238
	s_delay_alu instid0(VALU_DEP_2) | instskip(NEXT) | instid1(VALU_DEP_1)
	v_and_b32_e32 v239, 0x100000, v239
	v_or3_b32 v248, v239, v248, v238
	v_lshlrev_b32_e32 v238, 18, v249
	v_lshlrev_b32_e32 v239, 25, v249
	s_delay_alu instid0(VALU_DEP_2) | instskip(NEXT) | instid1(VALU_DEP_2)
	v_and_b32_e32 v238, 0x100000, v238
	v_and_b32_e32 v239, 0x10000000, v239
	s_delay_alu instid0(VALU_DEP_1) | instskip(SKIP_2) | instid1(VALU_DEP_2)
	v_or3_b32 v250, v239, v250, v238
	v_lshlrev_b32_e32 v238, 18, v251
	v_lshlrev_b32_e32 v239, 25, v251
	v_and_b32_e32 v238, 0x100000, v238
	s_delay_alu instid0(VALU_DEP_2) | instskip(NEXT) | instid1(VALU_DEP_1)
	v_and_b32_e32 v239, 0x10000000, v239
	v_or3_b32 v252, v239, v252, v238
	v_lshlrev_b32_e32 v238, 18, v253
	v_lshlrev_b32_e32 v239, 25, v253
	s_delay_alu instid0(VALU_DEP_2) | instskip(NEXT) | instid1(VALU_DEP_2)
	v_and_b32_e32 v238, 0x100000, v238
	v_and_b32_e32 v239, 0x10000000, v239
	s_delay_alu instid0(VALU_DEP_1) | instskip(SKIP_3) | instid1(VALU_DEP_3)
	v_or3_b32 v254, v239, v233, v238
	v_lshlrev_b32_e32 v233, 4, v227
	v_lshlrev_b32_e32 v238, 18, v227
	;; [unrolled: 1-line block ×3, first 2 shown]
	v_and_b32_e32 v233, 16, v233
	s_delay_alu instid0(VALU_DEP_3) | instskip(NEXT) | instid1(VALU_DEP_3)
	v_and_b32_e32 v238, 0x100000, v238
	v_and_b32_e32 v239, 0x10000000, v239
	s_delay_alu instid0(VALU_DEP_1) | instskip(SKIP_4) | instid1(VALU_DEP_3)
	v_or3_b32 v255, v238, v239, v233
	v_lshlrev_b32_e32 v233, 18, v62
	v_lshlrev_b32_e32 v238, 25, v62
	s_waitcnt vmcnt(1)
	v_and_b32_e32 v239, 0xf0f0f0f, v234
	v_and_b32_e32 v233, 0x100000, v233
	s_delay_alu instid0(VALU_DEP_3) | instskip(NEXT) | instid1(VALU_DEP_1)
	v_and_b32_e32 v238, 0x10000000, v238
	v_or3_b32 v66, v238, v239, v233
	v_lshlrev_b32_e32 v233, 18, v65
	v_lshlrev_b32_e32 v238, 25, v65
	s_waitcnt vmcnt(0)
	v_and_b32_e32 v239, 0xf0f0f0f, v224
	s_delay_alu instid0(VALU_DEP_3) | instskip(NEXT) | instid1(VALU_DEP_3)
	v_and_b32_e32 v233, 0x100000, v233
	v_and_b32_e32 v238, 0x10000000, v238
	s_delay_alu instid0(VALU_DEP_1) | instskip(SKIP_3) | instid1(VALU_DEP_3)
	v_or3_b32 v63, v238, v239, v233
	v_lshrrev_b32_e32 v233, 4, v234
	v_lshlrev_b32_e32 v234, 18, v61
	v_lshlrev_b32_e32 v238, 25, v61
	v_and_b32_e32 v233, 0xf0f0f0f, v233
	s_delay_alu instid0(VALU_DEP_3) | instskip(NEXT) | instid1(VALU_DEP_3)
	v_and_b32_e32 v234, 0x100000, v234
	v_and_b32_e32 v238, 0x10000000, v238
	s_delay_alu instid0(VALU_DEP_1) | instskip(SKIP_2) | instid1(VALU_DEP_2)
	v_or3_b32 v60, v238, v233, v234
	v_lshlrev_b32_e32 v233, 18, v68
	v_lshlrev_b32_e32 v234, 25, v68
	v_and_b32_e32 v233, 0x100000, v233
	s_delay_alu instid0(VALU_DEP_2) | instskip(NEXT) | instid1(VALU_DEP_1)
	v_and_b32_e32 v234, 0x10000000, v234
	v_or3_b32 v64, v233, v234, v228
	v_lshlrev_b32_e32 v228, 4, v225
	v_lshlrev_b32_e32 v225, 11, v225
	s_delay_alu instid0(VALU_DEP_2) | instskip(NEXT) | instid1(VALU_DEP_2)
	v_and_b32_e32 v228, 16, v228
	v_and_b32_e32 v225, 0x1000, v225
	s_delay_alu instid0(VALU_DEP_1) | instskip(SKIP_2) | instid1(VALU_DEP_2)
	v_or3_b32 v238, v235, v228, v225
	v_lshlrev_b32_e32 v225, 4, v236
	v_lshlrev_b32_e32 v228, 11, v236
	v_and_b32_e32 v225, 16, v225
	s_delay_alu instid0(VALU_DEP_2) | instskip(NEXT) | instid1(VALU_DEP_1)
	v_and_b32_e32 v228, 0x1000, v228
	v_or3_b32 v239, v237, v225, v228
	v_lshlrev_b32_e32 v225, 4, v241
	v_lshlrev_b32_e32 v228, 11, v241
	s_delay_alu instid0(VALU_DEP_2) | instskip(NEXT) | instid1(VALU_DEP_2)
	v_and_b32_e32 v225, 16, v225
	v_and_b32_e32 v228, 0x1000, v228
	s_delay_alu instid0(VALU_DEP_1) | instskip(SKIP_1) | instid1(VALU_DEP_1)
	v_or3_b32 v237, v229, v225, v228
	v_lshrrev_b32_e32 v225, 4, v230
	v_and_b32_e32 v225, 0xf0f0f0f, v225
	s_delay_alu instid0(VALU_DEP_1) | instskip(SKIP_2) | instid1(VALU_DEP_2)
	v_or3_b32 v236, v242, v21, v225
	v_lshlrev_b32_e32 v21, 4, v243
	v_lshlrev_b32_e32 v225, 11, v243
	v_and_b32_e32 v21, 16, v21
	s_delay_alu instid0(VALU_DEP_2) | instskip(NEXT) | instid1(VALU_DEP_1)
	v_and_b32_e32 v225, 0x1000, v225
	v_or3_b32 v235, v244, v21, v225
	v_lshlrev_b32_e32 v21, 4, v245
	v_lshlrev_b32_e32 v225, 11, v245
	s_delay_alu instid0(VALU_DEP_2) | instskip(NEXT) | instid1(VALU_DEP_2)
	v_and_b32_e32 v21, 16, v21
	v_and_b32_e32 v225, 0x1000, v225
	s_delay_alu instid0(VALU_DEP_1) | instskip(SKIP_2) | instid1(VALU_DEP_2)
	v_or3_b32 v234, v246, v21, v225
	v_lshlrev_b32_e32 v21, 4, v247
	v_lshlrev_b32_e32 v225, 11, v247
	v_and_b32_e32 v21, 16, v21
	s_delay_alu instid0(VALU_DEP_2) | instskip(NEXT) | instid1(VALU_DEP_1)
	v_and_b32_e32 v225, 0x1000, v225
	v_or3_b32 v233, v231, v21, v225
	v_lshrrev_b32_e32 v21, 4, v232
	v_lshlrev_b32_e32 v225, 11, v226
	s_delay_alu instid0(VALU_DEP_2) | instskip(NEXT) | instid1(VALU_DEP_2)
	v_and_b32_e32 v21, 0xf0f0f0f, v21
	v_and_b32_e32 v225, 0x1000, v225
	s_delay_alu instid0(VALU_DEP_1) | instskip(SKIP_2) | instid1(VALU_DEP_2)
	v_or3_b32 v232, v248, v225, v21
	v_lshlrev_b32_e32 v21, 4, v249
	v_lshlrev_b32_e32 v225, 11, v249
	v_and_b32_e32 v21, 16, v21
	s_delay_alu instid0(VALU_DEP_2) | instskip(NEXT) | instid1(VALU_DEP_1)
	v_and_b32_e32 v225, 0x1000, v225
	v_or3_b32 v231, v250, v21, v225
	v_lshlrev_b32_e32 v21, 4, v251
	v_lshlrev_b32_e32 v225, 11, v251
	s_delay_alu instid0(VALU_DEP_2) | instskip(NEXT) | instid1(VALU_DEP_2)
	v_and_b32_e32 v21, 16, v21
	v_and_b32_e32 v225, 0x1000, v225
	s_delay_alu instid0(VALU_DEP_1) | instskip(SKIP_2) | instid1(VALU_DEP_2)
	v_or3_b32 v230, v252, v21, v225
	v_lshlrev_b32_e32 v21, 4, v253
	v_lshlrev_b32_e32 v225, 11, v253
	v_and_b32_e32 v21, 16, v21
	s_delay_alu instid0(VALU_DEP_2) | instskip(NEXT) | instid1(VALU_DEP_1)
	v_and_b32_e32 v225, 0x1000, v225
	v_or3_b32 v229, v254, v21, v225
	v_lshrrev_b32_e32 v21, 4, v240
	v_lshlrev_b32_e32 v225, 11, v227
                                        ; implicit-def: $vgpr240
	s_delay_alu instid0(VALU_DEP_2) | instskip(NEXT) | instid1(VALU_DEP_2)
	v_and_b32_e32 v21, 0xf0f0f0f, v21
	v_and_b32_e32 v225, 0x1000, v225
	s_delay_alu instid0(VALU_DEP_1) | instskip(SKIP_2) | instid1(VALU_DEP_2)
	v_or3_b32 v228, v255, v225, v21
	v_lshlrev_b32_e32 v21, 4, v62
	v_lshlrev_b32_e32 v62, 11, v62
	v_and_b32_e32 v21, 16, v21
	s_delay_alu instid0(VALU_DEP_2) | instskip(NEXT) | instid1(VALU_DEP_1)
	v_and_b32_e32 v62, 0x1000, v62
	v_or3_b32 v227, v66, v21, v62
	v_lshlrev_b32_e32 v21, 4, v65
	v_lshlrev_b32_e32 v62, 11, v65
	s_delay_alu instid0(VALU_DEP_2) | instskip(NEXT) | instid1(VALU_DEP_2)
	v_and_b32_e32 v21, 16, v21
	v_and_b32_e32 v62, 0x1000, v62
	s_delay_alu instid0(VALU_DEP_1) | instskip(SKIP_2) | instid1(VALU_DEP_2)
	v_or3_b32 v226, v63, v21, v62
	v_lshlrev_b32_e32 v21, 4, v61
	v_lshlrev_b32_e32 v61, 11, v61
	v_and_b32_e32 v21, 16, v21
	s_delay_alu instid0(VALU_DEP_2) | instskip(NEXT) | instid1(VALU_DEP_1)
	v_and_b32_e32 v61, 0x1000, v61
	v_or3_b32 v225, v60, v21, v61
	v_lshrrev_b32_e32 v21, 4, v224
	v_lshlrev_b32_e32 v60, 11, v68
	s_delay_alu instid0(VALU_DEP_2) | instskip(NEXT) | instid1(VALU_DEP_2)
	v_and_b32_e32 v21, 0xf0f0f0f, v21
	v_and_b32_e32 v60, 0x1000, v60
	s_delay_alu instid0(VALU_DEP_1) | instskip(SKIP_2) | instid1(VALU_DEP_2)
	v_or3_b32 v224, v64, v60, v21
	v_dot4_i32_iu8 v21, v238, v24, 0 neg_lo:[1,1,0]
	v_dot4_i32_iu8 v60, v239, v25, 0 neg_lo:[1,1,0]
	v_cvt_f32_i32_e32 v21, v21
	s_delay_alu instid0(VALU_DEP_2) | instskip(NEXT) | instid1(VALU_DEP_2)
	v_cvt_f32_i32_e32 v60, v60
	v_fma_f32 v21, v0, v21, -v1
	s_delay_alu instid0(VALU_DEP_2) | instskip(NEXT) | instid1(VALU_DEP_2)
	v_fma_f32 v60, v0, v60, -v1
	v_fma_mix_f32 v21, v21, v22, 0 op_sel_hi:[0,1,0]
	s_delay_alu instid0(VALU_DEP_1) | instskip(SKIP_1) | instid1(VALU_DEP_1)
	v_fma_mix_f32 v21, v60, v22, v21 op_sel_hi:[0,1,0]
	v_dot4_i32_iu8 v60, v237, v26, 0 neg_lo:[1,1,0]
	v_cvt_f32_i32_e32 v60, v60
	s_delay_alu instid0(VALU_DEP_1) | instskip(NEXT) | instid1(VALU_DEP_1)
	v_fma_f32 v60, v0, v60, -v1
	v_fma_mix_f32 v21, v60, v22, v21 op_sel_hi:[0,1,0]
	v_dot4_i32_iu8 v60, v236, v27, 0 neg_lo:[1,1,0]
	s_delay_alu instid0(VALU_DEP_1) | instskip(NEXT) | instid1(VALU_DEP_1)
	v_cvt_f32_i32_e32 v60, v60
	v_fma_f32 v60, v0, v60, -v1
	s_delay_alu instid0(VALU_DEP_1) | instskip(SKIP_1) | instid1(VALU_DEP_1)
	v_fma_mix_f32 v21, v60, v22, v21 op_sel_hi:[0,1,0]
	v_dot4_i32_iu8 v60, v235, v28, 0 neg_lo:[1,1,0]
	v_cvt_f32_i32_e32 v60, v60
	s_delay_alu instid0(VALU_DEP_1) | instskip(NEXT) | instid1(VALU_DEP_1)
	v_fma_f32 v60, v2, v60, -v3
	v_fma_mix_f32 v21, v60, v23, v21 op_sel_hi:[0,1,0]
	v_dot4_i32_iu8 v60, v234, v29, 0 neg_lo:[1,1,0]
	s_delay_alu instid0(VALU_DEP_1) | instskip(NEXT) | instid1(VALU_DEP_1)
	v_cvt_f32_i32_e32 v60, v60
	v_fma_f32 v60, v2, v60, -v3
	;; [unrolled: 11-line block ×7, first 2 shown]
	s_delay_alu instid0(VALU_DEP_1) | instskip(SKIP_3) | instid1(VALU_DEP_1)
	v_fma_mix_f32 v21, v60, v59, v21 op_sel_hi:[0,1,0]
	ds_bpermute_b32 v60, v72, v21
	s_waitcnt lgkmcnt(0)
	v_add_f32_e32 v21, v21, v60
	v_cmp_ngt_f32_e64 s4, 0x3f200000, |v21|
	s_delay_alu instid0(VALU_DEP_1) | instskip(NEXT) | instid1(SALU_CYCLE_1)
	s_and_saveexec_b32 s18, s4
	s_xor_b32 s4, exec_lo, s18
	s_cbranch_execz .LBB22_19
; %bb.18:                               ;   in Loop: Header=BB22_17 Depth=1
	v_add_f32_e64 v60, |v21|, |v21|
	s_delay_alu instid0(VALU_DEP_1) | instskip(SKIP_1) | instid1(VALU_DEP_2)
	v_mul_f32_e32 v61, 0x3fb8aa3b, v60
	v_cmp_ngt_f32_e32 vcc_lo, 0xc2ce8ed0, v60
	v_rndne_f32_e32 v62, v61
	v_fma_f32 v63, 0x3fb8aa3b, v60, -v61
	s_delay_alu instid0(VALU_DEP_2) | instskip(NEXT) | instid1(VALU_DEP_2)
	v_sub_f32_e32 v61, v61, v62
	v_fmac_f32_e32 v63, 0x32a5705f, v60
	v_cvt_i32_f32_e32 v62, v62
	s_delay_alu instid0(VALU_DEP_2) | instskip(NEXT) | instid1(VALU_DEP_1)
	v_add_f32_e32 v61, v61, v63
	v_exp_f32_e32 v61, v61
	s_waitcnt_depctr 0xfff
	v_ldexp_f32 v61, v61, v62
	s_delay_alu instid0(VALU_DEP_1) | instskip(SKIP_1) | instid1(VALU_DEP_2)
	v_cndmask_b32_e32 v61, 0, v61, vcc_lo
	v_cmp_nlt_f32_e32 vcc_lo, 0x42b17218, v60
	v_cndmask_b32_e32 v60, 0x7f800000, v61, vcc_lo
	s_delay_alu instid0(VALU_DEP_1) | instskip(NEXT) | instid1(VALU_DEP_1)
	v_add_f32_e32 v60, 1.0, v60
	v_rcp_f32_e32 v60, v60
	s_waitcnt_depctr 0xfff
	v_fma_f32 v240, v60, -2.0, 1.0
.LBB22_19:                              ;   in Loop: Header=BB22_17 Depth=1
	s_and_not1_saveexec_b32 s4, s4
; %bb.20:                               ;   in Loop: Header=BB22_17 Depth=1
	v_mul_f32_e32 v60, v21, v21
	s_delay_alu instid0(VALU_DEP_1) | instskip(NEXT) | instid1(VALU_DEP_1)
	v_fmaak_f32 v61, s11, v60, 0x3ca908c9
	v_fmaak_f32 v61, v60, v61, 0xbd5c1c4e
	s_delay_alu instid0(VALU_DEP_1) | instskip(NEXT) | instid1(VALU_DEP_1)
	v_fmaak_f32 v61, v60, v61, 0x3e088382
	v_fmaak_f32 v61, v60, v61, 0xbeaaaa99
	s_delay_alu instid0(VALU_DEP_1) | instskip(NEXT) | instid1(VALU_DEP_1)
	v_mul_f32_e64 v61, |v21|, v61
	v_fma_f32 v240, v60, v61, |v21|
; %bb.21:                               ;   in Loop: Header=BB22_17 Depth=1
	s_or_b32 exec_lo, exec_lo, s4
	s_delay_alu instid0(VALU_DEP_1) | instskip(SKIP_1) | instid1(VALU_DEP_1)
	v_bfi_b32 v21, 0x7fffffff, v240, v21
	s_and_not1_b32 vcc_lo, exec_lo, s27
	v_mul_f32_e32 v21, s37, v21
	s_cbranch_vccnz .LBB22_23
; %bb.22:                               ;   in Loop: Header=BB22_17 Depth=1
	v_add_co_u32 v240, vcc_lo, v82, s7
	v_add_co_ci_u32_e32 v241, vcc_lo, s13, v83, vcc_lo
	global_load_u16 v60, v[240:241], off offset:-2
	s_waitcnt vmcnt(0)
	v_fma_mix_f32 v21, v67, v60, v21 op_sel_hi:[0,1,0]
.LBB22_23:                              ;   in Loop: Header=BB22_17 Depth=1
	v_dot4_i32_iu8 v60, v238, v40, 0 neg_lo:[1,1,0]
	v_dot4_i32_iu8 v61, v239, v41, 0 neg_lo:[1,1,0]
	v_cvt_f32_f16_e32 v22, v22
	v_dot4_i32_iu8 v62, v237, v42, 0 neg_lo:[1,1,0]
	v_dot4_i32_iu8 v63, v236, v43, 0 neg_lo:[1,1,0]
	v_cvt_f32_i32_e32 v60, v60
	v_cvt_f32_i32_e32 v61, v61
	v_dot4_i32_iu8 v64, v235, v44, 0 neg_lo:[1,1,0]
	v_cvt_f32_i32_e32 v62, v62
	v_cvt_f32_i32_e32 v63, v63
	v_fma_f32 v60, v8, v60, -v9
	v_fma_f32 v61, v8, v61, -v9
	v_cvt_f32_i32_e32 v64, v64
	v_fma_f32 v62, v8, v62, -v9
	v_fma_f32 v63, v8, v63, -v9
	v_fma_f32 v60, v60, v22, 0
	v_cvt_f32_f16_e32 v23, v23
	v_fma_f32 v64, v10, v64, -v11
	v_cvt_f32_f16_e32 v58, v58
	s_delay_alu instid0(VALU_DEP_4) | instskip(SKIP_1) | instid1(VALU_DEP_2)
	v_fmac_f32_e32 v60, v61, v22
	v_dot4_i32_iu8 v61, v234, v45, 0 neg_lo:[1,1,0]
	v_fmac_f32_e32 v60, v62, v22
	v_dot4_i32_iu8 v62, v233, v46, 0 neg_lo:[1,1,0]
	s_delay_alu instid0(VALU_DEP_3) | instskip(NEXT) | instid1(VALU_DEP_3)
	v_cvt_f32_i32_e32 v61, v61
	v_fmac_f32_e32 v60, v63, v22
	v_dot4_i32_iu8 v22, v232, v47, 0 neg_lo:[1,1,0]
	s_delay_alu instid0(VALU_DEP_4) | instskip(NEXT) | instid1(VALU_DEP_4)
	v_cvt_f32_i32_e32 v62, v62
	v_fma_f32 v61, v10, v61, -v11
	v_dot4_i32_iu8 v63, v231, v48, 0 neg_lo:[1,1,0]
	v_fmac_f32_e32 v60, v64, v23
	v_cvt_f32_i32_e32 v22, v22
	v_fma_f32 v62, v10, v62, -v11
	s_delay_alu instid0(VALU_DEP_4) | instskip(NEXT) | instid1(VALU_DEP_4)
	v_cvt_f32_i32_e32 v63, v63
	v_fmac_f32_e32 v60, v61, v23
	v_dot4_i32_iu8 v61, v230, v49, 0 neg_lo:[1,1,0]
	v_fma_f32 v22, v10, v22, -v11
	s_delay_alu instid0(VALU_DEP_4) | instskip(NEXT) | instid1(VALU_DEP_4)
	v_fma_f32 v63, v12, v63, -v13
	v_fmac_f32_e32 v60, v62, v23
	v_dot4_i32_iu8 v62, v229, v50, 0 neg_lo:[1,1,0]
	v_cvt_f32_i32_e32 v61, v61
	s_delay_alu instid0(VALU_DEP_3) | instskip(SKIP_1) | instid1(VALU_DEP_4)
	v_fmac_f32_e32 v60, v22, v23
	v_dot4_i32_iu8 v22, v228, v51, 0 neg_lo:[1,1,0]
	v_cvt_f32_i32_e32 v23, v62
	s_delay_alu instid0(VALU_DEP_4) | instskip(SKIP_4) | instid1(VALU_DEP_4)
	v_fma_f32 v61, v12, v61, -v13
	v_dot4_i32_iu8 v62, v227, v52, 0 neg_lo:[1,1,0]
	v_fmac_f32_e32 v60, v63, v58
	v_cvt_f32_i32_e32 v22, v22
	v_fma_f32 v23, v12, v23, -v13
	v_cvt_f32_i32_e32 v62, v62
	s_delay_alu instid0(VALU_DEP_4) | instskip(SKIP_2) | instid1(VALU_DEP_4)
	v_fmac_f32_e32 v60, v61, v58
	v_dot4_i32_iu8 v61, v226, v53, 0 neg_lo:[1,1,0]
	v_fma_f32 v22, v12, v22, -v13
	v_fma_f32 v62, v14, v62, -v222
	s_delay_alu instid0(VALU_DEP_4) | instskip(SKIP_3) | instid1(VALU_DEP_4)
	v_fmac_f32_e32 v60, v23, v58
	v_cvt_f32_f16_e32 v23, v59
	v_dot4_i32_iu8 v59, v225, v54, 0 neg_lo:[1,1,0]
	v_cvt_f32_i32_e32 v61, v61
	v_fmac_f32_e32 v60, v22, v58
	s_delay_alu instid0(VALU_DEP_3) | instskip(NEXT) | instid1(VALU_DEP_3)
	v_cvt_f32_i32_e32 v22, v59
	v_fma_f32 v58, v14, v61, -v222
	v_dot4_i32_iu8 v59, v224, v55, 0 neg_lo:[1,1,0]
	s_delay_alu instid0(VALU_DEP_4) | instskip(NEXT) | instid1(VALU_DEP_4)
	v_fmac_f32_e32 v60, v62, v23
	v_fma_f32 v22, v14, v22, -v222
	s_delay_alu instid0(VALU_DEP_2) | instskip(NEXT) | instid1(VALU_DEP_4)
	v_fmac_f32_e32 v60, v58, v23
	v_cvt_f32_i32_e32 v58, v59
	s_delay_alu instid0(VALU_DEP_2) | instskip(NEXT) | instid1(VALU_DEP_2)
	v_fmac_f32_e32 v60, v22, v23
	v_fma_f32 v22, v14, v58, -v222
	s_delay_alu instid0(VALU_DEP_1) | instskip(SKIP_3) | instid1(VALU_DEP_1)
	v_fmac_f32_e32 v60, v22, v23
                                        ; implicit-def: $vgpr23
	ds_bpermute_b32 v22, v72, v60
	s_waitcnt lgkmcnt(0)
	v_add_f32_e32 v22, v60, v22
	v_cmp_ngt_f32_e64 s4, 0x3f200000, |v22|
	s_delay_alu instid0(VALU_DEP_1) | instskip(NEXT) | instid1(SALU_CYCLE_1)
	s_and_saveexec_b32 s18, s4
	s_xor_b32 s4, exec_lo, s18
	s_cbranch_execz .LBB22_25
; %bb.24:                               ;   in Loop: Header=BB22_17 Depth=1
	v_add_f32_e64 v23, |v22|, |v22|
	s_delay_alu instid0(VALU_DEP_1) | instskip(SKIP_1) | instid1(VALU_DEP_2)
	v_mul_f32_e32 v58, 0x3fb8aa3b, v23
	v_cmp_ngt_f32_e32 vcc_lo, 0xc2ce8ed0, v23
	v_rndne_f32_e32 v59, v58
	v_fma_f32 v60, 0x3fb8aa3b, v23, -v58
	s_delay_alu instid0(VALU_DEP_2) | instskip(NEXT) | instid1(VALU_DEP_2)
	v_sub_f32_e32 v58, v58, v59
	v_fmac_f32_e32 v60, 0x32a5705f, v23
	v_cvt_i32_f32_e32 v59, v59
	s_delay_alu instid0(VALU_DEP_2) | instskip(NEXT) | instid1(VALU_DEP_1)
	v_add_f32_e32 v58, v58, v60
	v_exp_f32_e32 v58, v58
	s_waitcnt_depctr 0xfff
	v_ldexp_f32 v58, v58, v59
	s_delay_alu instid0(VALU_DEP_1) | instskip(SKIP_1) | instid1(VALU_DEP_2)
	v_cndmask_b32_e32 v58, 0, v58, vcc_lo
	v_cmp_nlt_f32_e32 vcc_lo, 0x42b17218, v23
	v_cndmask_b32_e32 v23, 0x7f800000, v58, vcc_lo
	s_delay_alu instid0(VALU_DEP_1) | instskip(NEXT) | instid1(VALU_DEP_1)
	v_add_f32_e32 v23, 1.0, v23
	v_rcp_f32_e32 v23, v23
	s_waitcnt_depctr 0xfff
	v_fma_f32 v23, v23, -2.0, 1.0
.LBB22_25:                              ;   in Loop: Header=BB22_17 Depth=1
	s_and_not1_saveexec_b32 s4, s4
; %bb.26:                               ;   in Loop: Header=BB22_17 Depth=1
	v_mul_f32_e32 v23, v22, v22
	s_delay_alu instid0(VALU_DEP_1) | instskip(NEXT) | instid1(VALU_DEP_1)
	v_fmaak_f32 v58, s11, v23, 0x3ca908c9
	v_fmaak_f32 v58, v23, v58, 0xbd5c1c4e
	s_delay_alu instid0(VALU_DEP_1) | instskip(NEXT) | instid1(VALU_DEP_1)
	v_fmaak_f32 v58, v23, v58, 0x3e088382
	v_fmaak_f32 v58, v23, v58, 0xbeaaaa99
	s_delay_alu instid0(VALU_DEP_1) | instskip(NEXT) | instid1(VALU_DEP_1)
	v_mul_f32_e64 v58, |v22|, v58
	v_fma_f32 v23, v23, v58, |v22|
; %bb.27:                               ;   in Loop: Header=BB22_17 Depth=1
	s_or_b32 exec_lo, exec_lo, s4
	s_delay_alu instid0(VALU_DEP_1) | instskip(SKIP_1) | instid1(VALU_DEP_1)
	v_bfi_b32 v22, 0x7fffffff, v23, v22
	s_and_not1_b32 vcc_lo, exec_lo, s39
	v_mul_f32_e32 v22, s37, v22
	s_cbranch_vccnz .LBB22_29
; %bb.28:                               ;   in Loop: Header=BB22_17 Depth=1
	v_add_co_u32 v58, vcc_lo, v70, s7
	v_add_co_ci_u32_e32 v59, vcc_lo, s13, v71, vcc_lo
	global_load_u16 v23, v[58:59], off
	s_waitcnt vmcnt(0)
	v_fma_mix_f32 v22, v67, v23, v22 op_sel_hi:[0,1,0]
.LBB22_29:                              ;   in Loop: Header=BB22_17 Depth=1
	v_add_co_u32 v225, vcc_lo, v80, s38
	v_add_co_ci_u32_e32 v226, vcc_lo, 0, v81, vcc_lo
	s_clause 0x7
	global_load_b32 v23, v[225:226], off
	global_load_u16 v60, v[225:226], off offset:4
	global_load_b32 v58, v[225:226], off offset:22
	global_load_u16 v61, v[225:226], off offset:26
	global_load_b32 v59, v[225:226], off offset:44
	global_load_u16 v62, v[225:226], off offset:48
	global_load_b32 v224, v[225:226], off offset:66
	global_load_u16 v63, v[225:226], off offset:70
	v_add_co_u32 v225, vcc_lo, v78, s38
	v_add_co_ci_u32_e32 v226, vcc_lo, 0, v79, vcc_lo
	s_clause 0x7
	global_load_b32 v64, v[225:226], off offset:6
	global_load_b32 v65, v[225:226], off offset:14
	global_load_b32 v66, v[225:226], off offset:28
	global_load_b32 v68, v[225:226], off offset:36
	global_load_b32 v227, v[225:226], off offset:50
	global_load_b32 v228, v[225:226], off offset:58
	global_load_b32 v229, v[225:226], off offset:72
	global_load_b32 v225, v[225:226], off offset:80
	s_waitcnt vmcnt(14)
	v_perm_b32 v60, v23, v60, 0x1000706
	s_waitcnt vmcnt(12)
	v_perm_b32 v61, v58, v61, 0x1000706
	;; [unrolled: 2-line block ×3, first 2 shown]
	v_ashrrev_i32_e32 v226, v69, v60
	s_waitcnt vmcnt(8)
	v_perm_b32 v63, v224, v63, 0x1000706
	s_waitcnt vmcnt(7)
	v_and_b32_e32 v232, 0xf0f0f0f, v64
	s_waitcnt vmcnt(6)
	v_and_b32_e32 v234, 0xf0f0f0f, v65
	v_lshrrev_b32_e32 v64, 4, v64
	v_lshlrev_b32_e32 v230, 18, v226
	v_lshlrev_b32_e32 v231, 25, v226
	s_waitcnt vmcnt(5)
	v_and_b32_e32 v238, 0xf0f0f0f, v66
	v_ashrrev_i32_e32 v242, v218, v61
	v_and_b32_e32 v64, 0xf0f0f0f, v64
	v_and_b32_e32 v230, 0x100000, v230
	;; [unrolled: 1-line block ×3, first 2 shown]
	s_waitcnt vmcnt(4)
	v_and_b32_e32 v239, 0xf0f0f0f, v68
	v_ashrrev_i32_e32 v244, v219, v61
	v_lshrrev_b32_e32 v66, 4, v66
	v_ashrrev_i32_e32 v246, v69, v62
	v_or3_b32 v230, v231, v232, v230
	v_ashrrev_i32_e32 v231, v218, v60
	v_ashrrev_i32_e32 v248, v218, v62
	v_and_b32_e32 v66, 0xf0f0f0f, v66
	v_ashrrev_i32_e32 v250, v219, v62
	v_ashrrev_i32_e32 v62, v220, v62
	v_lshlrev_b32_e32 v232, 18, v231
	v_lshlrev_b32_e32 v233, 25, v231
	v_ashrrev_i32_e32 v252, v69, v63
	v_ashrrev_i32_e32 v254, v218, v63
	;; [unrolled: 1-line block ×3, first 2 shown]
	v_and_b32_e32 v232, 0x100000, v232
	v_and_b32_e32 v233, 0x10000000, v233
	v_ashrrev_i32_e32 v63, v220, v63
	s_delay_alu instid0(VALU_DEP_2) | instskip(SKIP_2) | instid1(VALU_DEP_2)
	v_or3_b32 v232, v233, v234, v232
	v_ashrrev_i32_e32 v233, v219, v60
	v_ashrrev_i32_e32 v60, v220, v60
	v_lshlrev_b32_e32 v234, 18, v233
	v_lshlrev_b32_e32 v235, 25, v233
	s_delay_alu instid0(VALU_DEP_3) | instskip(NEXT) | instid1(VALU_DEP_3)
	v_lshlrev_b32_e32 v236, 25, v60
	v_and_b32_e32 v234, 0x100000, v234
	s_delay_alu instid0(VALU_DEP_3) | instskip(NEXT) | instid1(VALU_DEP_3)
	v_and_b32_e32 v235, 0x10000000, v235
	v_and_b32_e32 v236, 0x10000000, v236
	s_delay_alu instid0(VALU_DEP_2) | instskip(SKIP_3) | instid1(VALU_DEP_3)
	v_or3_b32 v64, v235, v64, v234
	v_lshlrev_b32_e32 v234, 4, v60
	v_lshlrev_b32_e32 v235, 18, v60
	;; [unrolled: 1-line block ×3, first 2 shown]
	v_and_b32_e32 v234, 16, v234
	s_delay_alu instid0(VALU_DEP_3) | instskip(NEXT) | instid1(VALU_DEP_3)
	v_and_b32_e32 v235, 0x100000, v235
	v_and_b32_e32 v60, 0x1000, v60
	s_delay_alu instid0(VALU_DEP_2) | instskip(SKIP_2) | instid1(VALU_DEP_2)
	v_or3_b32 v234, v235, v236, v234
	v_ashrrev_i32_e32 v235, v69, v61
	v_ashrrev_i32_e32 v61, v220, v61
	v_lshlrev_b32_e32 v236, 18, v235
	v_lshlrev_b32_e32 v237, 25, v235
	s_delay_alu instid0(VALU_DEP_2) | instskip(NEXT) | instid1(VALU_DEP_2)
	v_and_b32_e32 v236, 0x100000, v236
	v_and_b32_e32 v237, 0x10000000, v237
	s_delay_alu instid0(VALU_DEP_1) | instskip(SKIP_2) | instid1(VALU_DEP_2)
	v_or3_b32 v236, v237, v238, v236
	v_lshlrev_b32_e32 v237, 18, v242
	v_lshlrev_b32_e32 v238, 25, v242
	v_and_b32_e32 v237, 0x100000, v237
	s_delay_alu instid0(VALU_DEP_2) | instskip(NEXT) | instid1(VALU_DEP_1)
	v_and_b32_e32 v238, 0x10000000, v238
	v_or3_b32 v243, v238, v239, v237
	v_lshlrev_b32_e32 v237, 18, v244
	v_lshlrev_b32_e32 v238, 25, v244
	;; [unrolled: 1-line block ×3, first 2 shown]
	s_delay_alu instid0(VALU_DEP_3) | instskip(NEXT) | instid1(VALU_DEP_3)
	v_and_b32_e32 v237, 0x100000, v237
	v_and_b32_e32 v238, 0x10000000, v238
	s_delay_alu instid0(VALU_DEP_3) | instskip(NEXT) | instid1(VALU_DEP_2)
	v_and_b32_e32 v239, 0x10000000, v239
	v_or3_b32 v66, v238, v66, v237
	v_lshlrev_b32_e32 v237, 4, v61
	v_lshlrev_b32_e32 v238, 18, v61
	;; [unrolled: 1-line block ×3, first 2 shown]
	s_delay_alu instid0(VALU_DEP_3) | instskip(NEXT) | instid1(VALU_DEP_3)
	v_and_b32_e32 v237, 16, v237
	v_and_b32_e32 v238, 0x100000, v238
	s_delay_alu instid0(VALU_DEP_3) | instskip(NEXT) | instid1(VALU_DEP_2)
	v_and_b32_e32 v61, 0x1000, v61
	v_or3_b32 v245, v238, v239, v237
	v_lshlrev_b32_e32 v237, 18, v246
	v_lshlrev_b32_e32 v238, 25, v246
	s_waitcnt vmcnt(3)
	v_and_b32_e32 v239, 0xf0f0f0f, v227
	v_lshrrev_b32_e32 v227, 4, v227
	v_and_b32_e32 v237, 0x100000, v237
	v_and_b32_e32 v238, 0x10000000, v238
	s_delay_alu instid0(VALU_DEP_3) | instskip(NEXT) | instid1(VALU_DEP_2)
	v_and_b32_e32 v227, 0xf0f0f0f, v227
	v_or3_b32 v247, v238, v239, v237
	v_lshlrev_b32_e32 v237, 18, v248
	v_lshlrev_b32_e32 v238, 25, v248
	s_waitcnt vmcnt(2)
	v_and_b32_e32 v239, 0xf0f0f0f, v228
	s_delay_alu instid0(VALU_DEP_3) | instskip(NEXT) | instid1(VALU_DEP_3)
	v_and_b32_e32 v237, 0x100000, v237
	v_and_b32_e32 v238, 0x10000000, v238
	s_delay_alu instid0(VALU_DEP_1) | instskip(SKIP_3) | instid1(VALU_DEP_3)
	v_or3_b32 v249, v238, v239, v237
	v_lshlrev_b32_e32 v237, 18, v250
	v_lshlrev_b32_e32 v238, 25, v250
	;; [unrolled: 1-line block ×3, first 2 shown]
	v_and_b32_e32 v237, 0x100000, v237
	s_delay_alu instid0(VALU_DEP_3) | instskip(NEXT) | instid1(VALU_DEP_3)
	v_and_b32_e32 v238, 0x10000000, v238
	v_and_b32_e32 v239, 0x10000000, v239
	s_delay_alu instid0(VALU_DEP_2) | instskip(SKIP_2) | instid1(VALU_DEP_2)
	v_or3_b32 v227, v238, v227, v237
	v_lshlrev_b32_e32 v237, 4, v62
	v_lshlrev_b32_e32 v238, 18, v62
	v_and_b32_e32 v237, 16, v237
	s_delay_alu instid0(VALU_DEP_2) | instskip(NEXT) | instid1(VALU_DEP_1)
	v_and_b32_e32 v238, 0x100000, v238
	v_or3_b32 v251, v238, v239, v237
	v_lshlrev_b32_e32 v237, 18, v252
	v_lshlrev_b32_e32 v238, 25, v252
	s_waitcnt vmcnt(1)
	v_and_b32_e32 v239, 0xf0f0f0f, v229
	v_lshrrev_b32_e32 v229, 4, v229
	v_and_b32_e32 v237, 0x100000, v237
	v_and_b32_e32 v238, 0x10000000, v238
	s_delay_alu instid0(VALU_DEP_3) | instskip(NEXT) | instid1(VALU_DEP_2)
	v_and_b32_e32 v229, 0xf0f0f0f, v229
	v_or3_b32 v253, v238, v239, v237
	v_lshlrev_b32_e32 v237, 18, v254
	v_lshlrev_b32_e32 v238, 25, v254
	s_waitcnt vmcnt(0)
	v_and_b32_e32 v239, 0xf0f0f0f, v225
	s_delay_alu instid0(VALU_DEP_3) | instskip(NEXT) | instid1(VALU_DEP_3)
	v_and_b32_e32 v237, 0x100000, v237
	v_and_b32_e32 v238, 0x10000000, v238
	s_delay_alu instid0(VALU_DEP_1) | instskip(SKIP_2) | instid1(VALU_DEP_2)
	v_or3_b32 v255, v238, v239, v237
	v_lshlrev_b32_e32 v237, 18, v73
	v_lshlrev_b32_e32 v238, 25, v73
	v_and_b32_e32 v237, 0x100000, v237
	s_delay_alu instid0(VALU_DEP_2) | instskip(NEXT) | instid1(VALU_DEP_1)
	v_and_b32_e32 v238, 0x10000000, v238
	v_or3_b32 v74, v238, v229, v237
	v_lshlrev_b32_e32 v229, 4, v63
	v_lshlrev_b32_e32 v237, 18, v63
	;; [unrolled: 1-line block ×3, first 2 shown]
	s_delay_alu instid0(VALU_DEP_3) | instskip(NEXT) | instid1(VALU_DEP_3)
	v_and_b32_e32 v229, 16, v229
	v_and_b32_e32 v237, 0x100000, v237
	s_delay_alu instid0(VALU_DEP_3) | instskip(NEXT) | instid1(VALU_DEP_1)
	v_and_b32_e32 v238, 0x10000000, v238
	v_or3_b32 v75, v237, v238, v229
	v_lshlrev_b32_e32 v229, 4, v226
	v_lshlrev_b32_e32 v226, 11, v226
	s_delay_alu instid0(VALU_DEP_2) | instskip(NEXT) | instid1(VALU_DEP_2)
	v_and_b32_e32 v229, 16, v229
	v_and_b32_e32 v226, 0x1000, v226
	s_delay_alu instid0(VALU_DEP_1) | instskip(SKIP_2) | instid1(VALU_DEP_2)
	v_or3_b32 v240, v230, v229, v226
	v_lshlrev_b32_e32 v226, 4, v231
	v_lshlrev_b32_e32 v229, 11, v231
	v_and_b32_e32 v226, 16, v226
	s_delay_alu instid0(VALU_DEP_2) | instskip(NEXT) | instid1(VALU_DEP_1)
	v_and_b32_e32 v229, 0x1000, v229
	v_or3_b32 v241, v232, v226, v229
	v_lshlrev_b32_e32 v226, 4, v233
	v_lshlrev_b32_e32 v229, 11, v233
	s_delay_alu instid0(VALU_DEP_2) | instskip(NEXT) | instid1(VALU_DEP_2)
	v_and_b32_e32 v226, 16, v226
	v_and_b32_e32 v229, 0x1000, v229
	s_delay_alu instid0(VALU_DEP_1) | instskip(SKIP_1) | instid1(VALU_DEP_1)
	v_or3_b32 v239, v64, v226, v229
	v_lshrrev_b32_e32 v64, 4, v65
	v_and_b32_e32 v64, 0xf0f0f0f, v64
	s_delay_alu instid0(VALU_DEP_1) | instskip(SKIP_2) | instid1(VALU_DEP_2)
	v_or3_b32 v238, v234, v60, v64
	v_lshlrev_b32_e32 v60, 4, v235
	v_lshlrev_b32_e32 v64, 11, v235
	v_and_b32_e32 v60, 16, v60
	s_delay_alu instid0(VALU_DEP_2) | instskip(NEXT) | instid1(VALU_DEP_1)
	v_and_b32_e32 v64, 0x1000, v64
	v_or3_b32 v237, v236, v60, v64
	v_lshlrev_b32_e32 v60, 4, v242
	v_lshlrev_b32_e32 v64, 11, v242
                                        ; implicit-def: $vgpr242
	s_delay_alu instid0(VALU_DEP_2) | instskip(NEXT) | instid1(VALU_DEP_2)
	v_and_b32_e32 v60, 16, v60
	v_and_b32_e32 v64, 0x1000, v64
	s_delay_alu instid0(VALU_DEP_1) | instskip(SKIP_2) | instid1(VALU_DEP_2)
	v_or3_b32 v236, v243, v60, v64
	v_lshlrev_b32_e32 v60, 4, v244
	v_lshlrev_b32_e32 v64, 11, v244
	v_and_b32_e32 v60, 16, v60
	s_delay_alu instid0(VALU_DEP_2) | instskip(NEXT) | instid1(VALU_DEP_1)
	v_and_b32_e32 v64, 0x1000, v64
	v_or3_b32 v235, v66, v60, v64
	v_lshrrev_b32_e32 v60, 4, v68
	s_delay_alu instid0(VALU_DEP_1) | instskip(NEXT) | instid1(VALU_DEP_1)
	v_and_b32_e32 v60, 0xf0f0f0f, v60
	v_or3_b32 v234, v245, v61, v60
	v_lshlrev_b32_e32 v60, 4, v246
	v_lshlrev_b32_e32 v61, 11, v246
	s_delay_alu instid0(VALU_DEP_2) | instskip(NEXT) | instid1(VALU_DEP_2)
	v_and_b32_e32 v60, 16, v60
	v_and_b32_e32 v61, 0x1000, v61
	s_delay_alu instid0(VALU_DEP_1) | instskip(SKIP_2) | instid1(VALU_DEP_2)
	v_or3_b32 v233, v247, v60, v61
	v_lshlrev_b32_e32 v60, 4, v248
	v_lshlrev_b32_e32 v61, 11, v248
	v_and_b32_e32 v60, 16, v60
	s_delay_alu instid0(VALU_DEP_2) | instskip(NEXT) | instid1(VALU_DEP_1)
	v_and_b32_e32 v61, 0x1000, v61
	v_or3_b32 v232, v249, v60, v61
	v_lshlrev_b32_e32 v60, 4, v250
	v_lshlrev_b32_e32 v61, 11, v250
	s_delay_alu instid0(VALU_DEP_2) | instskip(NEXT) | instid1(VALU_DEP_2)
	v_and_b32_e32 v60, 16, v60
	v_and_b32_e32 v61, 0x1000, v61
	s_delay_alu instid0(VALU_DEP_1) | instskip(SKIP_2) | instid1(VALU_DEP_2)
	v_or3_b32 v231, v227, v60, v61
	v_lshrrev_b32_e32 v60, 4, v228
	v_lshlrev_b32_e32 v61, 11, v62
	v_and_b32_e32 v60, 0xf0f0f0f, v60
	s_delay_alu instid0(VALU_DEP_2) | instskip(NEXT) | instid1(VALU_DEP_1)
	v_and_b32_e32 v61, 0x1000, v61
	v_or3_b32 v230, v251, v61, v60
	v_lshlrev_b32_e32 v60, 4, v252
	v_lshlrev_b32_e32 v61, 11, v252
	s_delay_alu instid0(VALU_DEP_2) | instskip(NEXT) | instid1(VALU_DEP_2)
	v_and_b32_e32 v60, 16, v60
	v_and_b32_e32 v61, 0x1000, v61
	s_delay_alu instid0(VALU_DEP_1) | instskip(SKIP_2) | instid1(VALU_DEP_2)
	v_or3_b32 v229, v253, v60, v61
	v_lshlrev_b32_e32 v60, 4, v254
	v_lshlrev_b32_e32 v61, 11, v254
	v_and_b32_e32 v60, 16, v60
	s_delay_alu instid0(VALU_DEP_2) | instskip(NEXT) | instid1(VALU_DEP_1)
	v_and_b32_e32 v61, 0x1000, v61
	v_or3_b32 v228, v255, v60, v61
	v_lshlrev_b32_e32 v60, 4, v73
	v_lshlrev_b32_e32 v61, 11, v73
	s_delay_alu instid0(VALU_DEP_2) | instskip(NEXT) | instid1(VALU_DEP_2)
	v_and_b32_e32 v60, 16, v60
	v_and_b32_e32 v61, 0x1000, v61
	s_delay_alu instid0(VALU_DEP_1) | instskip(SKIP_2) | instid1(VALU_DEP_2)
	v_or3_b32 v227, v74, v60, v61
	v_lshrrev_b32_e32 v60, 4, v225
	v_lshlrev_b32_e32 v61, 11, v63
	v_and_b32_e32 v60, 0xf0f0f0f, v60
	s_delay_alu instid0(VALU_DEP_2) | instskip(NEXT) | instid1(VALU_DEP_1)
	v_and_b32_e32 v61, 0x1000, v61
	v_or3_b32 v226, v75, v61, v60
	v_dot4_i32_iu8 v60, v240, v24, 0 neg_lo:[1,1,0]
	v_dot4_i32_iu8 v61, v241, v25, 0 neg_lo:[1,1,0]
	s_delay_alu instid0(VALU_DEP_2) | instskip(NEXT) | instid1(VALU_DEP_2)
	v_cvt_f32_i32_e32 v60, v60
	v_cvt_f32_i32_e32 v61, v61
	s_delay_alu instid0(VALU_DEP_2) | instskip(NEXT) | instid1(VALU_DEP_2)
	v_fma_f32 v60, v0, v60, -v1
	v_fma_f32 v61, v0, v61, -v1
	s_delay_alu instid0(VALU_DEP_2) | instskip(NEXT) | instid1(VALU_DEP_1)
	v_fma_mix_f32 v60, v60, v23, 0 op_sel_hi:[0,1,0]
	v_fma_mix_f32 v60, v61, v23, v60 op_sel_hi:[0,1,0]
	v_dot4_i32_iu8 v61, v239, v26, 0 neg_lo:[1,1,0]
	s_delay_alu instid0(VALU_DEP_1) | instskip(NEXT) | instid1(VALU_DEP_1)
	v_cvt_f32_i32_e32 v61, v61
	v_fma_f32 v61, v0, v61, -v1
	s_delay_alu instid0(VALU_DEP_1) | instskip(SKIP_1) | instid1(VALU_DEP_1)
	v_fma_mix_f32 v60, v61, v23, v60 op_sel_hi:[0,1,0]
	v_dot4_i32_iu8 v61, v238, v27, 0 neg_lo:[1,1,0]
	v_cvt_f32_i32_e32 v61, v61
	s_delay_alu instid0(VALU_DEP_1) | instskip(NEXT) | instid1(VALU_DEP_1)
	v_fma_f32 v61, v0, v61, -v1
	v_fma_mix_f32 v60, v61, v23, v60 op_sel_hi:[0,1,0]
	v_dot4_i32_iu8 v61, v237, v28, 0 neg_lo:[1,1,0]
	s_delay_alu instid0(VALU_DEP_1) | instskip(NEXT) | instid1(VALU_DEP_1)
	v_cvt_f32_i32_e32 v61, v61
	v_fma_f32 v61, v2, v61, -v3
	s_delay_alu instid0(VALU_DEP_1) | instskip(SKIP_1) | instid1(VALU_DEP_1)
	v_fma_mix_f32 v60, v61, v58, v60 op_sel_hi:[0,1,0]
	v_dot4_i32_iu8 v61, v236, v29, 0 neg_lo:[1,1,0]
	v_cvt_f32_i32_e32 v61, v61
	s_delay_alu instid0(VALU_DEP_1) | instskip(NEXT) | instid1(VALU_DEP_1)
	v_fma_f32 v61, v2, v61, -v3
	;; [unrolled: 11-line block ×7, first 2 shown]
	v_fma_mix_f32 v60, v61, v224, v60 op_sel_hi:[0,1,0]
	ds_bpermute_b32 v61, v72, v60
	s_waitcnt lgkmcnt(0)
	v_add_f32_e32 v225, v60, v61
	s_delay_alu instid0(VALU_DEP_1) | instskip(NEXT) | instid1(VALU_DEP_1)
	v_cmp_ngt_f32_e64 s4, 0x3f200000, |v225|
	s_and_saveexec_b32 s18, s4
	s_delay_alu instid0(SALU_CYCLE_1)
	s_xor_b32 s4, exec_lo, s18
	s_cbranch_execz .LBB22_31
; %bb.30:                               ;   in Loop: Header=BB22_17 Depth=1
	v_add_f32_e64 v60, |v225|, |v225|
	s_delay_alu instid0(VALU_DEP_1) | instskip(SKIP_1) | instid1(VALU_DEP_2)
	v_mul_f32_e32 v61, 0x3fb8aa3b, v60
	v_cmp_ngt_f32_e32 vcc_lo, 0xc2ce8ed0, v60
	v_rndne_f32_e32 v62, v61
	v_fma_f32 v63, 0x3fb8aa3b, v60, -v61
	s_delay_alu instid0(VALU_DEP_2) | instskip(NEXT) | instid1(VALU_DEP_2)
	v_sub_f32_e32 v61, v61, v62
	v_fmac_f32_e32 v63, 0x32a5705f, v60
	v_cvt_i32_f32_e32 v62, v62
	s_delay_alu instid0(VALU_DEP_2) | instskip(NEXT) | instid1(VALU_DEP_1)
	v_add_f32_e32 v61, v61, v63
	v_exp_f32_e32 v61, v61
	s_waitcnt_depctr 0xfff
	v_ldexp_f32 v61, v61, v62
	s_delay_alu instid0(VALU_DEP_1) | instskip(SKIP_1) | instid1(VALU_DEP_2)
	v_cndmask_b32_e32 v61, 0, v61, vcc_lo
	v_cmp_nlt_f32_e32 vcc_lo, 0x42b17218, v60
	v_cndmask_b32_e32 v60, 0x7f800000, v61, vcc_lo
	s_delay_alu instid0(VALU_DEP_1) | instskip(NEXT) | instid1(VALU_DEP_1)
	v_add_f32_e32 v60, 1.0, v60
	v_rcp_f32_e32 v60, v60
	s_waitcnt_depctr 0xfff
	v_fma_f32 v242, v60, -2.0, 1.0
.LBB22_31:                              ;   in Loop: Header=BB22_17 Depth=1
	s_and_not1_saveexec_b32 s4, s4
; %bb.32:                               ;   in Loop: Header=BB22_17 Depth=1
	v_mul_f32_e32 v60, v225, v225
	s_delay_alu instid0(VALU_DEP_1) | instskip(NEXT) | instid1(VALU_DEP_1)
	v_fmaak_f32 v61, s11, v60, 0x3ca908c9
	v_fmaak_f32 v61, v60, v61, 0xbd5c1c4e
	s_delay_alu instid0(VALU_DEP_1) | instskip(NEXT) | instid1(VALU_DEP_1)
	v_fmaak_f32 v61, v60, v61, 0x3e088382
	v_fmaak_f32 v61, v60, v61, 0xbeaaaa99
	s_delay_alu instid0(VALU_DEP_1) | instskip(NEXT) | instid1(VALU_DEP_1)
	v_mul_f32_e64 v61, |v225|, v61
	v_fma_f32 v242, v60, v61, |v225|
; %bb.33:                               ;   in Loop: Header=BB22_17 Depth=1
	s_or_b32 exec_lo, exec_lo, s4
	s_delay_alu instid0(VALU_DEP_1) | instskip(SKIP_1) | instid1(VALU_DEP_1)
	v_bfi_b32 v60, 0x7fffffff, v242, v225
	s_and_not1_b32 vcc_lo, exec_lo, s27
	v_mul_f32_e32 v225, s37, v60
	s_cbranch_vccnz .LBB22_35
; %bb.34:                               ;   in Loop: Header=BB22_17 Depth=1
	v_add_co_u32 v242, vcc_lo, v82, s7
	v_add_co_ci_u32_e32 v243, vcc_lo, s13, v83, vcc_lo
	global_load_u16 v60, v[242:243], off
	s_waitcnt vmcnt(0)
	v_fma_mix_f32 v225, v67, v60, v225 op_sel_hi:[0,1,0]
.LBB22_35:                              ;   in Loop: Header=BB22_17 Depth=1
	v_dot4_i32_iu8 v60, v240, v40, 0 neg_lo:[1,1,0]
	v_dot4_i32_iu8 v61, v241, v41, 0 neg_lo:[1,1,0]
	v_cvt_f32_f16_e32 v23, v23
	v_dot4_i32_iu8 v62, v239, v42, 0 neg_lo:[1,1,0]
	v_dot4_i32_iu8 v63, v238, v43, 0 neg_lo:[1,1,0]
	v_cvt_f32_i32_e32 v60, v60
	v_cvt_f32_i32_e32 v61, v61
	v_dot4_i32_iu8 v64, v237, v44, 0 neg_lo:[1,1,0]
	v_cvt_f32_i32_e32 v62, v62
	v_cvt_f32_i32_e32 v63, v63
	v_fma_f32 v60, v8, v60, -v9
	v_fma_f32 v61, v8, v61, -v9
	v_cvt_f32_i32_e32 v64, v64
	v_fma_f32 v62, v8, v62, -v9
	v_fma_f32 v63, v8, v63, -v9
	v_fma_f32 v60, v60, v23, 0
	v_cvt_f32_f16_e32 v58, v58
	v_fma_f32 v64, v10, v64, -v11
	v_cvt_f32_f16_e32 v59, v59
	s_delay_alu instid0(VALU_DEP_4) | instskip(SKIP_1) | instid1(VALU_DEP_2)
	v_fmac_f32_e32 v60, v61, v23
	v_dot4_i32_iu8 v61, v236, v45, 0 neg_lo:[1,1,0]
	v_fmac_f32_e32 v60, v62, v23
	v_dot4_i32_iu8 v62, v235, v46, 0 neg_lo:[1,1,0]
	s_delay_alu instid0(VALU_DEP_3) | instskip(NEXT) | instid1(VALU_DEP_3)
	v_cvt_f32_i32_e32 v61, v61
	v_fmac_f32_e32 v60, v63, v23
	v_dot4_i32_iu8 v23, v234, v47, 0 neg_lo:[1,1,0]
	s_delay_alu instid0(VALU_DEP_4) | instskip(NEXT) | instid1(VALU_DEP_4)
	v_cvt_f32_i32_e32 v62, v62
	v_fma_f32 v61, v10, v61, -v11
	v_dot4_i32_iu8 v63, v233, v48, 0 neg_lo:[1,1,0]
	v_fmac_f32_e32 v60, v64, v58
	v_cvt_f32_i32_e32 v23, v23
	v_fma_f32 v62, v10, v62, -v11
	s_delay_alu instid0(VALU_DEP_4) | instskip(NEXT) | instid1(VALU_DEP_4)
	v_cvt_f32_i32_e32 v63, v63
	v_fmac_f32_e32 v60, v61, v58
	v_dot4_i32_iu8 v61, v232, v49, 0 neg_lo:[1,1,0]
	v_fma_f32 v23, v10, v23, -v11
	s_delay_alu instid0(VALU_DEP_4) | instskip(NEXT) | instid1(VALU_DEP_4)
	v_fma_f32 v63, v12, v63, -v13
	v_fmac_f32_e32 v60, v62, v58
	v_dot4_i32_iu8 v62, v231, v50, 0 neg_lo:[1,1,0]
	v_cvt_f32_i32_e32 v61, v61
	s_delay_alu instid0(VALU_DEP_3) | instskip(SKIP_1) | instid1(VALU_DEP_4)
	v_fmac_f32_e32 v60, v23, v58
	v_dot4_i32_iu8 v23, v230, v51, 0 neg_lo:[1,1,0]
	v_cvt_f32_i32_e32 v58, v62
	s_delay_alu instid0(VALU_DEP_4)
	v_fma_f32 v61, v12, v61, -v13
	v_dot4_i32_iu8 v62, v229, v52, 0 neg_lo:[1,1,0]
	v_fmac_f32_e32 v60, v63, v59
	v_cvt_f32_i32_e32 v23, v23
	v_fma_f32 v58, v12, v58, -v13
	v_dot4_i32_iu8 v63, v227, v54, 0 neg_lo:[1,1,0]
	v_cvt_f32_i32_e32 v62, v62
	v_fmac_f32_e32 v60, v61, v59
	v_dot4_i32_iu8 v61, v228, v53, 0 neg_lo:[1,1,0]
	v_fma_f32 v23, v12, v23, -v13
	s_delay_alu instid0(VALU_DEP_4) | instskip(NEXT) | instid1(VALU_DEP_4)
	v_fma_f32 v62, v14, v62, -v222
	v_fmac_f32_e32 v60, v58, v59
	v_cvt_f32_f16_e64 v58, v224
	v_cvt_f32_i32_e32 v61, v61
	s_delay_alu instid0(VALU_DEP_3) | instskip(SKIP_1) | instid1(VALU_DEP_3)
	v_fmac_f32_e32 v60, v23, v59
	v_cvt_f32_i32_e32 v23, v63
	v_fma_f32 v59, v14, v61, -v222
	v_dot4_i32_iu8 v61, v226, v55, 0 neg_lo:[1,1,0]
	s_delay_alu instid0(VALU_DEP_4) | instskip(NEXT) | instid1(VALU_DEP_4)
	v_fmac_f32_e32 v60, v62, v58
	v_fma_f32 v23, v14, v23, -v222
	s_delay_alu instid0(VALU_DEP_2) | instskip(NEXT) | instid1(VALU_DEP_4)
	v_fmac_f32_e32 v60, v59, v58
	v_cvt_f32_i32_e32 v59, v61
	s_delay_alu instid0(VALU_DEP_2) | instskip(NEXT) | instid1(VALU_DEP_2)
	v_fmac_f32_e32 v60, v23, v58
	v_fma_f32 v23, v14, v59, -v222
	s_delay_alu instid0(VALU_DEP_1) | instskip(SKIP_3) | instid1(VALU_DEP_1)
	v_fmac_f32_e32 v60, v23, v58
                                        ; implicit-def: $vgpr58
	ds_bpermute_b32 v23, v72, v60
	s_waitcnt lgkmcnt(0)
	v_add_f32_e32 v23, v60, v23
	v_cmp_ngt_f32_e64 s4, 0x3f200000, |v23|
	s_delay_alu instid0(VALU_DEP_1) | instskip(NEXT) | instid1(SALU_CYCLE_1)
	s_and_saveexec_b32 s18, s4
	s_xor_b32 s4, exec_lo, s18
	s_cbranch_execz .LBB22_37
; %bb.36:                               ;   in Loop: Header=BB22_17 Depth=1
	v_add_f32_e64 v58, |v23|, |v23|
	s_delay_alu instid0(VALU_DEP_1) | instskip(SKIP_1) | instid1(VALU_DEP_2)
	v_mul_f32_e32 v59, 0x3fb8aa3b, v58
	v_cmp_ngt_f32_e32 vcc_lo, 0xc2ce8ed0, v58
	v_rndne_f32_e32 v60, v59
	v_fma_f32 v61, 0x3fb8aa3b, v58, -v59
	s_delay_alu instid0(VALU_DEP_2) | instskip(NEXT) | instid1(VALU_DEP_2)
	v_sub_f32_e32 v59, v59, v60
	v_fmac_f32_e32 v61, 0x32a5705f, v58
	v_cvt_i32_f32_e32 v60, v60
	s_delay_alu instid0(VALU_DEP_2) | instskip(NEXT) | instid1(VALU_DEP_1)
	v_add_f32_e32 v59, v59, v61
	v_exp_f32_e32 v59, v59
	s_waitcnt_depctr 0xfff
	v_ldexp_f32 v59, v59, v60
	s_delay_alu instid0(VALU_DEP_1) | instskip(SKIP_1) | instid1(VALU_DEP_2)
	v_cndmask_b32_e32 v59, 0, v59, vcc_lo
	v_cmp_nlt_f32_e32 vcc_lo, 0x42b17218, v58
	v_cndmask_b32_e32 v58, 0x7f800000, v59, vcc_lo
	s_delay_alu instid0(VALU_DEP_1) | instskip(NEXT) | instid1(VALU_DEP_1)
	v_add_f32_e32 v58, 1.0, v58
	v_rcp_f32_e32 v58, v58
	s_waitcnt_depctr 0xfff
	v_fma_f32 v58, v58, -2.0, 1.0
.LBB22_37:                              ;   in Loop: Header=BB22_17 Depth=1
	s_and_not1_saveexec_b32 s4, s4
; %bb.38:                               ;   in Loop: Header=BB22_17 Depth=1
	v_mul_f32_e32 v58, v23, v23
	s_delay_alu instid0(VALU_DEP_1) | instskip(NEXT) | instid1(VALU_DEP_1)
	v_fmaak_f32 v59, s11, v58, 0x3ca908c9
	v_fmaak_f32 v59, v58, v59, 0xbd5c1c4e
	s_delay_alu instid0(VALU_DEP_1) | instskip(NEXT) | instid1(VALU_DEP_1)
	v_fmaak_f32 v59, v58, v59, 0x3e088382
	v_fmaak_f32 v59, v58, v59, 0xbeaaaa99
	s_delay_alu instid0(VALU_DEP_1) | instskip(NEXT) | instid1(VALU_DEP_1)
	v_mul_f32_e64 v59, |v23|, v59
	v_fma_f32 v58, v58, v59, |v23|
; %bb.39:                               ;   in Loop: Header=BB22_17 Depth=1
	s_or_b32 exec_lo, exec_lo, s4
	s_delay_alu instid0(VALU_DEP_1) | instskip(SKIP_1) | instid1(VALU_DEP_1)
	v_bfi_b32 v23, 0x7fffffff, v58, v23
	s_and_not1_b32 vcc_lo, exec_lo, s39
	v_mul_f32_e32 v23, s37, v23
	s_cbranch_vccnz .LBB22_41
; %bb.40:                               ;   in Loop: Header=BB22_17 Depth=1
	v_add_co_u32 v58, vcc_lo, v84, s7
	v_add_co_ci_u32_e32 v59, vcc_lo, s13, v85, vcc_lo
	global_load_u16 v58, v[58:59], off
	s_waitcnt vmcnt(0)
	v_fma_mix_f32 v23, v67, v58, v23 op_sel_hi:[0,1,0]
.LBB22_41:                              ;   in Loop: Header=BB22_17 Depth=1
	scratch_load_b32 v61, off, off offset:4 ; 4-byte Folded Reload
	v_add_f32_e32 v58, 0x40051340, v21
	v_dual_add_f32 v59, 0x40051340, v225 :: v_dual_add_f32 v60, 0x40051340, v23
	v_cndmask_b32_e64 v21, v223, v21, s1
	v_add_co_u32 v226, vcc_lo, v88, s9
	s_delay_alu instid0(VALU_DEP_3) | instskip(SKIP_1) | instid1(VALU_DEP_4)
	v_max3_f32 v58, v20, v58, v59
	v_add_f32_e32 v59, 0x40051340, v22
	v_cndmask_b32_e64 v21, v225, v21, s1
	v_cndmask_b32_e64 v22, v23, v22, s1
	v_add_co_ci_u32_e32 v227, vcc_lo, 0, v89, vcc_lo
	s_delay_alu instid0(VALU_DEP_4) | instskip(SKIP_1) | instid1(SALU_CYCLE_1)
	v_max3_f32 v59, v15, v59, v60
	s_add_i32 s8, s8, s10
	s_cmp_ge_i32 s8, s36
	s_waitcnt vmcnt(0)
	ds_bpermute_b32 v60, v61, v58
	s_waitcnt lgkmcnt(0)
	v_max_f32_e32 v60, v60, v60
	s_delay_alu instid0(VALU_DEP_1) | instskip(SKIP_4) | instid1(VALU_DEP_1)
	v_max_f32_e32 v58, v58, v60
	ds_bpermute_b32 v60, v61, v59
	scratch_load_b32 v61, off, off offset:8 ; 4-byte Folded Reload
	s_waitcnt lgkmcnt(0)
	v_max_f32_e32 v60, v60, v60
	v_max_f32_e32 v59, v59, v60
	s_waitcnt vmcnt(0)
	ds_bpermute_b32 v60, v61, v58
	s_waitcnt lgkmcnt(0)
	v_max_f32_e32 v60, v60, v60
	s_delay_alu instid0(VALU_DEP_1) | instskip(SKIP_4) | instid1(VALU_DEP_1)
	v_max_f32_e32 v58, v58, v60
	ds_bpermute_b32 v60, v61, v59
	scratch_load_b32 v61, off, off offset:12 ; 4-byte Folded Reload
	s_waitcnt lgkmcnt(0)
	v_max_f32_e32 v60, v60, v60
	v_max_f32_e32 v59, v59, v60
	s_waitcnt vmcnt(0)
	ds_bpermute_b32 v60, v61, v58
	s_waitcnt lgkmcnt(0)
	v_max_f32_e32 v60, v60, v60
	s_delay_alu instid0(VALU_DEP_1) | instskip(SKIP_3) | instid1(VALU_DEP_1)
	v_max_f32_e32 v58, v58, v60
	ds_bpermute_b32 v60, v61, v59
	s_waitcnt lgkmcnt(0)
	v_max_f32_e32 v60, v60, v60
	v_max_f32_e32 v59, v59, v60
	ds_bpermute_b32 v60, v76, v58
	s_waitcnt lgkmcnt(0)
	v_max_f32_e32 v60, v60, v60
	s_delay_alu instid0(VALU_DEP_1)
	v_max_f32_e32 v58, v58, v60
	global_load_b32 v60, v[226:227], off
	v_add_co_u32 v226, vcc_lo, v86, s9
	v_add_co_ci_u32_e32 v227, vcc_lo, 0, v87, vcc_lo
	v_sub_f32_e32 v20, v20, v58
	v_sub_f32_e32 v21, v21, v58
	s_delay_alu instid0(VALU_DEP_2) | instskip(NEXT) | instid1(VALU_DEP_2)
	v_mul_f32_e32 v23, 0x3fb8aa3b, v20
	v_cmp_ngt_f32_e64 s4, 0xc2ce8ed0, v21
	s_delay_alu instid0(VALU_DEP_2) | instskip(SKIP_1) | instid1(VALU_DEP_1)
	v_fma_f32 v62, 0x3fb8aa3b, v20, -v23
	v_rndne_f32_e32 v63, v23
	v_dual_fmac_f32 v62, 0x32a5705f, v20 :: v_dual_sub_f32 v23, v23, v63
	v_cvt_i32_f32_e32 v63, v63
	s_delay_alu instid0(VALU_DEP_2) | instskip(NEXT) | instid1(VALU_DEP_1)
	v_dual_add_f32 v23, v23, v62 :: v_dual_mul_f32 v62, 0x3fb8aa3b, v21
	v_exp_f32_e32 v23, v23
	s_delay_alu instid0(VALU_DEP_1) | instskip(SKIP_1) | instid1(VALU_DEP_2)
	v_fma_f32 v64, 0x3fb8aa3b, v21, -v62
	v_rndne_f32_e32 v65, v62
	v_fmac_f32_e32 v64, 0x32a5705f, v21
	ds_bpermute_b32 v61, v76, v59
	v_sub_f32_e32 v62, v62, v65
	v_ldexp_f32 v23, v23, v63
	v_cvt_i32_f32_e32 v63, v65
	s_delay_alu instid0(VALU_DEP_3) | instskip(NEXT) | instid1(VALU_DEP_1)
	v_add_f32_e32 v62, v62, v64
	v_exp_f32_e32 v62, v62
	s_waitcnt lgkmcnt(0)
	v_max_f32_e32 v61, v61, v61
	s_waitcnt_depctr 0xfff
	v_ldexp_f32 v62, v62, v63
	v_max_f32_e32 v59, v59, v61
	global_load_b32 v61, v[226:227], off
	v_cndmask_b32_e64 v62, 0, v62, s4
	v_cmp_nlt_f32_e64 s4, 0x42b17218, v21
	v_sub_f32_e32 v15, v15, v59
	v_sub_f32_e32 v22, v22, v59
	s_delay_alu instid0(VALU_DEP_3) | instskip(NEXT) | instid1(VALU_DEP_3)
	v_cndmask_b32_e64 v223, 0x7f800000, v62, s4
	v_mul_f32_e32 v64, 0x3fb8aa3b, v15
	s_delay_alu instid0(VALU_DEP_3) | instskip(NEXT) | instid1(VALU_DEP_3)
	v_cmp_ngt_f32_e32 vcc_lo, 0xc2ce8ed0, v22
	v_cvt_f16_f32_e64 v21, v223
	s_delay_alu instid0(VALU_DEP_3) | instskip(SKIP_1) | instid1(VALU_DEP_2)
	v_fma_f32 v66, 0x3fb8aa3b, v15, -v64
	v_rndne_f32_e32 v68, v64
	v_fmac_f32_e32 v66, 0x32a5705f, v15
	s_delay_alu instid0(VALU_DEP_2) | instskip(NEXT) | instid1(VALU_DEP_1)
	v_sub_f32_e32 v64, v64, v68
	v_add_f32_e32 v64, v64, v66
	v_mul_f32_e32 v66, 0x3fb8aa3b, v22
	s_delay_alu instid0(VALU_DEP_2) | instskip(NEXT) | instid1(VALU_DEP_1)
	v_exp_f32_e32 v64, v64
	v_fma_f32 v73, 0x3fb8aa3b, v22, -v66
	v_rndne_f32_e32 v74, v66
	s_delay_alu instid0(VALU_DEP_2) | instskip(NEXT) | instid1(VALU_DEP_2)
	v_fmac_f32_e32 v73, 0x32a5705f, v22
	v_sub_f32_e32 v66, v66, v74
	v_cvt_i32_f32_e32 v65, v74
	s_delay_alu instid0(VALU_DEP_2) | instskip(NEXT) | instid1(VALU_DEP_1)
	v_add_f32_e32 v66, v66, v73
	v_exp_f32_e32 v63, v66
	s_waitcnt_depctr 0xfff
	v_ldexp_f32 v63, v63, v65
	v_cvt_i32_f32_e32 v65, v68
	s_delay_alu instid0(VALU_DEP_2) | instskip(SKIP_1) | instid1(VALU_DEP_3)
	v_cndmask_b32_e32 v63, 0, v63, vcc_lo
	v_cmp_nlt_f32_e32 vcc_lo, 0x42b17218, v22
	v_ldexp_f32 v226, v64, v65
	s_delay_alu instid0(VALU_DEP_3)
	v_cndmask_b32_e32 v224, 0x7f800000, v63, vcc_lo
	scratch_load_b32 v63, off, off          ; 4-byte Folded Reload
	v_cmp_ngt_f32_e32 vcc_lo, 0xc2ce8ed0, v20
	v_cvt_f16_f32_e64 v62, v224
	s_waitcnt vmcnt(0)
	ds_store_b16 v63, v21
	ds_store_b16 v63, v62 offset:256
	v_ashrrev_i32_e32 v22, v221, v60
	v_cndmask_b32_e32 v21, 0, v23, vcc_lo
	v_cmp_nlt_f32_e32 vcc_lo, 0x42b17218, v20
	s_delay_alu instid0(VALU_DEP_3) | instskip(NEXT) | instid1(VALU_DEP_3)
	v_lshrrev_b32_e32 v60, 8, v22
	v_dual_cndmask_b32 v225, 0x7f800000, v21 :: v_dual_and_b32 v64, 15, v22
	v_cmp_ngt_f32_e32 vcc_lo, 0xc2ce8ed0, v15
	s_delay_alu instid0(VALU_DEP_3) | instskip(NEXT) | instid1(VALU_DEP_3)
	v_and_b32_e32 v60, 15, v60
	v_cvt_f16_u16_e32 v64, v64
	s_delay_alu instid0(VALU_DEP_4) | instskip(SKIP_1) | instid1(VALU_DEP_4)
	v_cvt_f16_f32_e64 v229, v225
	v_fma_f32 v56, v56, v225, v223
	v_cvt_f16_u16_e32 v60, v60
	s_delay_alu instid0(VALU_DEP_1) | instskip(SKIP_2) | instid1(VALU_DEP_3)
	v_pack_b32_f16 v60, v64, v60
	v_lshrrev_b32_e32 v64, 16, v22
	v_bfe_u32 v22, v22, 24, 4
	v_pk_fma_f16 v227, v61, v60, v61 op_sel:[0,0,1] op_sel_hi:[0,1,1]
	s_delay_alu instid0(VALU_DEP_3) | instskip(NEXT) | instid1(VALU_DEP_3)
	v_and_b32_e32 v64, 15, v64
	v_cvt_f16_u16_e32 v22, v22
	s_delay_alu instid0(VALU_DEP_2) | instskip(NEXT) | instid1(VALU_DEP_1)
	v_cvt_f16_u16_e32 v64, v64
	v_pack_b32_f16 v22, v64, v22
	s_delay_alu instid0(VALU_DEP_1)
	v_pk_fma_f16 v228, v61, v22, v61 op_sel:[0,0,1] op_sel_hi:[0,1,1]
	ds_load_b128 v[20:23], v77
	ds_load_b128 v[230:233], v77 offset:16
	ds_load_b128 v[234:237], v77 offset:256
	;; [unrolled: 1-line block ×3, first 2 shown]
	s_waitcnt lgkmcnt(3)
	v_pk_mul_f16 v60, v227, v20 op_sel_hi:[1,0]
	s_delay_alu instid0(VALU_DEP_1) | instskip(SKIP_1) | instid1(VALU_DEP_1)
	v_pk_fma_f16 v60, v229, v16, v60 op_sel_hi:[0,1,1]
	v_pk_mul_f16 v16, v228, v20 op_sel_hi:[1,0]
	v_pk_fma_f16 v17, v229, v17, v16 op_sel_hi:[0,1,1]
	v_cndmask_b32_e32 v16, 0, v226, vcc_lo
	v_cmp_nlt_f32_e32 vcc_lo, 0x42b17218, v15
	s_waitcnt lgkmcnt(1)
	v_pk_mul_f16 v15, v227, v234 op_sel_hi:[1,0]
	s_delay_alu instid0(VALU_DEP_3) | instskip(SKIP_1) | instid1(VALU_DEP_2)
	v_cndmask_b32_e32 v226, 0x7f800000, v16, vcc_lo
	v_pk_mul_f16 v16, v228, v234 op_sel_hi:[1,0]
	v_cvt_f16_f32_e64 v61, v226
	s_delay_alu instid0(VALU_DEP_1) | instskip(SKIP_1) | instid1(VALU_DEP_4)
	v_pk_fma_f16 v18, v61, v18, v15 op_sel_hi:[0,1,1]
	v_add_co_u32 v15, vcc_lo, v92, s9
	v_pk_fma_f16 v19, v61, v19, v16 op_sel_hi:[0,1,1]
	v_add_co_ci_u32_e32 v16, vcc_lo, 0, v93, vcc_lo
	global_load_b32 v61, v[15:16], off
	v_add_co_u32 v15, vcc_lo, v96, s9
	v_add_co_ci_u32_e32 v16, vcc_lo, 0, v97, vcc_lo
	global_load_b32 v62, v[15:16], off
	v_add_co_u32 v15, vcc_lo, v102, s9
	;; [unrolled: 3-line block ×13, first 2 shown]
	v_add_co_ci_u32_e32 v16, vcc_lo, 0, v217, vcc_lo
	global_load_b32 v15, v[15:16], off
	s_waitcnt vmcnt(13)
	v_ashrrev_i32_e32 v16, v221, v61
	s_delay_alu instid0(VALU_DEP_1) | instskip(SKIP_3) | instid1(VALU_DEP_3)
	v_lshrrev_b32_e32 v61, 8, v16
	v_and_b32_e32 v242, 15, v16
	s_waitcnt vmcnt(12)
	v_ashrrev_i32_e32 v62, v221, v62
	v_and_b32_e32 v61, 15, v61
	s_delay_alu instid0(VALU_DEP_3) | instskip(NEXT) | instid1(VALU_DEP_3)
	v_cvt_f16_u16_e64 v242, v242
	v_and_b32_e32 v243, 15, v62
	s_delay_alu instid0(VALU_DEP_3) | instskip(SKIP_2) | instid1(VALU_DEP_3)
	v_cvt_f16_u16_e32 v61, v61
	s_waitcnt vmcnt(11)
	v_ashrrev_i32_e32 v63, v221, v63
	v_cvt_f16_u16_e64 v243, v243
	s_delay_alu instid0(VALU_DEP_3)
	v_pack_b32_f16 v61, v242, v61
	v_lshrrev_b32_e32 v242, 16, v16
	v_bfe_u32 v16, v16, 24, 4
	v_and_b32_e32 v244, 15, v63
	s_waitcnt vmcnt(10)
	v_ashrrev_i32_e32 v64, v221, v64
	v_and_b32_e32 v242, 15, v242
	v_cvt_f16_u16_e32 v16, v16
	v_cvt_f16_u16_e64 v244, v244
	s_delay_alu instid0(VALU_DEP_4) | instskip(NEXT) | instid1(VALU_DEP_4)
	v_and_b32_e32 v245, 15, v64
	v_cvt_f16_u16_e64 v242, v242
	s_waitcnt vmcnt(9)
	v_ashrrev_i32_e32 v65, v221, v65
	s_delay_alu instid0(VALU_DEP_3) | instskip(NEXT) | instid1(VALU_DEP_3)
	v_cvt_f16_u16_e64 v245, v245
	v_pack_b32_f16 v16, v242, v16
	v_lshrrev_b32_e32 v242, 8, v62
	s_delay_alu instid0(VALU_DEP_4) | instskip(SKIP_2) | instid1(VALU_DEP_3)
	v_and_b32_e32 v246, 15, v65
	s_waitcnt vmcnt(8)
	v_ashrrev_i32_e32 v66, v221, v66
	v_and_b32_e32 v242, 15, v242
	s_delay_alu instid0(VALU_DEP_3) | instskip(NEXT) | instid1(VALU_DEP_3)
	v_cvt_f16_u16_e64 v246, v246
	v_and_b32_e32 v247, 15, v66
	s_delay_alu instid0(VALU_DEP_3)
	v_cvt_f16_u16_e64 v242, v242
	s_waitcnt vmcnt(7)
	v_pk_fma_f16 v16, v68, v16, v68 op_sel:[0,0,1] op_sel_hi:[0,1,1]
	v_pk_fma_f16 v61, v68, v61, v68 op_sel:[0,0,1] op_sel_hi:[0,1,1]
	v_cvt_f16_u16_e64 v247, v247
	v_pack_b32_f16 v242, v243, v242
	v_lshrrev_b32_e32 v243, 16, v62
	v_bfe_u32 v62, v62, 24, 4
	v_pk_fma_f16 v17, v16, v20, v17 op_sel:[0,1,0]
	s_waitcnt vmcnt(6)
	v_ashrrev_i32_e32 v73, v221, v73
	v_pk_fma_f16 v16, v16, v234, v19 op_sel:[0,1,0]
	v_and_b32_e32 v243, 15, v243
	v_cvt_f16_u16_e32 v62, v62
	v_pk_fma_f16 v60, v61, v20, v60 op_sel:[0,1,0]
	v_and_b32_e32 v248, 15, v73
	v_pk_fma_f16 v18, v61, v234, v18 op_sel:[0,1,0]
	v_cvt_f16_u16_e64 v243, v243
	s_waitcnt vmcnt(5)
	v_pk_fma_f16 v68, v74, v242, v74 op_sel:[0,0,1] op_sel_hi:[0,1,1]
	v_cvt_f16_u16_e64 v248, v248
	s_delay_alu instid0(VALU_DEP_3) | instskip(SKIP_1) | instid1(VALU_DEP_4)
	v_pack_b32_f16 v62, v243, v62
	v_lshrrev_b32_e32 v243, 8, v63
	v_pk_fma_f16 v20, v68, v21, v60 op_sel_hi:[1,0,1]
	v_pk_fma_f16 v18, v68, v235, v18 op_sel_hi:[1,0,1]
	s_delay_alu instid0(VALU_DEP_4) | instskip(NEXT) | instid1(VALU_DEP_4)
	v_pk_fma_f16 v62, v74, v62, v74 op_sel:[0,0,1] op_sel_hi:[0,1,1]
	v_and_b32_e32 v243, 15, v243
	s_delay_alu instid0(VALU_DEP_2) | instskip(NEXT) | instid1(VALU_DEP_2)
	v_pk_fma_f16 v17, v62, v21, v17 op_sel_hi:[1,0,1]
	v_cvt_f16_u16_e64 v243, v243
	v_pk_fma_f16 v16, v62, v235, v16 op_sel_hi:[1,0,1]
	s_delay_alu instid0(VALU_DEP_2) | instskip(SKIP_3) | instid1(VALU_DEP_3)
	v_pack_b32_f16 v243, v244, v243
	v_lshrrev_b32_e32 v244, 16, v63
	v_bfe_u32 v63, v63, 24, 4
	s_waitcnt vmcnt(4)
	v_pk_fma_f16 v74, v75, v243, v75 op_sel:[0,0,1] op_sel_hi:[0,1,1]
	s_delay_alu instid0(VALU_DEP_3) | instskip(NEXT) | instid1(VALU_DEP_3)
	v_and_b32_e32 v244, 15, v244
	v_cvt_f16_u16_e32 v63, v63
	s_delay_alu instid0(VALU_DEP_3) | instskip(NEXT) | instid1(VALU_DEP_3)
	v_pk_fma_f16 v20, v74, v21, v20 op_sel:[0,1,0]
	v_cvt_f16_u16_e64 v244, v244
	v_pk_fma_f16 v18, v74, v235, v18 op_sel:[0,1,0]
	s_delay_alu instid0(VALU_DEP_2) | instskip(SKIP_1) | instid1(VALU_DEP_2)
	v_pack_b32_f16 v63, v244, v63
	v_lshrrev_b32_e32 v244, 8, v64
	v_pk_fma_f16 v63, v75, v63, v75 op_sel:[0,0,1] op_sel_hi:[0,1,1]
	s_delay_alu instid0(VALU_DEP_2) | instskip(NEXT) | instid1(VALU_DEP_2)
	v_and_b32_e32 v244, 15, v244
	v_pk_fma_f16 v17, v63, v21, v17 op_sel:[0,1,0]
	s_delay_alu instid0(VALU_DEP_2) | instskip(SKIP_1) | instid1(VALU_DEP_2)
	v_cvt_f16_u16_e64 v244, v244
	v_pk_fma_f16 v16, v63, v235, v16 op_sel:[0,1,0]
	v_pack_b32_f16 v244, v245, v244
	v_lshrrev_b32_e32 v245, 16, v64
	v_bfe_u32 v64, v64, 24, 4
	s_waitcnt vmcnt(3)
	s_delay_alu instid0(VALU_DEP_3) | instskip(NEXT) | instid1(VALU_DEP_3)
	v_pk_fma_f16 v75, v227, v244, v227 op_sel:[0,0,1] op_sel_hi:[0,1,1]
	v_and_b32_e32 v245, 15, v245
	s_delay_alu instid0(VALU_DEP_3) | instskip(NEXT) | instid1(VALU_DEP_3)
	v_cvt_f16_u16_e32 v64, v64
	v_pk_fma_f16 v20, v75, v22, v20 op_sel_hi:[1,0,1]
	s_delay_alu instid0(VALU_DEP_3) | instskip(SKIP_1) | instid1(VALU_DEP_2)
	v_cvt_f16_u16_e64 v245, v245
	v_pk_fma_f16 v18, v75, v236, v18 op_sel_hi:[1,0,1]
	v_pack_b32_f16 v64, v245, v64
	v_lshrrev_b32_e32 v245, 8, v65
	s_delay_alu instid0(VALU_DEP_2) | instskip(NEXT) | instid1(VALU_DEP_2)
	v_pk_fma_f16 v64, v227, v64, v227 op_sel:[0,0,1] op_sel_hi:[0,1,1]
	v_and_b32_e32 v245, 15, v245
	s_delay_alu instid0(VALU_DEP_2) | instskip(NEXT) | instid1(VALU_DEP_2)
	v_pk_fma_f16 v17, v64, v22, v17 op_sel_hi:[1,0,1]
	v_cvt_f16_u16_e64 v245, v245
	v_pk_fma_f16 v16, v64, v236, v16 op_sel_hi:[1,0,1]
	s_delay_alu instid0(VALU_DEP_2) | instskip(SKIP_3) | instid1(VALU_DEP_3)
	v_pack_b32_f16 v245, v246, v245
	v_lshrrev_b32_e32 v246, 16, v65
	v_bfe_u32 v65, v65, 24, 4
	s_waitcnt vmcnt(2)
	v_pk_fma_f16 v227, v228, v245, v228 op_sel:[0,0,1] op_sel_hi:[0,1,1]
	s_delay_alu instid0(VALU_DEP_3) | instskip(NEXT) | instid1(VALU_DEP_3)
	v_and_b32_e32 v246, 15, v246
	v_cvt_f16_u16_e32 v65, v65
	s_delay_alu instid0(VALU_DEP_3) | instskip(NEXT) | instid1(VALU_DEP_3)
	v_pk_fma_f16 v20, v227, v22, v20 op_sel:[0,1,0]
	v_cvt_f16_u16_e64 v246, v246
	v_pk_fma_f16 v18, v227, v236, v18 op_sel:[0,1,0]
	s_delay_alu instid0(VALU_DEP_2) | instskip(SKIP_1) | instid1(VALU_DEP_2)
	v_pack_b32_f16 v65, v246, v65
	v_lshrrev_b32_e32 v246, 8, v66
	v_pk_fma_f16 v65, v228, v65, v228 op_sel:[0,0,1] op_sel_hi:[0,1,1]
	s_delay_alu instid0(VALU_DEP_2) | instskip(NEXT) | instid1(VALU_DEP_2)
	v_and_b32_e32 v246, 15, v246
	v_pk_fma_f16 v17, v65, v22, v17 op_sel:[0,1,0]
	s_delay_alu instid0(VALU_DEP_2) | instskip(SKIP_1) | instid1(VALU_DEP_2)
	v_cvt_f16_u16_e64 v246, v246
	v_pk_fma_f16 v16, v65, v236, v16 op_sel:[0,1,0]
	v_pack_b32_f16 v246, v247, v246
	v_lshrrev_b32_e32 v247, 16, v66
	v_bfe_u32 v66, v66, 24, 4
	s_waitcnt vmcnt(1)
	s_delay_alu instid0(VALU_DEP_3) | instskip(NEXT) | instid1(VALU_DEP_3)
	v_pk_fma_f16 v228, v229, v246, v229 op_sel:[0,0,1] op_sel_hi:[0,1,1]
	v_and_b32_e32 v247, 15, v247
	s_delay_alu instid0(VALU_DEP_3) | instskip(NEXT) | instid1(VALU_DEP_3)
	v_cvt_f16_u16_e32 v66, v66
	v_pk_fma_f16 v20, v228, v23, v20 op_sel_hi:[1,0,1]
	s_delay_alu instid0(VALU_DEP_3) | instskip(SKIP_1) | instid1(VALU_DEP_2)
	v_cvt_f16_u16_e64 v247, v247
	v_pk_fma_f16 v18, v228, v237, v18 op_sel_hi:[1,0,1]
	v_pack_b32_f16 v66, v247, v66
	v_lshrrev_b32_e32 v247, 8, v73
	s_delay_alu instid0(VALU_DEP_2) | instskip(NEXT) | instid1(VALU_DEP_2)
	v_pk_fma_f16 v66, v229, v66, v229 op_sel:[0,0,1] op_sel_hi:[0,1,1]
	v_and_b32_e32 v247, 15, v247
	s_delay_alu instid0(VALU_DEP_2) | instskip(NEXT) | instid1(VALU_DEP_2)
	v_pk_fma_f16 v17, v66, v23, v17 op_sel_hi:[1,0,1]
	v_cvt_f16_u16_e64 v247, v247
	v_pk_fma_f16 v16, v66, v237, v16 op_sel_hi:[1,0,1]
	s_delay_alu instid0(VALU_DEP_2) | instskip(SKIP_3) | instid1(VALU_DEP_3)
	v_pack_b32_f16 v247, v248, v247
	v_lshrrev_b32_e32 v248, 16, v73
	v_bfe_u32 v73, v73, 24, 4
	s_waitcnt vmcnt(0)
	v_pk_fma_f16 v229, v15, v247, v15 op_sel:[0,0,1] op_sel_hi:[0,1,1]
	s_delay_alu instid0(VALU_DEP_3) | instskip(NEXT) | instid1(VALU_DEP_3)
	v_and_b32_e32 v248, 15, v248
	v_cvt_f16_u16_e32 v73, v73
	s_delay_alu instid0(VALU_DEP_3) | instskip(NEXT) | instid1(VALU_DEP_3)
	v_pk_fma_f16 v20, v229, v23, v20 op_sel:[0,1,0]
	v_cvt_f16_u16_e64 v248, v248
	v_pk_fma_f16 v18, v229, v237, v18 op_sel:[0,1,0]
	s_delay_alu instid0(VALU_DEP_2) | instskip(NEXT) | instid1(VALU_DEP_1)
	v_pack_b32_f16 v73, v248, v73
	v_pk_fma_f16 v15, v15, v73, v15 op_sel:[0,0,1] op_sel_hi:[0,1,1]
	s_delay_alu instid0(VALU_DEP_1)
	v_pk_fma_f16 v17, v15, v23, v17 op_sel:[0,1,0]
	v_pk_fma_f16 v19, v15, v237, v16 op_sel:[0,1,0]
	v_add_co_u32 v15, vcc_lo, v210, s9
	v_add_co_ci_u32_e32 v16, vcc_lo, 0, v211, vcc_lo
	global_load_b32 v21, v[15:16], off
	v_add_co_u32 v15, vcc_lo, v206, s9
	v_add_co_ci_u32_e32 v16, vcc_lo, 0, v207, vcc_lo
	global_load_b32 v22, v[15:16], off
	;; [unrolled: 3-line block ×16, first 2 shown]
	s_waitcnt vmcnt(15)
	v_ashrrev_i32_e32 v16, v221, v21
	s_delay_alu instid0(VALU_DEP_1) | instskip(SKIP_3) | instid1(VALU_DEP_3)
	v_lshrrev_b32_e32 v21, 8, v16
	v_and_b32_e32 v228, 15, v16
	s_waitcnt vmcnt(14)
	v_ashrrev_i32_e32 v22, v221, v22
	v_and_b32_e32 v21, 15, v21
	s_delay_alu instid0(VALU_DEP_3) | instskip(NEXT) | instid1(VALU_DEP_3)
	v_cvt_f16_u16_e64 v228, v228
	v_and_b32_e32 v229, 15, v22
	s_delay_alu instid0(VALU_DEP_3) | instskip(NEXT) | instid1(VALU_DEP_2)
	v_cvt_f16_u16_e32 v21, v21
	v_cvt_f16_u16_e64 v229, v229
	s_delay_alu instid0(VALU_DEP_2) | instskip(SKIP_2) | instid1(VALU_DEP_2)
	v_pack_b32_f16 v21, v228, v21
	v_lshrrev_b32_e32 v228, 16, v16
	v_bfe_u32 v16, v16, 24, 4
	v_and_b32_e32 v228, 15, v228
	s_delay_alu instid0(VALU_DEP_2) | instskip(NEXT) | instid1(VALU_DEP_2)
	v_cvt_f16_u16_e32 v16, v16
	v_cvt_f16_u16_e64 v228, v228
	s_delay_alu instid0(VALU_DEP_1) | instskip(SKIP_2) | instid1(VALU_DEP_2)
	v_pack_b32_f16 v16, v228, v16
	v_lshrrev_b32_e32 v228, 8, v22
	s_waitcnt vmcnt(13)
	v_pk_fma_f16 v16, v23, v16, v23 op_sel:[0,0,1] op_sel_hi:[0,1,1]
	s_delay_alu instid0(VALU_DEP_2) | instskip(NEXT) | instid1(VALU_DEP_2)
	v_and_b32_e32 v228, 15, v228
	v_pk_fma_f16 v17, v16, v230, v17 op_sel_hi:[1,0,1]
	s_delay_alu instid0(VALU_DEP_2)
	v_cvt_f16_u16_e64 v228, v228
	s_waitcnt vmcnt(9)
	v_ashrrev_i32_e32 v63, v221, v63
	s_waitcnt lgkmcnt(0)
	v_pk_fma_f16 v16, v16, v238, v19 op_sel_hi:[1,0,1]
	v_pack_b32_f16 v228, v229, v228
	v_lshrrev_b32_e32 v229, 16, v22
	v_bfe_u32 v22, v22, 24, 4
	v_and_b32_e32 v234, 15, v63
	s_delay_alu instid0(VALU_DEP_3) | instskip(NEXT) | instid1(VALU_DEP_3)
	v_and_b32_e32 v229, 15, v229
	v_cvt_f16_u16_e32 v22, v22
	s_delay_alu instid0(VALU_DEP_3) | instskip(NEXT) | instid1(VALU_DEP_3)
	v_cvt_f16_u16_e64 v234, v234
	v_cvt_f16_u16_e64 v229, v229
	s_delay_alu instid0(VALU_DEP_1) | instskip(SKIP_3) | instid1(VALU_DEP_4)
	v_pack_b32_f16 v22, v229, v22
	v_pk_fma_f16 v229, v23, v21, v23 op_sel:[0,0,1] op_sel_hi:[0,1,1]
	v_ashrrev_i32_e32 v21, v221, v61
	v_pk_fma_f16 v23, v60, v228, v60 op_sel:[0,0,1] op_sel_hi:[0,1,1]
	v_pk_fma_f16 v60, v60, v22, v60 op_sel:[0,0,1] op_sel_hi:[0,1,1]
	s_delay_alu instid0(VALU_DEP_4) | instskip(NEXT) | instid1(VALU_DEP_4)
	v_pk_fma_f16 v20, v229, v230, v20 op_sel_hi:[1,0,1]
	v_and_b32_e32 v61, 15, v21
	v_lshrrev_b32_e32 v22, 8, v21
	v_fma_f32 v57, v57, v226, v224
	v_pk_fma_f16 v17, v60, v230, v17 op_sel:[0,1,0]
	v_pk_fma_f16 v20, v23, v230, v20 op_sel:[0,1,0]
	v_cvt_f16_u16_e32 v61, v61
	v_and_b32_e32 v22, 15, v22
	v_pk_fma_f16 v16, v60, v238, v16 op_sel:[0,1,0]
	s_delay_alu instid0(VALU_DEP_2) | instskip(NEXT) | instid1(VALU_DEP_1)
	v_cvt_f16_u16_e32 v22, v22
	v_pack_b32_f16 v22, v61, v22
	v_lshrrev_b32_e32 v61, 16, v21
	v_bfe_u32 v21, v21, 24, 4
	s_delay_alu instid0(VALU_DEP_2) | instskip(NEXT) | instid1(VALU_DEP_2)
	v_and_b32_e32 v61, 15, v61
	v_cvt_f16_u16_e32 v21, v21
	s_delay_alu instid0(VALU_DEP_2) | instskip(NEXT) | instid1(VALU_DEP_1)
	v_cvt_f16_u16_e32 v61, v61
	v_pack_b32_f16 v21, v61, v21
	v_ashrrev_i32_e32 v61, v221, v62
	s_delay_alu instid0(VALU_DEP_1) | instskip(SKIP_1) | instid1(VALU_DEP_2)
	v_lshrrev_b32_e32 v62, 8, v61
	v_and_b32_e32 v228, 15, v61
	v_and_b32_e32 v62, 15, v62
	s_delay_alu instid0(VALU_DEP_2) | instskip(NEXT) | instid1(VALU_DEP_2)
	v_cvt_f16_u16_e64 v228, v228
	v_cvt_f16_u16_e32 v62, v62
	s_delay_alu instid0(VALU_DEP_1) | instskip(SKIP_3) | instid1(VALU_DEP_3)
	v_pack_b32_f16 v62, v228, v62
	v_lshrrev_b32_e32 v228, 16, v61
	v_bfe_u32 v61, v61, 24, 4
	s_waitcnt vmcnt(7)
	v_pk_fma_f16 v62, v65, v62, v65 op_sel:[0,0,1] op_sel_hi:[0,1,1]
	s_delay_alu instid0(VALU_DEP_3) | instskip(NEXT) | instid1(VALU_DEP_3)
	v_and_b32_e32 v228, 15, v228
	v_cvt_f16_u16_e32 v61, v61
	s_delay_alu instid0(VALU_DEP_2) | instskip(NEXT) | instid1(VALU_DEP_1)
	v_cvt_f16_u16_e64 v228, v228
	v_pack_b32_f16 v61, v228, v61
	v_lshrrev_b32_e32 v228, 8, v63
	s_delay_alu instid0(VALU_DEP_2) | instskip(NEXT) | instid1(VALU_DEP_2)
	v_pk_fma_f16 v61, v65, v61, v65 op_sel:[0,0,1] op_sel_hi:[0,1,1]
	v_and_b32_e32 v228, 15, v228
	s_delay_alu instid0(VALU_DEP_1) | instskip(NEXT) | instid1(VALU_DEP_1)
	v_cvt_f16_u16_e64 v228, v228
	v_pack_b32_f16 v228, v234, v228
	v_lshrrev_b32_e32 v234, 16, v63
	v_bfe_u32 v63, v63, 24, 4
	s_waitcnt vmcnt(6)
	s_delay_alu instid0(VALU_DEP_3) | instskip(NEXT) | instid1(VALU_DEP_3)
	v_pk_fma_f16 v65, v66, v228, v66 op_sel:[0,0,1] op_sel_hi:[0,1,1]
	v_and_b32_e32 v234, 15, v234
	s_delay_alu instid0(VALU_DEP_3) | instskip(NEXT) | instid1(VALU_DEP_2)
	v_cvt_f16_u16_e32 v63, v63
	v_cvt_f16_u16_e64 v234, v234
	s_delay_alu instid0(VALU_DEP_1)
	v_pack_b32_f16 v63, v234, v63
	v_pk_fma_f16 v234, v64, v22, v64 op_sel:[0,0,1] op_sel_hi:[0,1,1]
	v_pk_fma_f16 v64, v64, v21, v64 op_sel:[0,0,1] op_sel_hi:[0,1,1]
	s_waitcnt vmcnt(5)
	v_ashrrev_i32_e32 v21, v221, v68
	v_pk_fma_f16 v63, v66, v63, v66 op_sel:[0,0,1] op_sel_hi:[0,1,1]
	v_pk_fma_f16 v20, v234, v231, v20 op_sel_hi:[1,0,1]
	v_pk_fma_f16 v17, v64, v231, v17 op_sel_hi:[1,0,1]
	s_delay_alu instid0(VALU_DEP_4)
	v_lshrrev_b32_e32 v22, 8, v21
	v_and_b32_e32 v66, 15, v21
	v_pk_fma_f16 v16, v64, v239, v16 op_sel_hi:[1,0,1]
	v_pk_fma_f16 v20, v62, v231, v20 op_sel:[0,1,0]
	v_pk_fma_f16 v17, v61, v231, v17 op_sel:[0,1,0]
	v_and_b32_e32 v22, 15, v22
	v_cvt_f16_u16_e32 v66, v66
	v_pk_fma_f16 v16, v61, v239, v16 op_sel:[0,1,0]
	v_pk_fma_f16 v20, v65, v232, v20 op_sel_hi:[1,0,1]
	v_pk_fma_f16 v17, v63, v232, v17 op_sel_hi:[1,0,1]
	v_cvt_f16_u16_e32 v22, v22
	s_delay_alu instid0(VALU_DEP_4) | instskip(NEXT) | instid1(VALU_DEP_2)
	v_pk_fma_f16 v16, v63, v240, v16 op_sel_hi:[1,0,1]
	v_pack_b32_f16 v22, v66, v22
	v_lshrrev_b32_e32 v66, 16, v21
	v_bfe_u32 v21, v21, 24, 4
	s_delay_alu instid0(VALU_DEP_2) | instskip(NEXT) | instid1(VALU_DEP_2)
	v_and_b32_e32 v66, 15, v66
	v_cvt_f16_u16_e32 v21, v21
	s_delay_alu instid0(VALU_DEP_2) | instskip(NEXT) | instid1(VALU_DEP_1)
	v_cvt_f16_u16_e32 v66, v66
	v_pack_b32_f16 v21, v66, v21
	s_waitcnt vmcnt(4)
	v_ashrrev_i32_e32 v66, v221, v73
	s_delay_alu instid0(VALU_DEP_1) | instskip(SKIP_1) | instid1(VALU_DEP_2)
	v_lshrrev_b32_e32 v68, 8, v66
	v_and_b32_e32 v73, 15, v66
	v_and_b32_e32 v68, 15, v68
	s_delay_alu instid0(VALU_DEP_2) | instskip(NEXT) | instid1(VALU_DEP_2)
	v_cvt_f16_u16_e32 v73, v73
	v_cvt_f16_u16_e32 v68, v68
	s_delay_alu instid0(VALU_DEP_1) | instskip(SKIP_3) | instid1(VALU_DEP_3)
	v_pack_b32_f16 v68, v73, v68
	v_lshrrev_b32_e32 v73, 16, v66
	v_bfe_u32 v66, v66, 24, 4
	s_waitcnt vmcnt(1)
	v_pk_fma_f16 v68, v227, v68, v227 op_sel:[0,0,1] op_sel_hi:[0,1,1]
	s_delay_alu instid0(VALU_DEP_3) | instskip(NEXT) | instid1(VALU_DEP_3)
	v_and_b32_e32 v73, 15, v73
	v_cvt_f16_u16_e32 v66, v66
	s_delay_alu instid0(VALU_DEP_2) | instskip(NEXT) | instid1(VALU_DEP_1)
	v_cvt_f16_u16_e32 v73, v73
	v_pack_b32_f16 v66, v73, v66
	v_ashrrev_i32_e32 v73, v221, v74
	s_delay_alu instid0(VALU_DEP_2) | instskip(NEXT) | instid1(VALU_DEP_2)
	v_pk_fma_f16 v66, v227, v66, v227 op_sel:[0,0,1] op_sel_hi:[0,1,1]
	v_lshrrev_b32_e32 v74, 8, v73
	v_and_b32_e32 v228, 15, v73
	s_delay_alu instid0(VALU_DEP_2) | instskip(NEXT) | instid1(VALU_DEP_2)
	v_and_b32_e32 v74, 15, v74
	v_cvt_f16_u16_e64 v228, v228
	s_delay_alu instid0(VALU_DEP_2) | instskip(NEXT) | instid1(VALU_DEP_1)
	v_cvt_f16_u16_e32 v74, v74
	v_pack_b32_f16 v74, v228, v74
	v_lshrrev_b32_e32 v228, 16, v73
	v_bfe_u32 v73, v73, 24, 4
	s_waitcnt vmcnt(0)
	s_delay_alu instid0(VALU_DEP_3) | instskip(NEXT) | instid1(VALU_DEP_3)
	v_pk_fma_f16 v74, v15, v74, v15 op_sel:[0,0,1] op_sel_hi:[0,1,1]
	v_and_b32_e32 v228, 15, v228
	s_delay_alu instid0(VALU_DEP_3) | instskip(NEXT) | instid1(VALU_DEP_2)
	v_cvt_f16_u16_e32 v73, v73
	v_cvt_f16_u16_e64 v228, v228
	s_delay_alu instid0(VALU_DEP_1) | instskip(SKIP_2) | instid1(VALU_DEP_3)
	v_pack_b32_f16 v73, v228, v73
	v_pk_fma_f16 v228, v75, v22, v75 op_sel:[0,0,1] op_sel_hi:[0,1,1]
	v_pk_fma_f16 v75, v75, v21, v75 op_sel:[0,0,1] op_sel_hi:[0,1,1]
	;; [unrolled: 1-line block ×3, first 2 shown]
	s_delay_alu instid0(VALU_DEP_3) | instskip(NEXT) | instid1(VALU_DEP_3)
	v_pk_fma_f16 v20, v228, v232, v20 op_sel:[0,1,0]
	v_pk_fma_f16 v17, v75, v232, v17 op_sel:[0,1,0]
	;; [unrolled: 1-line block ×3, first 2 shown]
	s_delay_alu instid0(VALU_DEP_3) | instskip(NEXT) | instid1(VALU_DEP_3)
	v_pk_fma_f16 v20, v68, v233, v20 op_sel_hi:[1,0,1]
	v_pk_fma_f16 v17, v66, v233, v17 op_sel_hi:[1,0,1]
	s_delay_alu instid0(VALU_DEP_3) | instskip(NEXT) | instid1(VALU_DEP_3)
	v_pk_fma_f16 v16, v66, v241, v16 op_sel_hi:[1,0,1]
	v_pk_fma_f16 v21, v74, v233, v20 op_sel:[0,1,0]
	s_delay_alu instid0(VALU_DEP_3) | instskip(SKIP_1) | instid1(VALU_DEP_4)
	v_pk_fma_f16 v22, v15, v233, v17 op_sel:[0,1,0]
	v_pk_fma_f16 v17, v229, v238, v18 op_sel_hi:[1,0,1]
	v_pk_fma_f16 v20, v15, v241, v16 op_sel:[0,1,0]
	v_add_co_u32 v15, vcc_lo, v178, s9
	v_add_co_ci_u32_e32 v16, vcc_lo, 0, v179, vcc_lo
	s_delay_alu instid0(VALU_DEP_4) | instskip(NEXT) | instid1(VALU_DEP_1)
	v_pk_fma_f16 v17, v23, v238, v17 op_sel:[0,1,0]
	v_pk_fma_f16 v17, v234, v239, v17 op_sel_hi:[1,0,1]
	s_delay_alu instid0(VALU_DEP_1) | instskip(NEXT) | instid1(VALU_DEP_1)
	v_pk_fma_f16 v17, v62, v239, v17 op_sel:[0,1,0]
	v_pk_fma_f16 v17, v65, v240, v17 op_sel_hi:[1,0,1]
	s_delay_alu instid0(VALU_DEP_1) | instskip(NEXT) | instid1(VALU_DEP_1)
	v_pk_fma_f16 v17, v228, v240, v17 op_sel:[0,1,0]
	v_pk_fma_f16 v17, v68, v241, v17 op_sel_hi:[1,0,1]
	s_delay_alu instid0(VALU_DEP_1)
	v_pk_fma_f16 v19, v74, v241, v17 op_sel:[0,1,0]
	global_load_b32 v17, v[15:16], off
	v_add_co_u32 v15, vcc_lo, v174, s9
	v_add_co_ci_u32_e32 v16, vcc_lo, 0, v175, vcc_lo
	global_load_b32 v18, v[15:16], off
	v_add_co_u32 v15, vcc_lo, v180, s9
	v_add_co_ci_u32_e32 v16, vcc_lo, 0, v181, vcc_lo
	;; [unrolled: 3-line block ×15, first 2 shown]
	global_load_b32 v15, v[15:16], off
	s_waitcnt vmcnt(15)
	v_ashrrev_i32_e32 v16, v221, v17
	s_delay_alu instid0(VALU_DEP_1) | instskip(SKIP_3) | instid1(VALU_DEP_3)
	v_lshrrev_b32_e32 v17, 8, v16
	v_and_b32_e32 v23, 15, v16
	s_waitcnt vmcnt(14)
	v_ashrrev_i32_e32 v18, v221, v18
	v_and_b32_e32 v17, 15, v17
	s_delay_alu instid0(VALU_DEP_3) | instskip(NEXT) | instid1(VALU_DEP_3)
	v_cvt_f16_u16_e32 v23, v23
	v_and_b32_e32 v227, 15, v18
	s_delay_alu instid0(VALU_DEP_3) | instskip(NEXT) | instid1(VALU_DEP_2)
	v_cvt_f16_u16_e32 v17, v17
	v_cvt_f16_u16_e64 v227, v227
	s_delay_alu instid0(VALU_DEP_2) | instskip(SKIP_2) | instid1(VALU_DEP_2)
	v_pack_b32_f16 v17, v23, v17
	v_lshrrev_b32_e32 v23, 16, v16
	v_bfe_u32 v16, v16, 24, 4
	v_and_b32_e32 v23, 15, v23
	s_delay_alu instid0(VALU_DEP_2) | instskip(NEXT) | instid1(VALU_DEP_2)
	v_cvt_f16_u16_e32 v16, v16
	v_cvt_f16_u16_e32 v23, v23
	s_delay_alu instid0(VALU_DEP_1) | instskip(SKIP_1) | instid1(VALU_DEP_1)
	v_pack_b32_f16 v16, v23, v16
	v_lshrrev_b32_e32 v23, 8, v18
	v_and_b32_e32 v23, 15, v23
	s_delay_alu instid0(VALU_DEP_1) | instskip(NEXT) | instid1(VALU_DEP_1)
	v_cvt_f16_u16_e32 v23, v23
	v_pack_b32_f16 v228, v227, v23
	v_lshrrev_b32_e32 v23, 16, v18
	v_bfe_u32 v18, v18, 24, 4
	s_waitcnt vmcnt(13)
	v_pk_fma_f16 v227, v60, v16, v60 op_sel:[0,0,1] op_sel_hi:[0,1,1]
	s_waitcnt vmcnt(11)
	v_ashrrev_i32_e32 v16, v221, v62
	v_pk_fma_f16 v228, v61, v228, v61 op_sel:[0,0,1] op_sel_hi:[0,1,1]
	v_and_b32_e32 v23, 15, v23
	v_cvt_f16_u16_e32 v18, v18
	s_delay_alu instid0(VALU_DEP_2) | instskip(NEXT) | instid1(VALU_DEP_1)
	v_cvt_f16_u16_e32 v23, v23
	v_pack_b32_f16 v18, v23, v18
	v_pk_fma_f16 v23, v60, v17, v60 op_sel:[0,0,1] op_sel_hi:[0,1,1]
	v_lshrrev_b32_e32 v17, 8, v16
	s_delay_alu instid0(VALU_DEP_3) | instskip(SKIP_1) | instid1(VALU_DEP_3)
	v_pk_fma_f16 v229, v61, v18, v61 op_sel:[0,0,1] op_sel_hi:[0,1,1]
	v_and_b32_e32 v18, 15, v16
	v_and_b32_e32 v17, 15, v17
	s_delay_alu instid0(VALU_DEP_2) | instskip(NEXT) | instid1(VALU_DEP_2)
	v_cvt_f16_u16_e32 v18, v18
	v_cvt_f16_u16_e32 v17, v17
	s_delay_alu instid0(VALU_DEP_1) | instskip(SKIP_3) | instid1(VALU_DEP_3)
	v_pack_b32_f16 v17, v18, v17
	v_lshrrev_b32_e32 v18, 16, v16
	v_bfe_u32 v16, v16, 24, 4
	s_waitcnt vmcnt(8)
	v_pk_fma_f16 v230, v65, v17, v65 op_sel:[0,0,1] op_sel_hi:[0,1,1]
	s_delay_alu instid0(VALU_DEP_3) | instskip(NEXT) | instid1(VALU_DEP_3)
	v_and_b32_e32 v18, 15, v18
	v_cvt_f16_u16_e32 v16, v16
	s_delay_alu instid0(VALU_DEP_2) | instskip(NEXT) | instid1(VALU_DEP_1)
	v_cvt_f16_u16_e32 v18, v18
	v_pack_b32_f16 v16, v18, v16
	v_ashrrev_i32_e32 v18, v221, v63
	s_delay_alu instid0(VALU_DEP_2) | instskip(NEXT) | instid1(VALU_DEP_2)
	v_pk_fma_f16 v231, v65, v16, v65 op_sel:[0,0,1] op_sel_hi:[0,1,1]
	v_lshrrev_b32_e32 v60, 8, v18
	v_and_b32_e32 v61, 15, v18
	s_waitcnt vmcnt(5)
	v_ashrrev_i32_e32 v16, v221, v73
	s_delay_alu instid0(VALU_DEP_3) | instskip(NEXT) | instid1(VALU_DEP_3)
	v_and_b32_e32 v60, 15, v60
	v_cvt_f16_u16_e32 v61, v61
	s_delay_alu instid0(VALU_DEP_3) | instskip(NEXT) | instid1(VALU_DEP_3)
	v_lshrrev_b32_e32 v17, 8, v16
	v_cvt_f16_u16_e32 v60, v60
	s_delay_alu instid0(VALU_DEP_2) | instskip(NEXT) | instid1(VALU_DEP_2)
	v_and_b32_e32 v17, 15, v17
	v_pack_b32_f16 v60, v61, v60
	v_lshrrev_b32_e32 v61, 16, v18
	v_bfe_u32 v18, v18, 24, 4
	s_delay_alu instid0(VALU_DEP_4) | instskip(NEXT) | instid1(VALU_DEP_4)
	v_cvt_f16_u16_e32 v17, v17
	v_pk_fma_f16 v232, v66, v60, v66 op_sel:[0,0,1] op_sel_hi:[0,1,1]
	s_delay_alu instid0(VALU_DEP_4) | instskip(NEXT) | instid1(VALU_DEP_4)
	v_and_b32_e32 v61, 15, v61
	v_cvt_f16_u16_e32 v18, v18
	s_delay_alu instid0(VALU_DEP_2) | instskip(NEXT) | instid1(VALU_DEP_1)
	v_cvt_f16_u16_e32 v61, v61
	v_pack_b32_f16 v18, v61, v18
	v_ashrrev_i32_e32 v61, v221, v64
	s_delay_alu instid0(VALU_DEP_2) | instskip(NEXT) | instid1(VALU_DEP_2)
	v_pk_fma_f16 v233, v66, v18, v66 op_sel:[0,0,1] op_sel_hi:[0,1,1]
	v_lshrrev_b32_e32 v62, 8, v61
	v_and_b32_e32 v18, 15, v16
	v_and_b32_e32 v63, 15, v61
	s_delay_alu instid0(VALU_DEP_3) | instskip(NEXT) | instid1(VALU_DEP_3)
	v_and_b32_e32 v62, 15, v62
	v_cvt_f16_u16_e32 v18, v18
	s_delay_alu instid0(VALU_DEP_3) | instskip(NEXT) | instid1(VALU_DEP_3)
	v_cvt_f16_u16_e32 v63, v63
	v_cvt_f16_u16_e32 v62, v62
	s_delay_alu instid0(VALU_DEP_3) | instskip(SKIP_2) | instid1(VALU_DEP_4)
	v_pack_b32_f16 v17, v18, v17
	v_lshrrev_b32_e32 v18, 16, v16
	v_bfe_u32 v16, v16, 24, 4
	v_pack_b32_f16 v62, v63, v62
	v_lshrrev_b32_e32 v63, 16, v61
	s_delay_alu instid0(VALU_DEP_4)
	v_and_b32_e32 v18, 15, v18
	v_bfe_u32 v61, v61, 24, 4
	v_cvt_f16_u16_e32 v16, v16
	v_pk_fma_f16 v234, v68, v62, v68 op_sel:[0,0,1] op_sel_hi:[0,1,1]
	v_and_b32_e32 v63, 15, v63
	v_cvt_f16_u16_e32 v18, v18
	v_cvt_f16_u16_e32 v61, v61
	s_waitcnt vmcnt(2)
	v_pk_fma_f16 v236, v237, v17, v237 op_sel:[0,0,1] op_sel_hi:[0,1,1]
	v_cvt_f16_u16_e32 v63, v63
	v_pack_b32_f16 v16, v18, v16
	v_ashrrev_i32_e32 v18, v221, v74
	s_delay_alu instid0(VALU_DEP_3) | instskip(NEXT) | instid1(VALU_DEP_3)
	v_pack_b32_f16 v61, v63, v61
	v_pk_fma_f16 v237, v237, v16, v237 op_sel:[0,0,1] op_sel_hi:[0,1,1]
	s_delay_alu instid0(VALU_DEP_3) | instskip(NEXT) | instid1(VALU_DEP_3)
	v_lshrrev_b32_e32 v60, 8, v18
	v_pk_fma_f16 v235, v68, v61, v68 op_sel:[0,0,1] op_sel_hi:[0,1,1]
	v_and_b32_e32 v61, 15, v18
	s_delay_alu instid0(VALU_DEP_3) | instskip(NEXT) | instid1(VALU_DEP_2)
	v_and_b32_e32 v60, 15, v60
	v_cvt_f16_u16_e32 v61, v61
	s_delay_alu instid0(VALU_DEP_2) | instskip(NEXT) | instid1(VALU_DEP_1)
	v_cvt_f16_u16_e32 v60, v60
	v_pack_b32_f16 v60, v61, v60
	v_lshrrev_b32_e32 v61, 16, v18
	v_bfe_u32 v18, v18, 24, 4
	s_waitcnt vmcnt(1)
	s_delay_alu instid0(VALU_DEP_3) | instskip(NEXT) | instid1(VALU_DEP_3)
	v_pk_fma_f16 v238, v239, v60, v239 op_sel:[0,0,1] op_sel_hi:[0,1,1]
	v_and_b32_e32 v61, 15, v61
	s_delay_alu instid0(VALU_DEP_3) | instskip(NEXT) | instid1(VALU_DEP_2)
	v_cvt_f16_u16_e32 v18, v18
	v_cvt_f16_u16_e32 v61, v61
	s_delay_alu instid0(VALU_DEP_1) | instskip(SKIP_1) | instid1(VALU_DEP_2)
	v_pack_b32_f16 v18, v61, v18
	v_ashrrev_i32_e32 v61, v221, v75
	v_pk_fma_f16 v239, v239, v18, v239 op_sel:[0,0,1] op_sel_hi:[0,1,1]
	s_delay_alu instid0(VALU_DEP_2) | instskip(SKIP_1) | instid1(VALU_DEP_2)
	v_lshrrev_b32_e32 v62, 8, v61
	v_and_b32_e32 v63, 15, v61
	v_and_b32_e32 v62, 15, v62
	s_delay_alu instid0(VALU_DEP_2) | instskip(NEXT) | instid1(VALU_DEP_2)
	v_cvt_f16_u16_e32 v63, v63
	v_cvt_f16_u16_e32 v62, v62
	s_delay_alu instid0(VALU_DEP_1) | instskip(SKIP_3) | instid1(VALU_DEP_3)
	v_pack_b32_f16 v62, v63, v62
	v_lshrrev_b32_e32 v63, 16, v61
	v_bfe_u32 v61, v61, 24, 4
	s_waitcnt vmcnt(0)
	v_pk_fma_f16 v240, v15, v62, v15 op_sel:[0,0,1] op_sel_hi:[0,1,1]
	s_delay_alu instid0(VALU_DEP_3) | instskip(NEXT) | instid1(VALU_DEP_3)
	v_and_b32_e32 v63, 15, v63
	v_cvt_f16_u16_e32 v61, v61
	s_delay_alu instid0(VALU_DEP_2) | instskip(NEXT) | instid1(VALU_DEP_1)
	v_cvt_f16_u16_e32 v63, v63
	v_pack_b32_f16 v61, v63, v61
	s_delay_alu instid0(VALU_DEP_1)
	v_pk_fma_f16 v241, v15, v61, v15 op_sel:[0,0,1] op_sel_hi:[0,1,1]
	ds_load_b128 v[15:18], v77 offset:32
	ds_load_b128 v[242:245], v77 offset:48
	s_waitcnt lgkmcnt(1)
	v_pk_fma_f16 v21, v23, v15, v21 op_sel_hi:[1,0,1]
	v_pk_fma_f16 v22, v227, v15, v22 op_sel_hi:[1,0,1]
	s_delay_alu instid0(VALU_DEP_2) | instskip(NEXT) | instid1(VALU_DEP_2)
	v_pk_fma_f16 v21, v228, v15, v21 op_sel:[0,1,0]
	v_pk_fma_f16 v15, v229, v15, v22 op_sel:[0,1,0]
	s_delay_alu instid0(VALU_DEP_2) | instskip(NEXT) | instid1(VALU_DEP_2)
	v_pk_fma_f16 v21, v230, v16, v21 op_sel_hi:[1,0,1]
	v_pk_fma_f16 v15, v231, v16, v15 op_sel_hi:[1,0,1]
	s_delay_alu instid0(VALU_DEP_2) | instskip(NEXT) | instid1(VALU_DEP_2)
	v_pk_fma_f16 v21, v232, v16, v21 op_sel:[0,1,0]
	v_pk_fma_f16 v15, v233, v16, v15 op_sel:[0,1,0]
	s_delay_alu instid0(VALU_DEP_2) | instskip(NEXT) | instid1(VALU_DEP_2)
	;; [unrolled: 6-line block ×3, first 2 shown]
	v_pk_fma_f16 v16, v238, v18, v16 op_sel_hi:[1,0,1]
	v_pk_fma_f16 v15, v239, v18, v15 op_sel_hi:[1,0,1]
	s_delay_alu instid0(VALU_DEP_2) | instskip(NEXT) | instid1(VALU_DEP_2)
	v_pk_fma_f16 v21, v240, v18, v16 op_sel:[0,1,0]
	v_pk_fma_f16 v22, v241, v18, v15 op_sel:[0,1,0]
	ds_load_b128 v[15:18], v77 offset:288
	ds_load_b128 v[246:249], v77 offset:304
	s_waitcnt lgkmcnt(1)
	v_pk_fma_f16 v19, v23, v15, v19 op_sel_hi:[1,0,1]
	v_pk_fma_f16 v20, v227, v15, v20 op_sel_hi:[1,0,1]
	s_delay_alu instid0(VALU_DEP_2) | instskip(NEXT) | instid1(VALU_DEP_2)
	v_pk_fma_f16 v19, v228, v15, v19 op_sel:[0,1,0]
	v_pk_fma_f16 v15, v229, v15, v20 op_sel:[0,1,0]
	s_delay_alu instid0(VALU_DEP_2) | instskip(NEXT) | instid1(VALU_DEP_2)
	v_pk_fma_f16 v19, v230, v16, v19 op_sel_hi:[1,0,1]
	v_pk_fma_f16 v15, v231, v16, v15 op_sel_hi:[1,0,1]
	s_delay_alu instid0(VALU_DEP_2) | instskip(NEXT) | instid1(VALU_DEP_2)
	v_pk_fma_f16 v19, v232, v16, v19 op_sel:[0,1,0]
	v_pk_fma_f16 v15, v233, v16, v15 op_sel:[0,1,0]
	s_delay_alu instid0(VALU_DEP_2) | instskip(NEXT) | instid1(VALU_DEP_2)
	;; [unrolled: 6-line block ×3, first 2 shown]
	v_pk_fma_f16 v16, v238, v18, v16 op_sel_hi:[1,0,1]
	v_pk_fma_f16 v15, v239, v18, v15 op_sel_hi:[1,0,1]
	s_delay_alu instid0(VALU_DEP_2) | instskip(NEXT) | instid1(VALU_DEP_2)
	v_pk_fma_f16 v19, v240, v18, v16 op_sel:[0,1,0]
	v_pk_fma_f16 v20, v241, v18, v15 op_sel:[0,1,0]
	v_add_co_u32 v15, vcc_lo, v146, s9
	v_add_co_ci_u32_e32 v16, vcc_lo, 0, v147, vcc_lo
	global_load_b32 v17, v[15:16], off
	v_add_co_u32 v15, vcc_lo, v142, s9
	v_add_co_ci_u32_e32 v16, vcc_lo, 0, v143, vcc_lo
	global_load_b32 v18, v[15:16], off
	;; [unrolled: 3-line block ×15, first 2 shown]
	v_add_co_u32 v15, vcc_lo, v120, s9
	v_add_co_ci_u32_e32 v16, vcc_lo, 0, v121, vcc_lo
	v_add_co_u32 v78, vcc_lo, v78, s5
	v_add_co_ci_u32_e32 v79, vcc_lo, 0, v79, vcc_lo
	global_load_b32 v15, v[15:16], off
	v_add_co_u32 v80, vcc_lo, v80, s5
	v_add_co_ci_u32_e32 v81, vcc_lo, 0, v81, vcc_lo
	v_add_co_u32 v70, vcc_lo, v70, s16
	v_add_co_ci_u32_e32 v71, vcc_lo, s17, v71, vcc_lo
	;; [unrolled: 2-line block ×49, first 2 shown]
	v_add_co_u32 v176, vcc_lo, v176, s6
	s_waitcnt vmcnt(15)
	v_ashrrev_i32_e32 v16, v221, v17
	v_add_co_ci_u32_e32 v177, vcc_lo, 0, v177, vcc_lo
	v_add_co_u32 v178, vcc_lo, v178, s6
	s_delay_alu instid0(VALU_DEP_3)
	v_lshrrev_b32_e32 v17, 8, v16
	v_and_b32_e32 v228, 15, v16
	v_add_co_ci_u32_e32 v179, vcc_lo, 0, v179, vcc_lo
	s_waitcnt vmcnt(14)
	v_ashrrev_i32_e32 v18, v221, v18
	v_and_b32_e32 v17, 15, v17
	v_cvt_f16_u16_e64 v228, v228
	v_add_co_u32 v180, vcc_lo, v180, s6
	s_delay_alu instid0(VALU_DEP_4) | instskip(NEXT) | instid1(VALU_DEP_4)
	v_and_b32_e32 v229, 15, v18
	v_cvt_f16_u16_e32 v17, v17
	v_add_co_ci_u32_e32 v181, vcc_lo, 0, v181, vcc_lo
	v_add_co_u32 v182, vcc_lo, v182, s6
	s_delay_alu instid0(VALU_DEP_3) | instskip(SKIP_4) | instid1(VALU_DEP_4)
	v_pack_b32_f16 v17, v228, v17
	v_lshrrev_b32_e32 v228, 16, v16
	v_bfe_u32 v16, v16, 24, 4
	v_cvt_f16_u16_e64 v229, v229
	v_add_co_ci_u32_e32 v183, vcc_lo, 0, v183, vcc_lo
	v_and_b32_e32 v228, 15, v228
	s_delay_alu instid0(VALU_DEP_4) | instskip(SKIP_2) | instid1(VALU_DEP_4)
	v_cvt_f16_u16_e32 v16, v16
	v_add_co_u32 v184, vcc_lo, v184, s6
	v_add_co_ci_u32_e32 v185, vcc_lo, 0, v185, vcc_lo
	v_cvt_f16_u16_e64 v228, v228
	v_add_co_u32 v186, vcc_lo, v186, s6
	v_add_co_ci_u32_e32 v187, vcc_lo, 0, v187, vcc_lo
	s_delay_alu instid0(VALU_DEP_3) | instskip(SKIP_3) | instid1(VALU_DEP_3)
	v_pack_b32_f16 v16, v228, v16
	v_lshrrev_b32_e32 v228, 8, v18
	v_add_co_u32 v188, vcc_lo, v188, s6
	v_add_co_ci_u32_e32 v189, vcc_lo, 0, v189, vcc_lo
	v_and_b32_e32 v228, 15, v228
	v_add_co_u32 v190, vcc_lo, v190, s6
	v_add_co_ci_u32_e32 v191, vcc_lo, 0, v191, vcc_lo
	s_delay_alu instid0(VALU_DEP_3) | instskip(SKIP_2) | instid1(VALU_DEP_3)
	v_cvt_f16_u16_e64 v228, v228
	v_add_co_u32 v192, vcc_lo, v192, s6
	v_add_co_ci_u32_e32 v193, vcc_lo, 0, v193, vcc_lo
	v_pack_b32_f16 v228, v229, v228
	v_lshrrev_b32_e32 v229, 16, v18
	v_bfe_u32 v18, v18, 24, 4
	v_add_co_u32 v194, vcc_lo, v194, s6
	s_waitcnt vmcnt(12)
	v_pk_fma_f16 v228, v60, v228, v60 op_sel:[0,0,1] op_sel_hi:[0,1,1]
	v_and_b32_e32 v229, 15, v229
	v_cvt_f16_u16_e32 v18, v18
	v_add_co_ci_u32_e32 v195, vcc_lo, 0, v195, vcc_lo
	v_add_co_u32 v196, vcc_lo, v196, s6
	s_delay_alu instid0(VALU_DEP_4) | instskip(SKIP_2) | instid1(VALU_DEP_3)
	v_cvt_f16_u16_e64 v229, v229
	v_add_co_ci_u32_e32 v197, vcc_lo, 0, v197, vcc_lo
	v_add_co_u32 v198, vcc_lo, v198, s6
	v_pack_b32_f16 v18, v229, v18
	v_pk_fma_f16 v229, v23, v17, v23 op_sel:[0,0,1] op_sel_hi:[0,1,1]
	v_pk_fma_f16 v23, v23, v16, v23 op_sel:[0,0,1] op_sel_hi:[0,1,1]
	s_waitcnt vmcnt(11)
	v_ashrrev_i32_e32 v16, v221, v61
	v_add_co_ci_u32_e32 v199, vcc_lo, 0, v199, vcc_lo
	v_pk_fma_f16 v60, v60, v18, v60 op_sel:[0,0,1] op_sel_hi:[0,1,1]
	s_waitcnt lgkmcnt(0)
	v_pk_fma_f16 v19, v229, v246, v19 op_sel_hi:[1,0,1]
	v_lshrrev_b32_e32 v17, 8, v16
	v_and_b32_e32 v18, 15, v16
	v_add_co_u32 v200, vcc_lo, v200, s6
	s_delay_alu instid0(VALU_DEP_4) | instskip(NEXT) | instid1(VALU_DEP_4)
	v_pk_fma_f16 v19, v228, v246, v19 op_sel:[0,1,0]
	v_and_b32_e32 v17, 15, v17
	s_delay_alu instid0(VALU_DEP_4) | instskip(SKIP_2) | instid1(VALU_DEP_4)
	v_cvt_f16_u16_e32 v18, v18
	v_add_co_ci_u32_e32 v201, vcc_lo, 0, v201, vcc_lo
	v_add_co_u32 v202, vcc_lo, v202, s6
	v_cvt_f16_u16_e32 v17, v17
	v_add_co_ci_u32_e32 v203, vcc_lo, 0, v203, vcc_lo
	v_add_co_u32 v204, vcc_lo, v204, s6
	s_delay_alu instid0(VALU_DEP_3) | instskip(SKIP_4) | instid1(VALU_DEP_4)
	v_pack_b32_f16 v17, v18, v17
	v_lshrrev_b32_e32 v18, 16, v16
	v_bfe_u32 v16, v16, 24, 4
	v_add_co_ci_u32_e32 v205, vcc_lo, 0, v205, vcc_lo
	v_add_co_u32 v206, vcc_lo, v206, s6
	v_and_b32_e32 v18, 15, v18
	s_delay_alu instid0(VALU_DEP_4) | instskip(SKIP_2) | instid1(VALU_DEP_4)
	v_cvt_f16_u16_e32 v16, v16
	v_add_co_ci_u32_e32 v207, vcc_lo, 0, v207, vcc_lo
	v_add_co_u32 v208, vcc_lo, v208, s6
	v_cvt_f16_u16_e32 v18, v18
	v_add_co_ci_u32_e32 v209, vcc_lo, 0, v209, vcc_lo
	v_add_co_u32 v210, vcc_lo, v210, s6
	s_delay_alu instid0(VALU_DEP_3) | instskip(SKIP_4) | instid1(VALU_DEP_3)
	v_pack_b32_f16 v16, v18, v16
	s_waitcnt vmcnt(10)
	v_ashrrev_i32_e32 v18, v221, v62
	v_add_co_ci_u32_e32 v211, vcc_lo, 0, v211, vcc_lo
	v_add_co_u32 v212, vcc_lo, v212, s6
	v_lshrrev_b32_e32 v61, 8, v18
	v_and_b32_e32 v62, 15, v18
	v_add_co_ci_u32_e32 v213, vcc_lo, 0, v213, vcc_lo
	v_add_co_u32 v214, vcc_lo, v214, s6
	s_delay_alu instid0(VALU_DEP_4) | instskip(NEXT) | instid1(VALU_DEP_4)
	v_and_b32_e32 v61, 15, v61
	v_cvt_f16_u16_e32 v62, v62
	v_add_co_ci_u32_e32 v215, vcc_lo, 0, v215, vcc_lo
	v_add_co_u32 v216, vcc_lo, v216, s6
	s_delay_alu instid0(VALU_DEP_4) | instskip(SKIP_1) | instid1(VALU_DEP_2)
	v_cvt_f16_u16_e32 v61, v61
	v_add_co_ci_u32_e32 v217, vcc_lo, 0, v217, vcc_lo
	v_pack_b32_f16 v61, v62, v61
	v_lshrrev_b32_e32 v62, 16, v18
	v_bfe_u32 v18, v18, 24, 4
	s_waitcnt vmcnt(7)
	s_delay_alu instid0(VALU_DEP_3) | instskip(NEXT) | instid1(VALU_DEP_3)
	v_pk_fma_f16 v61, v65, v61, v65 op_sel:[0,0,1] op_sel_hi:[0,1,1]
	v_and_b32_e32 v62, 15, v62
	s_delay_alu instid0(VALU_DEP_3) | instskip(NEXT) | instid1(VALU_DEP_2)
	v_cvt_f16_u16_e32 v18, v18
	v_cvt_f16_u16_e32 v62, v62
	s_delay_alu instid0(VALU_DEP_1) | instskip(SKIP_1) | instid1(VALU_DEP_2)
	v_pack_b32_f16 v18, v62, v18
	v_ashrrev_i32_e32 v62, v221, v63
	v_pk_fma_f16 v65, v65, v18, v65 op_sel:[0,0,1] op_sel_hi:[0,1,1]
	s_delay_alu instid0(VALU_DEP_2) | instskip(SKIP_1) | instid1(VALU_DEP_2)
	v_lshrrev_b32_e32 v63, 8, v62
	v_and_b32_e32 v230, 15, v62
	v_and_b32_e32 v63, 15, v63
	s_delay_alu instid0(VALU_DEP_2) | instskip(NEXT) | instid1(VALU_DEP_2)
	v_cvt_f16_u16_e64 v230, v230
	v_cvt_f16_u16_e32 v63, v63
	s_delay_alu instid0(VALU_DEP_1) | instskip(SKIP_3) | instid1(VALU_DEP_3)
	v_pack_b32_f16 v63, v230, v63
	v_lshrrev_b32_e32 v230, 16, v62
	v_bfe_u32 v62, v62, 24, 4
	s_waitcnt vmcnt(6)
	v_pk_fma_f16 v18, v66, v63, v66 op_sel:[0,0,1] op_sel_hi:[0,1,1]
	s_delay_alu instid0(VALU_DEP_3) | instskip(NEXT) | instid1(VALU_DEP_3)
	v_and_b32_e32 v230, 15, v230
	v_cvt_f16_u16_e32 v62, v62
	s_delay_alu instid0(VALU_DEP_2) | instskip(NEXT) | instid1(VALU_DEP_1)
	v_cvt_f16_u16_e64 v230, v230
	v_pack_b32_f16 v62, v230, v62
	v_pk_fma_f16 v230, v64, v17, v64 op_sel:[0,0,1] op_sel_hi:[0,1,1]
	v_pk_fma_f16 v64, v64, v16, v64 op_sel:[0,0,1] op_sel_hi:[0,1,1]
	s_waitcnt vmcnt(5)
	v_ashrrev_i32_e32 v16, v221, v68
	v_pk_fma_f16 v62, v66, v62, v66 op_sel:[0,0,1] op_sel_hi:[0,1,1]
	v_pk_fma_f16 v19, v230, v247, v19 op_sel_hi:[1,0,1]
	s_delay_alu instid0(VALU_DEP_3) | instskip(SKIP_1) | instid1(VALU_DEP_3)
	v_lshrrev_b32_e32 v17, 8, v16
	v_and_b32_e32 v63, 15, v16
	v_pk_fma_f16 v19, v61, v247, v19 op_sel:[0,1,0]
	s_delay_alu instid0(VALU_DEP_3) | instskip(NEXT) | instid1(VALU_DEP_3)
	v_and_b32_e32 v17, 15, v17
	v_cvt_f16_u16_e32 v63, v63
	s_delay_alu instid0(VALU_DEP_2) | instskip(NEXT) | instid1(VALU_DEP_1)
	v_cvt_f16_u16_e32 v17, v17
	v_pack_b32_f16 v17, v63, v17
	v_lshrrev_b32_e32 v63, 16, v16
	v_bfe_u32 v16, v16, 24, 4
	s_delay_alu instid0(VALU_DEP_2) | instskip(NEXT) | instid1(VALU_DEP_2)
	v_and_b32_e32 v63, 15, v63
	v_cvt_f16_u16_e32 v16, v16
	s_delay_alu instid0(VALU_DEP_2) | instskip(NEXT) | instid1(VALU_DEP_1)
	v_cvt_f16_u16_e32 v63, v63
	v_pack_b32_f16 v16, v63, v16
	s_waitcnt vmcnt(4)
	v_ashrrev_i32_e32 v63, v221, v73
	s_delay_alu instid0(VALU_DEP_1) | instskip(SKIP_1) | instid1(VALU_DEP_2)
	v_lshrrev_b32_e32 v66, 8, v63
	v_and_b32_e32 v68, 15, v63
	v_and_b32_e32 v66, 15, v66
	s_delay_alu instid0(VALU_DEP_2) | instskip(NEXT) | instid1(VALU_DEP_2)
	v_cvt_f16_u16_e32 v68, v68
	v_cvt_f16_u16_e32 v66, v66
	s_delay_alu instid0(VALU_DEP_1) | instskip(SKIP_3) | instid1(VALU_DEP_3)
	v_pack_b32_f16 v66, v68, v66
	v_lshrrev_b32_e32 v68, 16, v63
	v_bfe_u32 v63, v63, 24, 4
	s_waitcnt vmcnt(1)
	v_pk_fma_f16 v66, v227, v66, v227 op_sel:[0,0,1] op_sel_hi:[0,1,1]
	s_delay_alu instid0(VALU_DEP_3) | instskip(NEXT) | instid1(VALU_DEP_3)
	v_and_b32_e32 v68, 15, v68
	v_cvt_f16_u16_e32 v63, v63
	s_delay_alu instid0(VALU_DEP_2) | instskip(NEXT) | instid1(VALU_DEP_1)
	v_cvt_f16_u16_e32 v68, v68
	v_pack_b32_f16 v63, v68, v63
	v_ashrrev_i32_e32 v68, v221, v74
	s_delay_alu instid0(VALU_DEP_2) | instskip(NEXT) | instid1(VALU_DEP_2)
	v_pk_fma_f16 v63, v227, v63, v227 op_sel:[0,0,1] op_sel_hi:[0,1,1]
	v_lshrrev_b32_e32 v73, 8, v68
	v_and_b32_e32 v74, 15, v68
	s_delay_alu instid0(VALU_DEP_2) | instskip(NEXT) | instid1(VALU_DEP_2)
	v_and_b32_e32 v73, 15, v73
	v_cvt_f16_u16_e32 v74, v74
	s_delay_alu instid0(VALU_DEP_2) | instskip(NEXT) | instid1(VALU_DEP_1)
	v_cvt_f16_u16_e32 v73, v73
	v_pack_b32_f16 v73, v74, v73
	v_lshrrev_b32_e32 v74, 16, v68
	v_bfe_u32 v68, v68, 24, 4
	s_waitcnt vmcnt(0)
	s_delay_alu instid0(VALU_DEP_3) | instskip(NEXT) | instid1(VALU_DEP_3)
	v_pk_fma_f16 v73, v15, v73, v15 op_sel:[0,0,1] op_sel_hi:[0,1,1]
	v_and_b32_e32 v74, 15, v74
	s_delay_alu instid0(VALU_DEP_3) | instskip(NEXT) | instid1(VALU_DEP_2)
	v_cvt_f16_u16_e32 v68, v68
	v_cvt_f16_u16_e32 v74, v74
	s_delay_alu instid0(VALU_DEP_1)
	v_pack_b32_f16 v68, v74, v68
	v_pk_fma_f16 v74, v75, v17, v75 op_sel:[0,0,1] op_sel_hi:[0,1,1]
	v_pk_fma_f16 v75, v75, v16, v75 op_sel:[0,0,1] op_sel_hi:[0,1,1]
	v_pk_fma_f16 v16, v229, v242, v21 op_sel_hi:[1,0,1]
	v_pk_fma_f16 v17, v23, v242, v22 op_sel_hi:[1,0,1]
	v_pk_fma_f16 v15, v15, v68, v15 op_sel:[0,0,1] op_sel_hi:[0,1,1]
	s_delay_alu instid0(VALU_DEP_3) | instskip(NEXT) | instid1(VALU_DEP_3)
	v_pk_fma_f16 v16, v228, v242, v16 op_sel:[0,1,0]
	v_pk_fma_f16 v17, v60, v242, v17 op_sel:[0,1,0]
	s_delay_alu instid0(VALU_DEP_2) | instskip(NEXT) | instid1(VALU_DEP_2)
	v_pk_fma_f16 v16, v230, v243, v16 op_sel_hi:[1,0,1]
	v_pk_fma_f16 v17, v64, v243, v17 op_sel_hi:[1,0,1]
	s_delay_alu instid0(VALU_DEP_2) | instskip(NEXT) | instid1(VALU_DEP_2)
	v_pk_fma_f16 v16, v61, v243, v16 op_sel:[0,1,0]
	v_pk_fma_f16 v17, v65, v243, v17 op_sel:[0,1,0]
	s_delay_alu instid0(VALU_DEP_2) | instskip(SKIP_2) | instid1(VALU_DEP_4)
	v_pk_fma_f16 v16, v18, v244, v16 op_sel_hi:[1,0,1]
	v_pk_fma_f16 v18, v18, v248, v19 op_sel_hi:[1,0,1]
	;; [unrolled: 1-line block ×4, first 2 shown]
	s_delay_alu instid0(VALU_DEP_4) | instskip(NEXT) | instid1(VALU_DEP_4)
	v_pk_fma_f16 v16, v74, v244, v16 op_sel:[0,1,0]
	v_pk_fma_f16 v18, v74, v248, v18 op_sel:[0,1,0]
	s_delay_alu instid0(VALU_DEP_4) | instskip(NEXT) | instid1(VALU_DEP_4)
	v_pk_fma_f16 v19, v60, v246, v19 op_sel:[0,1,0]
	v_pk_fma_f16 v17, v75, v244, v17 op_sel:[0,1,0]
	s_delay_alu instid0(VALU_DEP_4) | instskip(NEXT) | instid1(VALU_DEP_4)
	v_pk_fma_f16 v16, v66, v245, v16 op_sel_hi:[1,0,1]
	v_pk_fma_f16 v18, v66, v249, v18 op_sel_hi:[1,0,1]
	s_delay_alu instid0(VALU_DEP_4) | instskip(NEXT) | instid1(VALU_DEP_4)
	v_pk_fma_f16 v19, v64, v247, v19 op_sel_hi:[1,0,1]
	v_pk_fma_f16 v17, v63, v245, v17 op_sel_hi:[1,0,1]
	s_delay_alu instid0(VALU_DEP_4) | instskip(NEXT) | instid1(VALU_DEP_4)
	v_pk_fma_f16 v16, v73, v245, v16 op_sel:[0,1,0]
	v_pk_fma_f16 v18, v73, v249, v18 op_sel:[0,1,0]
	s_delay_alu instid0(VALU_DEP_4) | instskip(NEXT) | instid1(VALU_DEP_4)
	v_pk_fma_f16 v19, v65, v247, v19 op_sel:[0,1,0]
	v_pk_fma_f16 v17, v15, v245, v17 op_sel:[0,1,0]
	s_delay_alu instid0(VALU_DEP_2) | instskip(NEXT) | instid1(VALU_DEP_1)
	v_pk_fma_f16 v19, v62, v248, v19 op_sel_hi:[1,0,1]
	v_pk_fma_f16 v19, v75, v248, v19 op_sel:[0,1,0]
	s_delay_alu instid0(VALU_DEP_1) | instskip(NEXT) | instid1(VALU_DEP_1)
	v_pk_fma_f16 v19, v63, v249, v19 op_sel_hi:[1,0,1]
	v_pk_fma_f16 v19, v15, v249, v19 op_sel:[0,1,0]
	s_cbranch_scc1 .LBB22_43
; %bb.42:                               ;   in Loop: Header=BB22_17 Depth=1
	v_dual_mov_b32 v20, v58 :: v_dual_mov_b32 v15, v59
	s_branch .LBB22_17
.LBB22_43:
	scratch_load_b32 v63, off, off offset:32 ; 4-byte Folded Reload
	v_mbcnt_lo_u32_b32 v64, -1, 0
	s_waitcnt vmcnt(0)
	ds_store_b128 v63, v[16:19]
	s_clause 0x4
	scratch_load_b32 v60, off, off offset:16
	scratch_load_b32 v61, off, off offset:20
	;; [unrolled: 1-line block ×5, first 2 shown]
.LBB22_44:
	s_cmp_eq_u64 s[24:25], 0
	s_cselect_b32 s1, -1, 0
	s_cmp_lg_u32 s14, 0
	s_cselect_b32 s4, -1, 0
	s_delay_alu instid0(SALU_CYCLE_1) | instskip(NEXT) | instid1(SALU_CYCLE_1)
	s_or_b32 s1, s4, s1
	s_or_b32 s0, s0, s1
	s_delay_alu instid0(SALU_CYCLE_1) | instskip(NEXT) | instid1(SALU_CYCLE_1)
	s_xor_b32 s0, s0, -1
	s_and_saveexec_b32 s1, s0
	s_cbranch_execz .LBB22_46
; %bb.45:
	s_ashr_i32 s13, s12, 31
	s_waitcnt vmcnt(3)
	v_cmp_eq_u32_e32 vcc_lo, 1, v61
	s_lshl_b64 s[4:5], s[12:13], 2
	s_delay_alu instid0(SALU_CYCLE_1) | instskip(SKIP_3) | instid1(VALU_DEP_1)
	s_add_u32 s4, s24, s4
	s_addc_u32 s5, s25, s5
	s_load_b32 s0, s[4:5], 0x0
	v_cndmask_b32_e32 v0, v58, v59, vcc_lo
	v_max_f32_e32 v1, v0, v0
	s_waitcnt lgkmcnt(0)
	v_max_f32_e64 v2, s0, s0
	s_delay_alu instid0(VALU_DEP_1) | instskip(NEXT) | instid1(VALU_DEP_1)
	v_max_f32_e32 v2, v2, v1
	v_sub_f32_e32 v3, s0, v2
	v_sub_f32_e32 v4, v0, v2
	s_delay_alu instid0(VALU_DEP_2) | instskip(SKIP_1) | instid1(VALU_DEP_2)
	v_mul_f32_e32 v0, 0x3fb8aa3b, v3
	v_cmp_ngt_f32_e64 s0, 0xc2ce8ed0, v3
	v_fma_f32 v5, 0x3fb8aa3b, v3, -v0
	v_rndne_f32_e32 v6, v0
	s_delay_alu instid0(VALU_DEP_2) | instskip(SKIP_2) | instid1(VALU_DEP_2)
	v_fmac_f32_e32 v5, 0x32a5705f, v3
	v_mul_f32_e32 v1, 0x3fb8aa3b, v4
	v_cndmask_b32_e32 v59, v59, v2, vcc_lo
	v_fma_f32 v7, 0x3fb8aa3b, v4, -v1
	v_rndne_f32_e32 v8, v1
	s_delay_alu instid0(VALU_DEP_2) | instskip(NEXT) | instid1(VALU_DEP_1)
	v_dual_sub_f32 v0, v0, v6 :: v_dual_fmac_f32 v7, 0x32a5705f, v4
	v_dual_sub_f32 v1, v1, v8 :: v_dual_add_f32 v0, v0, v5
	s_delay_alu instid0(VALU_DEP_1) | instskip(NEXT) | instid1(VALU_DEP_2)
	v_add_f32_e32 v1, v1, v7
	v_exp_f32_e32 v0, v0
	v_cvt_i32_f32_e32 v7, v8
	s_delay_alu instid0(VALU_DEP_2)
	v_exp_f32_e32 v5, v1
	v_cvt_i32_f32_e32 v1, v6
	v_lshl_add_u32 v6, v61, 3, v63
	s_waitcnt_depctr 0xfff
	v_ldexp_f32 v8, v0, v1
	ds_load_b64 v[0:1], v6
	v_ldexp_f32 v5, v5, v7
	v_cndmask_b32_e64 v7, 0, v8, s0
	v_cmp_ngt_f32_e64 s0, 0xc2ce8ed0, v4
	s_delay_alu instid0(VALU_DEP_1) | instskip(SKIP_1) | instid1(VALU_DEP_1)
	v_cndmask_b32_e64 v5, 0, v5, s0
	v_cmp_nlt_f32_e64 s0, 0x42b17218, v3
	v_cndmask_b32_e64 v3, 0x7f800000, v7, s0
	v_cmp_nlt_f32_e64 s0, 0x42b17218, v4
	v_cndmask_b32_e32 v7, v56, v57, vcc_lo
	s_delay_alu instid0(VALU_DEP_2) | instskip(SKIP_1) | instid1(VALU_DEP_2)
	v_cndmask_b32_e64 v4, 0x7f800000, v5, s0
	v_cmp_eq_u32_e64 s0, 0, v60
	v_cvt_f16_f32_e32 v5, v4
	s_delay_alu instid0(VALU_DEP_2) | instskip(SKIP_2) | instid1(VALU_DEP_3)
	v_cndmask_b32_e64 v3, 0, v3, s0
	v_cmp_eq_u32_e64 s0, 0, v61
	s_waitcnt lgkmcnt(0)
	v_pk_mul_f16 v0, v5, v0 op_sel_hi:[0,1]
	s_delay_alu instid0(VALU_DEP_3) | instskip(NEXT) | instid1(VALU_DEP_3)
	v_fmac_f32_e32 v3, v7, v4
	v_cndmask_b32_e64 v58, v58, v2, s0
	v_pk_mul_f16 v1, v5, v1 op_sel_hi:[0,1]
	s_delay_alu instid0(VALU_DEP_3)
	v_cndmask_b32_e32 v57, v57, v3, vcc_lo
	v_cndmask_b32_e64 v56, v56, v3, s0
	ds_store_b64 v6, v[0:1]
.LBB22_46:
	s_or_b32 exec_lo, exec_lo, s1
	s_delay_alu instid0(SALU_CYCLE_1)
	s_mov_b32 s0, exec_lo
	s_waitcnt vmcnt(3)
	v_cmpx_eq_u32_e32 0, v61
	s_cbranch_execz .LBB22_48
; %bb.47:
	v_mov_b32_e32 v0, 0xfeffffff
	s_waitcnt vmcnt(0)
	v_dual_mov_b32 v2, 0 :: v_dual_add_nc_u32 v1, 0x400, v20
	ds_store_2addr_b32 v1, v0, v0 offset1:32
	ds_store_2addr_b32 v1, v2, v2 offset0:64 offset1:96
.LBB22_48:
	s_or_b32 exec_lo, exec_lo, s0
	v_cmp_eq_u32_e64 s0, 0, v60
	s_waitcnt vmcnt(0) lgkmcnt(0)
	s_waitcnt_vscnt null, 0x0
	s_barrier
	buffer_gl0_inv
	s_and_saveexec_b32 s1, s0
	s_cbranch_execz .LBB22_50
; %bb.49:
	v_lshlrev_b32_e32 v0, 2, v61
	s_delay_alu instid0(VALU_DEP_1)
	v_add_nc_u32_e32 v0, 0x400, v0
	ds_store_2addr_b32 v0, v58, v59 offset1:32
.LBB22_50:
	s_or_b32 exec_lo, exec_lo, s1
	s_cmp_lt_i32 s15, s34
	s_waitcnt lgkmcnt(0)
	s_barrier
	buffer_gl0_inv
	s_cbranch_scc1 .LBB22_52
; %bb.51:
	s_load_b32 s4, s[2:3], 0xd4
	s_cbranch_execz .LBB22_53
	s_branch .LBB22_60
.LBB22_52:
                                        ; implicit-def: $sgpr4
.LBB22_53:
	v_xor_b32_e32 v1, 16, v64
	v_xor_b32_e32 v3, 8, v64
	ds_load_b32 v0, v20 offset:1024
	v_xor_b32_e32 v4, 4, v64
	v_xor_b32_e32 v5, 2, v64
	v_cmp_gt_i32_e32 vcc_lo, 32, v1
	v_xor_b32_e32 v6, 1, v64
	s_waitcnt lgkmcnt(0)
	s_load_b32 s4, s[2:3], 0xd4
	v_lshlrev_b32_e32 v11, 3, v60
	v_cndmask_b32_e32 v1, v64, v1, vcc_lo
	v_cmp_gt_i32_e32 vcc_lo, 32, v3
	v_cndmask_b32_e32 v3, v64, v3, vcc_lo
	v_cmp_gt_i32_e32 vcc_lo, 32, v4
	;; [unrolled: 2-line block ×3, first 2 shown]
	s_delay_alu instid0(VALU_DEP_2)
	v_lshlrev_b32_e32 v4, 2, v4
	v_lshlrev_b32_e32 v2, 2, v1
	v_cndmask_b32_e32 v5, v64, v5, vcc_lo
	v_cmp_gt_i32_e32 vcc_lo, 32, v6
	ds_bpermute_b32 v1, v2, v0
	v_dual_max_f32 v0, v0, v0 :: v_dual_lshlrev_b32 v5, 2, v5
	v_cndmask_b32_e32 v6, v64, v6, vcc_lo
	s_waitcnt lgkmcnt(0)
	s_delay_alu instid0(VALU_DEP_1) | instskip(NEXT) | instid1(VALU_DEP_1)
	v_dual_max_f32 v1, v1, v1 :: v_dual_lshlrev_b32 v6, 2, v6
	v_dual_max_f32 v0, v0, v1 :: v_dual_lshlrev_b32 v3, 2, v3
	ds_bpermute_b32 v1, v3, v0
	s_waitcnt lgkmcnt(0)
	v_max_f32_e32 v1, v1, v1
	s_delay_alu instid0(VALU_DEP_1) | instskip(SKIP_3) | instid1(VALU_DEP_1)
	v_max_f32_e32 v0, v0, v1
	ds_bpermute_b32 v1, v4, v0
	s_waitcnt lgkmcnt(0)
	v_max_f32_e32 v1, v1, v1
	v_max_f32_e32 v0, v0, v1
	ds_bpermute_b32 v1, v5, v0
	s_waitcnt lgkmcnt(0)
	v_max_f32_e32 v1, v1, v1
	s_delay_alu instid0(VALU_DEP_1) | instskip(SKIP_3) | instid1(VALU_DEP_1)
	v_max_f32_e32 v0, v0, v1
	ds_bpermute_b32 v1, v6, v0
	s_waitcnt lgkmcnt(0)
	v_max_f32_e32 v1, v1, v1
	v_max_f32_e32 v0, v0, v1
	s_delay_alu instid0(VALU_DEP_1) | instskip(NEXT) | instid1(VALU_DEP_1)
	v_sub_f32_e32 v1, v58, v0
	v_mul_f32_e32 v7, 0x3fb8aa3b, v1
	v_cmp_ngt_f32_e32 vcc_lo, 0xc2ce8ed0, v1
	s_delay_alu instid0(VALU_DEP_2) | instskip(SKIP_1) | instid1(VALU_DEP_1)
	v_fma_f32 v8, 0x3fb8aa3b, v1, -v7
	v_rndne_f32_e32 v9, v7
	v_dual_fmamk_f32 v8, v1, 0x32a5705f, v8 :: v_dual_sub_f32 v7, v7, v9
	s_delay_alu instid0(VALU_DEP_1)
	v_add_f32_e32 v7, v7, v8
	v_cvt_i32_f32_e32 v8, v9
	ds_load_b64 v[9:10], v63
	v_exp_f32_e32 v7, v7
	s_waitcnt_depctr 0xfff
	v_ldexp_f32 v7, v7, v8
	s_delay_alu instid0(VALU_DEP_1) | instskip(SKIP_1) | instid1(VALU_DEP_2)
	v_cndmask_b32_e32 v7, 0, v7, vcc_lo
	v_cmp_nlt_f32_e32 vcc_lo, 0x42b17218, v1
	v_cndmask_b32_e32 v7, 0x7f800000, v7, vcc_lo
	s_delay_alu instid0(VALU_DEP_1)
	v_mul_f32_e32 v1, v56, v7
	ds_bpermute_b32 v1, v2, v1
	s_waitcnt lgkmcnt(0)
	v_fmac_f32_e32 v1, v56, v7
	v_cvt_f16_f32_e32 v7, v7
	ds_bpermute_b32 v8, v3, v1
	v_pk_mul_f16 v9, v7, v9 op_sel_hi:[0,1]
	v_pk_mul_f16 v10, v7, v10 op_sel_hi:[0,1]
	v_add_nc_u32_e32 v7, v62, v11
	ds_store_b64 v63, v[9:10]
	ds_store_b64 v7, v[9:10]
	s_waitcnt lgkmcnt(2)
	v_add_f32_e32 v1, v1, v8
	ds_bpermute_b32 v8, v4, v1
	s_waitcnt lgkmcnt(0)
	v_add_f32_e32 v1, v1, v8
	ds_bpermute_b32 v8, v5, v1
	;; [unrolled: 3-line block ×3, first 2 shown]
	s_and_saveexec_b32 s1, s0
	s_cbranch_execz .LBB22_55
; %bb.54:
	s_waitcnt lgkmcnt(0)
	v_dual_add_f32 v1, v1, v8 :: v_dual_lshlrev_b32 v8, 2, v61
	ds_store_b32 v8, v1 offset:1280
.LBB22_55:
	s_or_b32 exec_lo, exec_lo, s1
	s_waitcnt lgkmcnt(0)
	s_barrier
	buffer_gl0_inv
	scratch_load_b32 v11, off, off          ; 4-byte Folded Reload
	ds_load_b32 v1, v20 offset:1280
	s_cmp_eq_u32 s4, 1
	s_mul_i32 s2, s33, s34
	s_cselect_b32 s1, -1, 0
	s_add_i32 s2, s2, s15
	s_waitcnt vmcnt(0)
	ds_load_u16 v8, v11
	ds_load_u16 v9, v11 offset:256
	ds_load_u16 v10, v11 offset:512
	;; [unrolled: 1-line block ×3, first 2 shown]
	s_waitcnt lgkmcnt(4)
	ds_bpermute_b32 v12, v2, v1
	s_mul_i32 s2, s2, s35
	s_delay_alu instid0(SALU_CYCLE_1) | instskip(NEXT) | instid1(SALU_CYCLE_1)
	s_add_i32 s2, s2, s12
	s_mul_i32 s3, s4, s2
	s_delay_alu instid0(SALU_CYCLE_1)
	s_add_i32 s3, s3, s14
	s_waitcnt lgkmcnt(4)
	v_cvt_f32_f16_e32 v8, v8
	s_waitcnt lgkmcnt(3)
	v_cvt_f32_f16_e32 v9, v9
	;; [unrolled: 2-line block ×3, first 2 shown]
	v_add_f32_e32 v8, 0, v8
	s_waitcnt lgkmcnt(0)
	s_delay_alu instid0(VALU_DEP_1) | instskip(SKIP_4) | instid1(VALU_DEP_1)
	v_dual_add_f32 v1, v1, v12 :: v_dual_add_f32 v8, v8, v9
	ds_bpermute_b32 v12, v3, v1
	v_cvt_f32_f16_e32 v9, v11
	v_add_f32_e32 v8, v8, v10
	s_waitcnt lgkmcnt(0)
	v_dual_add_f32 v10, v8, v9 :: v_dual_add_f32 v1, v1, v12
	ds_bpermute_b32 v12, v4, v1
	s_waitcnt lgkmcnt(0)
	v_add_f32_e32 v1, v1, v12
	ds_bpermute_b32 v12, v5, v1
	s_waitcnt lgkmcnt(0)
	v_add_f32_e32 v1, v1, v12
	;; [unrolled: 3-line block ×3, first 2 shown]
	s_delay_alu instid0(VALU_DEP_1) | instskip(SKIP_1) | instid1(VALU_DEP_2)
	v_div_scale_f32 v1, null, v56, v56, v10
	v_div_scale_f32 v11, vcc_lo, v10, v56, v10
	v_rcp_f32_e32 v8, v1
	s_waitcnt_depctr 0xfff
	v_fma_f32 v9, -v1, v8, 1.0
	s_delay_alu instid0(VALU_DEP_1) | instskip(NEXT) | instid1(VALU_DEP_1)
	v_fmac_f32_e32 v8, v9, v8
	v_mul_f32_e32 v9, v11, v8
	s_delay_alu instid0(VALU_DEP_1) | instskip(NEXT) | instid1(VALU_DEP_1)
	v_fma_f32 v12, -v1, v9, v11
	v_fmac_f32_e32 v9, v12, v8
	s_delay_alu instid0(VALU_DEP_1) | instskip(NEXT) | instid1(VALU_DEP_1)
	v_fma_f32 v1, -v1, v9, v11
	v_div_fmas_f32 v1, v1, v8, v9
	v_mov_b32_e32 v9, 0
	v_lshl_or_b32 v8, s3, 7, v17
	s_or_b32 s3, s15, 1
	s_delay_alu instid0(VALU_DEP_3) | instskip(SKIP_1) | instid1(VALU_DEP_2)
	v_div_fixup_f32 v1, v1, v56, v10
	s_cmp_ge_i32 s3, s34
	v_lshlrev_b64 v[8:9], 2, v[8:9]
	s_delay_alu instid0(VALU_DEP_2) | instskip(SKIP_1) | instid1(VALU_DEP_3)
	v_cndmask_b32_e64 v10, v10, v1, s1
	v_mov_b32_e32 v1, v59
	v_add_co_u32 v8, vcc_lo, s28, v8
	s_delay_alu instid0(VALU_DEP_4)
	v_add_co_ci_u32_e32 v9, vcc_lo, s29, v9, vcc_lo
	global_store_b32 v[8:9], v10, off
	s_waitcnt_vscnt null, 0x0
	s_barrier
	buffer_gl0_inv
	s_cbranch_scc1 .LBB22_59
; %bb.56:
	v_or_b32_e32 v1, 0x400, v20
	ds_load_b32 v1, v1 offset:128
	s_waitcnt lgkmcnt(0)
	ds_bpermute_b32 v8, v2, v1
	s_waitcnt lgkmcnt(0)
	v_dual_max_f32 v1, v1, v1 :: v_dual_max_f32 v8, v8, v8
	s_delay_alu instid0(VALU_DEP_1) | instskip(SKIP_3) | instid1(VALU_DEP_1)
	v_max_f32_e32 v1, v1, v8
	ds_bpermute_b32 v8, v3, v1
	s_waitcnt lgkmcnt(0)
	v_max_f32_e32 v8, v8, v8
	v_max_f32_e32 v1, v1, v8
	ds_bpermute_b32 v8, v4, v1
	s_waitcnt lgkmcnt(0)
	v_max_f32_e32 v8, v8, v8
	s_delay_alu instid0(VALU_DEP_1) | instskip(SKIP_3) | instid1(VALU_DEP_1)
	v_max_f32_e32 v1, v1, v8
	ds_bpermute_b32 v8, v5, v1
	s_waitcnt lgkmcnt(0)
	v_max_f32_e32 v8, v8, v8
	v_max_f32_e32 v1, v1, v8
	ds_bpermute_b32 v8, v6, v1
	s_waitcnt lgkmcnt(0)
	v_max_f32_e32 v8, v8, v8
	s_delay_alu instid0(VALU_DEP_1) | instskip(NEXT) | instid1(VALU_DEP_1)
	v_max_f32_e32 v1, v1, v8
	v_sub_f32_e32 v8, v59, v1
	s_delay_alu instid0(VALU_DEP_1) | instskip(SKIP_1) | instid1(VALU_DEP_2)
	v_mul_f32_e32 v9, 0x3fb8aa3b, v8
	v_cmp_ngt_f32_e32 vcc_lo, 0xc2ce8ed0, v8
	v_fma_f32 v10, 0x3fb8aa3b, v8, -v9
	v_rndne_f32_e32 v11, v9
	s_delay_alu instid0(VALU_DEP_1) | instskip(NEXT) | instid1(VALU_DEP_1)
	v_dual_fmamk_f32 v10, v8, 0x32a5705f, v10 :: v_dual_sub_f32 v9, v9, v11
	v_add_f32_e32 v9, v9, v10
	v_cvt_i32_f32_e32 v10, v11
	ds_load_b64 v[11:12], v63 offset:8
	v_exp_f32_e32 v9, v9
	s_waitcnt_depctr 0xfff
	v_ldexp_f32 v9, v9, v10
	s_delay_alu instid0(VALU_DEP_1) | instskip(SKIP_1) | instid1(VALU_DEP_2)
	v_cndmask_b32_e32 v9, 0, v9, vcc_lo
	v_cmp_nlt_f32_e32 vcc_lo, 0x42b17218, v8
	v_cndmask_b32_e32 v8, 0x7f800000, v9, vcc_lo
	s_delay_alu instid0(VALU_DEP_1)
	v_mul_f32_e32 v9, v57, v8
	ds_bpermute_b32 v9, v2, v9
	s_waitcnt lgkmcnt(0)
	v_fmac_f32_e32 v9, v57, v8
	v_cvt_f16_f32_e32 v8, v8
	ds_bpermute_b32 v10, v3, v9
	v_pk_mul_f16 v11, v8, v11 op_sel_hi:[0,1]
	v_pk_mul_f16 v12, v8, v12 op_sel_hi:[0,1]
	ds_store_b64 v63, v[11:12] offset:8
	ds_store_b64 v7, v[11:12]
	s_waitcnt lgkmcnt(2)
	v_dual_add_f32 v9, v9, v10 :: v_dual_add_nc_u32 v8, 0x500, v20
	ds_bpermute_b32 v10, v4, v9
	s_waitcnt lgkmcnt(0)
	v_add_f32_e32 v9, v9, v10
	ds_bpermute_b32 v10, v5, v9
	s_waitcnt lgkmcnt(0)
	v_add_f32_e32 v9, v9, v10
	ds_bpermute_b32 v10, v6, v9
	s_and_saveexec_b32 s3, s0
	s_cbranch_execz .LBB22_58
; %bb.57:
	v_lshlrev_b32_e32 v7, 2, v61
	s_waitcnt lgkmcnt(0)
	v_add_f32_e32 v9, v9, v10
	ds_store_b32 v7, v9 offset:1408
.LBB22_58:
	s_or_b32 exec_lo, exec_lo, s3
	s_waitcnt lgkmcnt(0)
	s_barrier
	buffer_gl0_inv
	scratch_load_b32 v11, off, off          ; 4-byte Folded Reload
	ds_load_b32 v7, v8 offset:128
	s_add_i32 s2, s2, s35
	s_waitcnt vmcnt(0)
	ds_load_u16 v8, v11
	ds_load_u16 v9, v11 offset:256
	ds_load_u16 v10, v11 offset:512
	;; [unrolled: 1-line block ×3, first 2 shown]
	s_waitcnt lgkmcnt(4)
	ds_bpermute_b32 v2, v2, v7
	s_mul_i32 s0, s4, s2
	s_delay_alu instid0(SALU_CYCLE_1)
	s_add_i32 s0, s0, s14
	s_waitcnt lgkmcnt(0)
	v_add_f32_e32 v2, v7, v2
	ds_bpermute_b32 v3, v3, v2
	s_waitcnt lgkmcnt(0)
	v_add_f32_e32 v2, v2, v3
	ds_bpermute_b32 v3, v4, v2
	;; [unrolled: 3-line block ×3, first 2 shown]
	v_cvt_f32_f16_e32 v5, v9
	s_waitcnt lgkmcnt(0)
	v_add_f32_e32 v2, v2, v3
	v_cvt_f32_f16_e32 v3, v8
	ds_bpermute_b32 v4, v6, v2
	v_add_f32_e32 v3, 0, v3
	v_cvt_f32_f16_e32 v6, v10
	s_delay_alu instid0(VALU_DEP_2) | instskip(SKIP_1) | instid1(VALU_DEP_2)
	v_add_f32_e32 v3, v3, v5
	v_cvt_f32_f16_e32 v5, v11
	v_add_f32_e32 v3, v3, v6
	s_delay_alu instid0(VALU_DEP_1) | instskip(SKIP_2) | instid1(VALU_DEP_1)
	v_add_f32_e32 v5, v3, v5
	s_waitcnt lgkmcnt(0)
	v_add_f32_e32 v57, v2, v4
	v_div_scale_f32 v3, null, v57, v57, v5
	v_div_scale_f32 v6, vcc_lo, v5, v57, v5
	s_delay_alu instid0(VALU_DEP_2) | instskip(SKIP_2) | instid1(VALU_DEP_1)
	v_rcp_f32_e32 v4, v3
	s_waitcnt_depctr 0xfff
	v_fma_f32 v2, -v3, v4, 1.0
	v_fmac_f32_e32 v4, v2, v4
	s_delay_alu instid0(VALU_DEP_1) | instskip(NEXT) | instid1(VALU_DEP_1)
	v_mul_f32_e32 v7, v6, v4
	v_fma_f32 v2, -v3, v7, v6
	s_delay_alu instid0(VALU_DEP_1) | instskip(SKIP_1) | instid1(VALU_DEP_2)
	v_fmac_f32_e32 v7, v2, v4
	v_lshl_or_b32 v2, s0, 7, v17
	v_fma_f32 v6, -v3, v7, v6
	v_mov_b32_e32 v3, 0
	s_delay_alu instid0(VALU_DEP_2) | instskip(NEXT) | instid1(VALU_DEP_2)
	v_div_fmas_f32 v4, v6, v4, v7
	v_lshlrev_b64 v[2:3], 2, v[2:3]
	s_delay_alu instid0(VALU_DEP_2) | instskip(NEXT) | instid1(VALU_DEP_2)
	v_div_fixup_f32 v4, v4, v57, v5
	v_add_co_u32 v2, vcc_lo, s28, v2
	s_delay_alu instid0(VALU_DEP_3) | instskip(NEXT) | instid1(VALU_DEP_3)
	v_add_co_ci_u32_e32 v3, vcc_lo, s29, v3, vcc_lo
	v_cndmask_b32_e64 v4, v5, v4, s1
	global_store_b32 v[2:3], v4, off
.LBB22_59:
	v_dual_mov_b32 v59, v1 :: v_dual_mov_b32 v58, v0
.LBB22_60:
	v_or_b32_e32 v0, s15, v60
	v_cmp_gt_u32_e32 vcc_lo, 2, v17
	s_waitcnt lgkmcnt(0)
	s_cmp_lg_u32 s4, 1
	s_cselect_b32 s1, -1, 0
	v_cmp_gt_i32_e64 s0, s34, v0
	s_and_b32 s1, vcc_lo, s1
	s_delay_alu instid0(VALU_DEP_1) | instid1(SALU_CYCLE_1)
	s_and_b32 s0, s1, s0
	s_delay_alu instid0(SALU_CYCLE_1)
	s_and_saveexec_b32 s1, s0
	s_cbranch_execz .LBB22_62
; %bb.61:
	v_mad_u64_u32 v[1:2], null, s33, s34, v[0:1]
	v_cmp_eq_u32_e32 vcc_lo, 1, v17
	s_delay_alu instid0(VALU_DEP_2) | instskip(SKIP_1) | instid1(VALU_DEP_2)
	v_mad_u64_u32 v[2:3], null, v1, s35, s[12:13]
	v_cndmask_b32_e32 v3, v56, v57, vcc_lo
	v_mad_u64_u32 v[0:1], null, s4, v2, s[14:15]
	v_dual_mov_b32 v1, 0 :: v_dual_cndmask_b32 v2, v58, v59
	s_delay_alu instid0(VALU_DEP_1) | instskip(NEXT) | instid1(VALU_DEP_1)
	v_lshlrev_b64 v[0:1], 3, v[0:1]
	v_add_co_u32 v0, vcc_lo, s30, v0
	s_delay_alu instid0(VALU_DEP_2)
	v_add_co_ci_u32_e32 v1, vcc_lo, s31, v1, vcc_lo
	global_store_b64 v[0:1], v[2:3], off
.LBB22_62:
	s_nop 0
	s_sendmsg sendmsg(MSG_DEALLOC_VGPRS)
	s_endpgm
	.section	.rodata,"a",@progbits
	.p2align	6, 0x0
	.amdhsa_kernel _ZL18flash_attn_ext_vecILi128ELi2EL9ggml_type6ELS0_3ELb1EEvPKcS2_S2_S2_S2_PKiPfP15HIP_vector_typeIfLj2EEffffjfiS6_IjLj3EEiiiiiiiiiiiliiliiiiil
		.amdhsa_group_segment_fixed_size 3584
		.amdhsa_private_segment_fixed_size 44
		.amdhsa_kernarg_size 464
		.amdhsa_user_sgpr_count 13
		.amdhsa_user_sgpr_dispatch_ptr 1
		.amdhsa_user_sgpr_queue_ptr 0
		.amdhsa_user_sgpr_kernarg_segment_ptr 1
		.amdhsa_user_sgpr_dispatch_id 0
		.amdhsa_user_sgpr_private_segment_size 0
		.amdhsa_wavefront_size32 1
		.amdhsa_uses_dynamic_stack 0
		.amdhsa_enable_private_segment 1
		.amdhsa_system_sgpr_workgroup_id_x 1
		.amdhsa_system_sgpr_workgroup_id_y 1
		.amdhsa_system_sgpr_workgroup_id_z 1
		.amdhsa_system_sgpr_workgroup_info 0
		.amdhsa_system_vgpr_workitem_id 2
		.amdhsa_next_free_vgpr 256
		.amdhsa_next_free_sgpr 54
		.amdhsa_reserve_vcc 1
		.amdhsa_float_round_mode_32 0
		.amdhsa_float_round_mode_16_64 0
		.amdhsa_float_denorm_mode_32 3
		.amdhsa_float_denorm_mode_16_64 3
		.amdhsa_dx10_clamp 1
		.amdhsa_ieee_mode 1
		.amdhsa_fp16_overflow 0
		.amdhsa_workgroup_processor_mode 1
		.amdhsa_memory_ordered 1
		.amdhsa_forward_progress 0
		.amdhsa_shared_vgpr_count 0
		.amdhsa_exception_fp_ieee_invalid_op 0
		.amdhsa_exception_fp_denorm_src 0
		.amdhsa_exception_fp_ieee_div_zero 0
		.amdhsa_exception_fp_ieee_overflow 0
		.amdhsa_exception_fp_ieee_underflow 0
		.amdhsa_exception_fp_ieee_inexact 0
		.amdhsa_exception_int_div_zero 0
	.end_amdhsa_kernel
	.section	.text._ZL18flash_attn_ext_vecILi128ELi2EL9ggml_type6ELS0_3ELb1EEvPKcS2_S2_S2_S2_PKiPfP15HIP_vector_typeIfLj2EEffffjfiS6_IjLj3EEiiiiiiiiiiiliiliiiiil,"axG",@progbits,_ZL18flash_attn_ext_vecILi128ELi2EL9ggml_type6ELS0_3ELb1EEvPKcS2_S2_S2_S2_PKiPfP15HIP_vector_typeIfLj2EEffffjfiS6_IjLj3EEiiiiiiiiiiiliiliiiiil,comdat
.Lfunc_end22:
	.size	_ZL18flash_attn_ext_vecILi128ELi2EL9ggml_type6ELS0_3ELb1EEvPKcS2_S2_S2_S2_PKiPfP15HIP_vector_typeIfLj2EEffffjfiS6_IjLj3EEiiiiiiiiiiiliiliiiiil, .Lfunc_end22-_ZL18flash_attn_ext_vecILi128ELi2EL9ggml_type6ELS0_3ELb1EEvPKcS2_S2_S2_S2_PKiPfP15HIP_vector_typeIfLj2EEffffjfiS6_IjLj3EEiiiiiiiiiiiliiliiiiil
                                        ; -- End function
	.section	.AMDGPU.csdata,"",@progbits
; Kernel info:
; codeLenInByte = 23660
; NumSgprs: 56
; NumVgprs: 256
; ScratchSize: 44
; MemoryBound: 0
; FloatMode: 240
; IeeeMode: 1
; LDSByteSize: 3584 bytes/workgroup (compile time only)
; SGPRBlocks: 6
; VGPRBlocks: 31
; NumSGPRsForWavesPerEU: 56
; NumVGPRsForWavesPerEU: 256
; Occupancy: 5
; WaveLimiterHint : 0
; COMPUTE_PGM_RSRC2:SCRATCH_EN: 1
; COMPUTE_PGM_RSRC2:USER_SGPR: 13
; COMPUTE_PGM_RSRC2:TRAP_HANDLER: 0
; COMPUTE_PGM_RSRC2:TGID_X_EN: 1
; COMPUTE_PGM_RSRC2:TGID_Y_EN: 1
; COMPUTE_PGM_RSRC2:TGID_Z_EN: 1
; COMPUTE_PGM_RSRC2:TIDIG_COMP_CNT: 2
	.section	.text._ZL18flash_attn_ext_vecILi256ELi1EL9ggml_type6ELS0_3ELb0EEvPKcS2_S2_S2_S2_PKiPfP15HIP_vector_typeIfLj2EEffffjfiS6_IjLj3EEiiiiiiiiiiiliiliiiiil,"axG",@progbits,_ZL18flash_attn_ext_vecILi256ELi1EL9ggml_type6ELS0_3ELb0EEvPKcS2_S2_S2_S2_PKiPfP15HIP_vector_typeIfLj2EEffffjfiS6_IjLj3EEiiiiiiiiiiiliiliiiiil,comdat
	.globl	_ZL18flash_attn_ext_vecILi256ELi1EL9ggml_type6ELS0_3ELb0EEvPKcS2_S2_S2_S2_PKiPfP15HIP_vector_typeIfLj2EEffffjfiS6_IjLj3EEiiiiiiiiiiiliiliiiiil ; -- Begin function _ZL18flash_attn_ext_vecILi256ELi1EL9ggml_type6ELS0_3ELb0EEvPKcS2_S2_S2_S2_PKiPfP15HIP_vector_typeIfLj2EEffffjfiS6_IjLj3EEiiiiiiiiiiiliiliiiiil
	.p2align	8
	.type	_ZL18flash_attn_ext_vecILi256ELi1EL9ggml_type6ELS0_3ELb0EEvPKcS2_S2_S2_S2_PKiPfP15HIP_vector_typeIfLj2EEffffjfiS6_IjLj3EEiiiiiiiiiiiliiliiiiil,@function
_ZL18flash_attn_ext_vecILi256ELi1EL9ggml_type6ELS0_3ELb0EEvPKcS2_S2_S2_S2_PKiPfP15HIP_vector_typeIfLj2EEffffjfiS6_IjLj3EEiiiiiiiiiiiliiliiiiil: ; @_ZL18flash_attn_ext_vecILi256ELi1EL9ggml_type6ELS0_3ELb0EEvPKcS2_S2_S2_S2_PKiPfP15HIP_vector_typeIfLj2EEffffjfiS6_IjLj3EEiiiiiiiiiiiliiliiiiil
; %bb.0:
	s_clause 0x3
	s_load_b64 s[34:35], s[0:1], 0x64
	s_load_b64 s[38:39], s[0:1], 0x80
	;; [unrolled: 1-line block ×3, first 2 shown]
	s_load_b128 s[8:11], s[0:1], 0x40
	v_mov_b32_e32 v66, 1.0
	s_waitcnt lgkmcnt(0)
	v_cvt_f32_u32_e32 v1, s35
	s_sub_i32 s3, 0, s35
	s_delay_alu instid0(VALU_DEP_1) | instskip(SKIP_2) | instid1(VALU_DEP_1)
	v_rcp_iflag_f32_e32 v1, v1
	s_waitcnt_depctr 0xfff
	v_mul_f32_e32 v1, 0x4f7ffffe, v1
	v_cvt_u32_f32_e32 v1, v1
	s_delay_alu instid0(VALU_DEP_1) | instskip(NEXT) | instid1(VALU_DEP_1)
	v_readfirstlane_b32 s2, v1
	s_mul_i32 s3, s3, s2
	s_delay_alu instid0(SALU_CYCLE_1) | instskip(NEXT) | instid1(SALU_CYCLE_1)
	s_mul_hi_u32 s3, s2, s3
	s_add_i32 s2, s2, s3
	s_delay_alu instid0(SALU_CYCLE_1) | instskip(NEXT) | instid1(SALU_CYCLE_1)
	s_mul_hi_u32 s2, s15, s2
	s_mul_i32 s3, s2, s35
	s_add_i32 s4, s2, 1
	s_sub_i32 s3, s15, s3
	s_delay_alu instid0(SALU_CYCLE_1)
	s_sub_i32 s5, s3, s35
	s_cmp_ge_u32 s3, s35
	s_cselect_b32 s2, s4, s2
	s_cselect_b32 s3, s5, s3
	s_add_i32 s4, s2, 1
	s_cmp_ge_u32 s3, s35
	s_cselect_b32 s12, s4, s2
	s_abs_i32 s2, s39
	s_abs_i32 s6, s35
	v_cvt_f32_u32_e32 v1, s2
	s_sub_i32 s4, 0, s2
	s_xor_b32 s5, s35, s39
	s_delay_alu instid0(SALU_CYCLE_1) | instskip(NEXT) | instid1(VALU_DEP_1)
	s_ashr_i32 s5, s5, 31
	v_rcp_iflag_f32_e32 v1, v1
	s_waitcnt_depctr 0xfff
	v_mul_f32_e32 v1, 0x4f7ffffe, v1
	s_delay_alu instid0(VALU_DEP_1) | instskip(NEXT) | instid1(VALU_DEP_1)
	v_cvt_u32_f32_e32 v1, v1
	v_readfirstlane_b32 s3, v1
	s_delay_alu instid0(VALU_DEP_1) | instskip(NEXT) | instid1(SALU_CYCLE_1)
	s_mul_i32 s4, s4, s3
	s_mul_hi_u32 s4, s3, s4
	s_delay_alu instid0(SALU_CYCLE_1) | instskip(SKIP_4) | instid1(SALU_CYCLE_1)
	s_add_i32 s3, s3, s4
	s_mul_i32 s4, s12, s35
	s_mul_hi_u32 s3, s6, s3
	s_sub_i32 s36, s15, s4
	s_mul_i32 s7, s3, s2
	s_sub_i32 s4, s6, s7
	s_add_i32 s6, s3, 1
	s_sub_i32 s7, s4, s2
	s_cmp_ge_u32 s4, s2
	s_cselect_b32 s3, s6, s3
	s_cselect_b32 s4, s7, s4
	s_add_i32 s6, s3, 1
	s_cmp_ge_u32 s4, s2
	s_cselect_b32 s2, s6, s3
	s_abs_i32 s15, s40
	s_xor_b32 s2, s2, s5
	v_cvt_f32_u32_e32 v1, s15
	s_sub_i32 s7, s2, s5
	s_load_b32 s2, s[0:1], 0x50
	s_abs_i32 s33, s7
	v_cmp_le_f32_e64 s3, s9, 0
	v_cvt_f32_u32_e32 v2, s33
	v_rcp_iflag_f32_e32 v1, v1
	s_sub_i32 s4, 0, s33
	s_abs_i32 s39, s36
	s_and_b32 vcc_lo, exec_lo, s3
	v_rcp_iflag_f32_e32 v2, v2
	s_sub_i32 s3, 0, s15
	s_abs_i32 s9, s12
	s_waitcnt_depctr 0xfff
	v_dual_mul_f32 v1, 0x4f7ffffe, v1 :: v_dual_mul_f32 v2, 0x4f7ffffe, v2
	s_delay_alu instid0(VALU_DEP_1) | instskip(NEXT) | instid1(VALU_DEP_2)
	v_cvt_u32_f32_e32 v1, v1
	v_cvt_u32_f32_e32 v2, v2
	s_delay_alu instid0(VALU_DEP_2) | instskip(NEXT) | instid1(VALU_DEP_2)
	v_readfirstlane_b32 s5, v1
	v_readfirstlane_b32 s6, v2
	s_delay_alu instid0(VALU_DEP_2) | instskip(NEXT) | instid1(SALU_CYCLE_1)
	s_mul_i32 s3, s3, s5
	s_mul_hi_u32 s3, s5, s3
	s_delay_alu instid0(VALU_DEP_1) | instskip(SKIP_2) | instid1(SALU_CYCLE_1)
	s_mul_i32 s4, s4, s6
	s_add_i32 s5, s5, s3
	s_mul_hi_u32 s4, s6, s4
	s_add_i32 s6, s6, s4
	s_cbranch_vccnz .LBB23_2
; %bb.1:
	s_waitcnt lgkmcnt(0)
	s_sub_i32 s3, s36, s2
	s_add_i32 s4, s36, 1
	s_lshl_b32 s3, s3, 1
	v_mov_b32_e32 v1, s10
	s_or_b32 s3, s3, 1
	s_cmp_lt_u32 s36, s2
	s_cselect_b32 vcc_lo, -1, 0
	s_delay_alu instid0(VALU_DEP_1)
	v_cndmask_b32_e32 v3, s11, v1, vcc_lo
	s_and_b32 s2, vcc_lo, exec_lo
	s_cselect_b32 s2, s4, s3
	s_mov_b32 s3, 0x3e76c4e1
	v_cvt_f32_i32_e32 v1, s2
	v_cmp_neq_f32_e32 vcc_lo, 1.0, v3
	s_delay_alu instid0(VALU_DEP_2) | instskip(NEXT) | instid1(VALU_DEP_1)
	v_cndmask_b32_e32 v4, 1.0, v1, vcc_lo
	v_cmp_eq_f32_e32 vcc_lo, 0, v4
	v_cndmask_b32_e64 v5, |v3|, 1.0, vcc_lo
	s_delay_alu instid0(VALU_DEP_1) | instskip(NEXT) | instid1(VALU_DEP_1)
	v_frexp_mant_f32_e32 v1, v5
	v_cmp_gt_f32_e64 s2, 0x3f2aaaab, v1
	s_delay_alu instid0(VALU_DEP_1) | instskip(NEXT) | instid1(VALU_DEP_1)
	v_cndmask_b32_e64 v2, 1.0, 2.0, s2
	v_mul_f32_e32 v1, v1, v2
	s_delay_alu instid0(VALU_DEP_1) | instskip(SKIP_1) | instid1(VALU_DEP_2)
	v_add_f32_e32 v2, 1.0, v1
	v_add_f32_e32 v7, -1.0, v1
	v_rcp_f32_e32 v6, v2
	s_waitcnt_depctr 0xfff
	v_mul_f32_e32 v8, v7, v6
	s_delay_alu instid0(VALU_DEP_1) | instskip(NEXT) | instid1(VALU_DEP_1)
	v_dual_add_f32 v9, -1.0, v2 :: v_dual_mul_f32 v10, v2, v8
	v_sub_f32_e32 v1, v1, v9
	v_cndmask_b32_e64 v3, v3, 1.0, vcc_lo
	s_delay_alu instid0(VALU_DEP_3) | instskip(NEXT) | instid1(VALU_DEP_2)
	v_fma_f32 v2, v8, v2, -v10
	v_cmp_eq_f32_e64 s4, 0, v3
	s_delay_alu instid0(VALU_DEP_2) | instskip(NEXT) | instid1(VALU_DEP_1)
	v_fmac_f32_e32 v2, v8, v1
	v_add_f32_e32 v1, v10, v2
	s_delay_alu instid0(VALU_DEP_1) | instskip(NEXT) | instid1(VALU_DEP_1)
	v_dual_sub_f32 v10, v1, v10 :: v_dual_sub_f32 v9, v7, v1
	v_dual_sub_f32 v2, v10, v2 :: v_dual_sub_f32 v7, v7, v9
	s_delay_alu instid0(VALU_DEP_1) | instskip(NEXT) | instid1(VALU_DEP_1)
	v_sub_f32_e32 v1, v7, v1
	v_add_f32_e32 v1, v2, v1
	s_delay_alu instid0(VALU_DEP_1) | instskip(NEXT) | instid1(VALU_DEP_1)
	v_add_f32_e32 v1, v9, v1
	v_mul_f32_e32 v1, v6, v1
	s_delay_alu instid0(VALU_DEP_1) | instskip(NEXT) | instid1(VALU_DEP_1)
	v_add_f32_e32 v6, v8, v1
	v_sub_f32_e32 v2, v6, v8
	v_mul_f32_e32 v7, v6, v6
	s_delay_alu instid0(VALU_DEP_2) | instskip(NEXT) | instid1(VALU_DEP_2)
	v_sub_f32_e32 v8, v1, v2
	v_fma_f32 v9, v6, v6, -v7
	s_delay_alu instid0(VALU_DEP_2) | instskip(NEXT) | instid1(VALU_DEP_1)
	v_add_f32_e32 v1, v8, v8
	v_fmac_f32_e32 v9, v6, v1
	v_cvt_f64_f32_e32 v[1:2], v5
	s_delay_alu instid0(VALU_DEP_2) | instskip(NEXT) | instid1(VALU_DEP_1)
	v_add_f32_e32 v10, v7, v9
	v_fmaak_f32 v11, s3, v10, 0x3e91f4c4
	v_sub_f32_e32 v7, v10, v7
	v_mul_f32_e32 v14, v6, v10
	s_delay_alu instid0(VALU_DEP_3) | instskip(NEXT) | instid1(VALU_DEP_3)
	v_fmaak_f32 v11, v10, v11, 0x3ecccdef
	v_sub_f32_e32 v7, v9, v7
	s_delay_alu instid0(VALU_DEP_2) | instskip(NEXT) | instid1(VALU_DEP_1)
	v_mul_f32_e32 v12, v10, v11
	v_fma_f32 v9, v10, v11, -v12
	s_delay_alu instid0(VALU_DEP_1) | instskip(NEXT) | instid1(VALU_DEP_1)
	v_fmac_f32_e32 v9, v7, v11
	v_add_f32_e32 v11, v12, v9
	v_frexp_exp_i32_f64_e32 v1, v[1:2]
	s_delay_alu instid0(VALU_DEP_2) | instskip(NEXT) | instid1(VALU_DEP_1)
	v_sub_f32_e32 v12, v11, v12
	v_sub_f32_e32 v2, v9, v12
	v_fma_f32 v12, v10, v6, -v14
	s_delay_alu instid0(VALU_DEP_2) | instskip(NEXT) | instid1(VALU_DEP_2)
	v_add_f32_e32 v2, 0x31739010, v2
	v_dual_add_f32 v13, 0x3f2aaaaa, v11 :: v_dual_fmac_f32 v12, v10, v8
	v_ldexp_f32 v8, v8, 1
	s_delay_alu instid0(VALU_DEP_2) | instskip(NEXT) | instid1(VALU_DEP_1)
	v_dual_add_f32 v9, 0xbf2aaaaa, v13 :: v_dual_fmac_f32 v12, v7, v6
	v_sub_f32_e32 v9, v11, v9
	s_delay_alu instid0(VALU_DEP_1) | instskip(NEXT) | instid1(VALU_DEP_3)
	v_add_f32_e32 v2, v2, v9
	v_add_f32_e32 v9, v14, v12
	s_delay_alu instid0(VALU_DEP_2) | instskip(NEXT) | instid1(VALU_DEP_1)
	v_add_f32_e32 v7, v13, v2
	v_sub_f32_e32 v10, v13, v7
	s_delay_alu instid0(VALU_DEP_3) | instskip(SKIP_2) | instid1(VALU_DEP_4)
	v_mul_f32_e32 v11, v9, v7
	v_sub_f32_e32 v13, v9, v14
	v_subrev_co_ci_u32_e64 v1, s2, 0, v1, s2
	v_add_f32_e32 v2, v2, v10
	s_delay_alu instid0(VALU_DEP_4) | instskip(NEXT) | instid1(VALU_DEP_4)
	v_fma_f32 v10, v9, v7, -v11
	v_sub_f32_e32 v12, v12, v13
	s_delay_alu instid0(VALU_DEP_4) | instskip(NEXT) | instid1(VALU_DEP_3)
	v_cvt_f32_i32_e32 v1, v1
	v_fmac_f32_e32 v10, v9, v2
	v_ldexp_f32 v2, v6, 1
	s_delay_alu instid0(VALU_DEP_2) | instskip(NEXT) | instid1(VALU_DEP_1)
	v_fmac_f32_e32 v10, v12, v7
	v_add_f32_e32 v6, v11, v10
	s_delay_alu instid0(VALU_DEP_1) | instskip(NEXT) | instid1(VALU_DEP_1)
	v_add_f32_e32 v7, v2, v6
	v_dual_sub_f32 v2, v7, v2 :: v_dual_sub_f32 v9, v6, v11
	s_delay_alu instid0(VALU_DEP_1) | instskip(NEXT) | instid1(VALU_DEP_2)
	v_sub_f32_e32 v2, v6, v2
	v_sub_f32_e32 v9, v10, v9
	s_delay_alu instid0(VALU_DEP_1) | instskip(NEXT) | instid1(VALU_DEP_1)
	v_add_f32_e32 v6, v8, v9
	v_dual_mul_f32 v11, 0x3f317218, v1 :: v_dual_add_f32 v2, v6, v2
	s_delay_alu instid0(VALU_DEP_1) | instskip(NEXT) | instid1(VALU_DEP_2)
	v_fma_f32 v10, 0x3f317218, v1, -v11
	v_add_f32_e32 v8, v7, v2
	s_delay_alu instid0(VALU_DEP_1) | instskip(NEXT) | instid1(VALU_DEP_1)
	v_sub_f32_e32 v7, v8, v7
	v_dual_fmamk_f32 v1, v1, 0xb102e308, v10 :: v_dual_sub_f32 v2, v2, v7
	s_delay_alu instid0(VALU_DEP_1) | instskip(NEXT) | instid1(VALU_DEP_1)
	v_add_f32_e32 v6, v11, v1
	v_add_f32_e32 v9, v6, v8
	s_delay_alu instid0(VALU_DEP_1) | instskip(NEXT) | instid1(VALU_DEP_1)
	v_dual_sub_f32 v11, v6, v11 :: v_dual_sub_f32 v10, v9, v6
	v_sub_f32_e32 v12, v9, v10
	s_delay_alu instid0(VALU_DEP_2) | instskip(NEXT) | instid1(VALU_DEP_2)
	v_sub_f32_e32 v1, v1, v11
	v_dual_sub_f32 v7, v8, v10 :: v_dual_sub_f32 v6, v6, v12
	s_delay_alu instid0(VALU_DEP_2) | instskip(NEXT) | instid1(VALU_DEP_2)
	v_add_f32_e32 v8, v1, v2
	v_add_f32_e32 v6, v7, v6
	s_delay_alu instid0(VALU_DEP_1) | instskip(NEXT) | instid1(VALU_DEP_1)
	v_add_f32_e32 v6, v8, v6
	v_dual_sub_f32 v7, v8, v1 :: v_dual_add_f32 v10, v9, v6
	s_delay_alu instid0(VALU_DEP_1) | instskip(SKIP_1) | instid1(VALU_DEP_3)
	v_sub_f32_e32 v8, v8, v7
	v_sub_f32_e32 v2, v2, v7
	v_sub_f32_e32 v7, v10, v9
	s_delay_alu instid0(VALU_DEP_3) | instskip(NEXT) | instid1(VALU_DEP_1)
	v_sub_f32_e32 v1, v1, v8
	v_add_f32_e32 v1, v2, v1
	s_delay_alu instid0(VALU_DEP_3) | instskip(NEXT) | instid1(VALU_DEP_1)
	v_sub_f32_e32 v2, v6, v7
	v_add_f32_e32 v1, v1, v2
	s_delay_alu instid0(VALU_DEP_1) | instskip(NEXT) | instid1(VALU_DEP_1)
	v_add_f32_e32 v2, v10, v1
	v_mul_f32_e32 v7, v4, v2
	v_sub_f32_e32 v6, v2, v10
	s_delay_alu instid0(VALU_DEP_2) | instskip(NEXT) | instid1(VALU_DEP_2)
	v_fma_f32 v2, v4, v2, -v7
	v_sub_f32_e32 v1, v1, v6
	v_cmp_class_f32_e64 s2, v7, 0x204
	s_delay_alu instid0(VALU_DEP_2) | instskip(NEXT) | instid1(VALU_DEP_1)
	v_fmac_f32_e32 v2, v4, v1
	v_add_f32_e32 v1, v7, v2
	s_delay_alu instid0(VALU_DEP_1) | instskip(NEXT) | instid1(VALU_DEP_1)
	v_cndmask_b32_e64 v6, v1, v7, s2
	v_cmp_eq_f32_e64 s2, 0x42b17218, v6
	s_delay_alu instid0(VALU_DEP_1) | instskip(SKIP_1) | instid1(VALU_DEP_2)
	v_cndmask_b32_e64 v8, 0, 0x37000000, s2
	v_cmp_neq_f32_e64 s2, 0x7f800000, |v6|
	v_sub_f32_e32 v9, v6, v8
	v_trunc_f32_e32 v6, v4
	s_delay_alu instid0(VALU_DEP_2) | instskip(NEXT) | instid1(VALU_DEP_1)
	v_mul_f32_e32 v10, 0x3fb8aa3b, v9
	v_fma_f32 v11, 0x3fb8aa3b, v9, -v10
	v_rndne_f32_e32 v12, v10
	s_delay_alu instid0(VALU_DEP_1) | instskip(NEXT) | instid1(VALU_DEP_1)
	v_dual_fmamk_f32 v11, v9, 0x32a5705f, v11 :: v_dual_sub_f32 v10, v10, v12
	v_add_f32_e32 v10, v10, v11
	v_sub_f32_e32 v1, v1, v7
	v_cvt_i32_f32_e32 v7, v12
	s_delay_alu instid0(VALU_DEP_3) | instskip(NEXT) | instid1(VALU_DEP_2)
	v_exp_f32_e32 v10, v10
	v_sub_f32_e32 v1, v2, v1
	s_delay_alu instid0(VALU_DEP_1)
	v_cndmask_b32_e64 v1, 0, v1, s2
	v_cmp_ngt_f32_e64 s2, 0xc2ce8ed0, v9
	s_waitcnt_depctr 0xfff
	v_ldexp_f32 v2, v10, v7
	v_mul_f32_e32 v7, 0.5, v4
	v_add_f32_e32 v1, v8, v1
	s_delay_alu instid0(VALU_DEP_3) | instskip(NEXT) | instid1(VALU_DEP_3)
	v_cndmask_b32_e64 v2, 0, v2, s2
	v_trunc_f32_e32 v10, v7
	v_cmp_nlt_f32_e64 s2, 0x42b17218, v9
	s_delay_alu instid0(VALU_DEP_2) | instskip(NEXT) | instid1(VALU_DEP_2)
	v_cmp_neq_f32_e64 s3, v10, v7
	v_cndmask_b32_e64 v2, 0x7f800000, v2, s2
	v_cmp_eq_f32_e64 s2, v6, v4
	s_delay_alu instid0(VALU_DEP_2) | instskip(NEXT) | instid1(VALU_DEP_2)
	v_fma_f32 v1, v2, v1, v2
	s_and_b32 vcc_lo, s2, s3
	v_cmp_class_f32_e64 s3, v2, 0x204
	v_cndmask_b32_e32 v6, 1.0, v3, vcc_lo
	s_delay_alu instid0(VALU_DEP_2) | instskip(SKIP_1) | instid1(VALU_DEP_2)
	v_cndmask_b32_e64 v1, v1, v2, s3
	v_cmp_gt_f32_e64 s3, 0, v4
	v_bfi_b32 v1, 0x7fffffff, v1, v6
	s_delay_alu instid0(VALU_DEP_2)
	s_xor_b32 s3, s3, s4
	v_cndmask_b32_e32 v6, 0, v3, vcc_lo
	v_cndmask_b32_e64 v2, 0x7f800000, 0, s3
	v_cmp_eq_f32_e32 vcc_lo, 0x7f800000, v5
	v_cndmask_b32_e64 v4, 0x7fc00000, v1, s2
	v_cmp_gt_f32_e64 s2, 0, v3
	s_delay_alu instid0(VALU_DEP_4) | instskip(SKIP_1) | instid1(VALU_DEP_2)
	v_bfi_b32 v2, 0x7fffffff, v2, v6
	s_or_b32 vcc_lo, vcc_lo, s4
	v_cndmask_b32_e64 v1, v1, v4, s2
	s_delay_alu instid0(VALU_DEP_1) | instskip(SKIP_1) | instid1(VALU_DEP_2)
	v_cndmask_b32_e32 v1, v1, v2, vcc_lo
	v_cmp_o_f32_e32 vcc_lo, v3, v3
	v_cndmask_b32_e32 v66, 0x7fc00000, v1, vcc_lo
.LBB23_2:
	s_load_b512 s[16:31], s[0:1], 0x0
	v_bfe_u32 v63, v0, 10, 10
	v_and_b32_e32 v64, 0x3ff, v0
	v_mbcnt_lo_u32_b32 v65, -1, 0
	s_mul_hi_u32 s10, s39, s6
	s_mul_hi_u32 s40, s9, s5
	s_waitcnt lgkmcnt(0)
	v_cmp_eq_u32_e64 s2, 0, v63
	s_delay_alu instid0(VALU_DEP_1)
	s_and_saveexec_b32 s11, s2
	s_cbranch_execz .LBB23_11
; %bb.3:
	s_load_b128 s[44:47], s[0:1], 0x70
	v_lshlrev_b32_e32 v0, 4, v64
	v_xor_b32_e32 v1, 4, v65
	v_xor_b32_e32 v5, 2, v65
	s_mov_b32 s6, exec_lo
	s_delay_alu instid0(VALU_DEP_2) | instskip(SKIP_1) | instid1(VALU_DEP_3)
	v_cmp_gt_i32_e32 vcc_lo, 32, v1
	v_cndmask_b32_e32 v1, v65, v1, vcc_lo
	v_cmp_gt_i32_e32 vcc_lo, 32, v5
	s_delay_alu instid0(VALU_DEP_2)
	v_lshlrev_b32_e32 v4, 2, v1
	s_waitcnt lgkmcnt(0)
	s_mul_i32 s3, s12, s46
	s_mul_i32 s4, s13, s44
	s_mul_i32 s5, s36, s45
	s_add_i32 s3, s3, s4
	s_delay_alu instid0(SALU_CYCLE_1) | instskip(NEXT) | instid1(SALU_CYCLE_1)
	s_add_i32 s3, s3, s5
	s_ashr_i32 s5, s3, 31
	s_add_u32 s4, s16, s3
	s_addc_u32 s5, s17, s5
	global_load_b128 v[11:14], v0, s[4:5]
	s_waitcnt vmcnt(0)
	v_mul_f32_e32 v3, s8, v11
	v_dual_mul_f32 v7, s8, v12 :: v_dual_mul_f32 v10, s8, v14
	v_mul_f32_e32 v11, s8, v13
	v_add_co_u32 v0, s3, s4, v0
	s_delay_alu instid0(VALU_DEP_4) | instskip(SKIP_1) | instid1(VALU_DEP_2)
	v_max_f32_e64 v2, |v3|, |v3|
	v_fma_f32 v8, s8, v12, v3
	v_max_f32_e64 v2, v2, |v7|
	s_delay_alu instid0(VALU_DEP_2) | instskip(SKIP_1) | instid1(VALU_DEP_3)
	v_fmac_f32_e32 v8, s8, v13
	v_cndmask_b32_e32 v5, v65, v5, vcc_lo
	v_max3_f32 v1, v2, |v11|, |v10|
	s_delay_alu instid0(VALU_DEP_3) | instskip(SKIP_3) | instid1(VALU_DEP_1)
	v_fmac_f32_e32 v8, s8, v14
	ds_bpermute_b32 v2, v4, v1
	s_waitcnt lgkmcnt(0)
	v_max_f32_e32 v2, v2, v2
	v_dual_max_f32 v1, v1, v2 :: v_dual_lshlrev_b32 v6, 2, v5
	v_xor_b32_e32 v5, 1, v65
	ds_bpermute_b32 v9, v4, v8
	ds_bpermute_b32 v2, v6, v1
	v_cmp_gt_i32_e32 vcc_lo, 32, v5
	v_cndmask_b32_e32 v5, v65, v5, vcc_lo
	s_waitcnt lgkmcnt(0)
	s_delay_alu instid0(VALU_DEP_1) | instskip(NEXT) | instid1(VALU_DEP_1)
	v_dual_max_f32 v2, v2, v2 :: v_dual_lshlrev_b32 v5, 2, v5
	v_max_f32_e32 v1, v1, v2
	ds_bpermute_b32 v2, v5, v1
	s_waitcnt lgkmcnt(0)
	v_max_f32_e32 v2, v2, v2
	s_delay_alu instid0(VALU_DEP_1) | instskip(NEXT) | instid1(VALU_DEP_1)
	v_max_f32_e32 v1, v1, v2
	v_div_scale_f32 v2, null, 0x42fe0000, 0x42fe0000, v1
	v_div_scale_f32 v14, vcc_lo, v1, 0x42fe0000, v1
	v_add_f32_e32 v8, v8, v9
	s_delay_alu instid0(VALU_DEP_3) | instskip(SKIP_2) | instid1(VALU_DEP_1)
	v_rcp_f32_e32 v12, v2
	s_waitcnt_depctr 0xfff
	v_fma_f32 v9, -v2, v12, 1.0
	v_fmac_f32_e32 v12, v9, v12
	s_delay_alu instid0(VALU_DEP_1) | instskip(SKIP_3) | instid1(VALU_DEP_1)
	v_mul_f32_e32 v15, v14, v12
	ds_bpermute_b32 v13, v6, v8
	v_fma_f32 v9, -v2, v15, v14
	s_waitcnt lgkmcnt(0)
	v_dual_fmac_f32 v15, v9, v12 :: v_dual_add_f32 v8, v8, v13
	s_delay_alu instid0(VALU_DEP_1) | instskip(SKIP_3) | instid1(VALU_DEP_2)
	v_fma_f32 v2, -v2, v15, v14
	ds_bpermute_b32 v9, v5, v8
	v_div_fmas_f32 v2, v2, v12, v15
	v_mov_b32_e32 v12, 0
	v_div_fixup_f32 v2, v2, 0x42fe0000, v1
	v_add_co_ci_u32_e64 v1, null, s5, 0, s3
	s_delay_alu instid0(VALU_DEP_2)
	v_cmpx_neq_f32_e32 0, v2
	s_cbranch_execz .LBB23_5
; %bb.4:
	v_div_scale_f32 v12, null, v2, v2, v3
	v_div_scale_f32 v13, null, v2, v2, v7
	;; [unrolled: 1-line block ×3, first 2 shown]
	s_delay_alu instid0(VALU_DEP_3) | instskip(SKIP_1) | instid1(VALU_DEP_3)
	v_rcp_f32_e32 v14, v12
	v_div_scale_f32 v16, null, v2, v2, v10
	v_rcp_f32_e32 v17, v13
	s_delay_alu instid0(VALU_DEP_2) | instskip(SKIP_1) | instid1(VALU_DEP_2)
	v_rcp_f32_e32 v18, v15
	v_div_scale_f32 v22, vcc_lo, v3, v2, v3
	v_rcp_f32_e32 v19, v16
	v_fma_f32 v20, -v12, v14, 1.0
	s_delay_alu instid0(TRANS32_DEP_3)
	v_fma_f32 v21, -v13, v17, 1.0
	s_waitcnt_depctr 0xfff
	v_fma_f32 v23, -v15, v18, 1.0
	v_fmac_f32_e32 v14, v20, v14
	v_div_scale_f32 v20, s3, v7, v2, v7
	v_fmac_f32_e32 v17, v21, v17
	v_fma_f32 v24, -v16, v19, 1.0
	v_fmac_f32_e32 v18, v23, v18
	v_div_scale_f32 v21, s4, v11, v2, v11
	s_delay_alu instid0(VALU_DEP_4) | instskip(NEXT) | instid1(VALU_DEP_4)
	v_mul_f32_e32 v25, v20, v17
	v_dual_fmac_f32 v19, v24, v19 :: v_dual_mul_f32 v24, v22, v14
	v_div_scale_f32 v23, s5, v10, v2, v10
	s_delay_alu instid0(VALU_DEP_4) | instskip(NEXT) | instid1(VALU_DEP_4)
	v_mul_f32_e32 v26, v21, v18
	v_fma_f32 v29, -v13, v25, v20
	s_delay_alu instid0(VALU_DEP_4) | instskip(NEXT) | instid1(VALU_DEP_4)
	v_fma_f32 v28, -v12, v24, v22
	v_mul_f32_e32 v27, v23, v19
	s_delay_alu instid0(VALU_DEP_4) | instskip(NEXT) | instid1(VALU_DEP_3)
	v_fma_f32 v30, -v15, v26, v21
	v_dual_fmac_f32 v25, v29, v17 :: v_dual_fmac_f32 v24, v28, v14
	s_delay_alu instid0(VALU_DEP_3) | instskip(NEXT) | instid1(VALU_DEP_3)
	v_fma_f32 v31, -v16, v27, v23
	v_fmac_f32_e32 v26, v30, v18
	s_delay_alu instid0(VALU_DEP_3) | instskip(NEXT) | instid1(VALU_DEP_4)
	v_fma_f32 v13, -v13, v25, v20
	v_fma_f32 v12, -v12, v24, v22
	s_delay_alu instid0(VALU_DEP_4) | instskip(NEXT) | instid1(VALU_DEP_4)
	v_fmac_f32_e32 v27, v31, v19
	v_fma_f32 v15, -v15, v26, v21
	s_delay_alu instid0(VALU_DEP_3) | instskip(SKIP_3) | instid1(VALU_DEP_2)
	v_div_fmas_f32 v12, v12, v14, v24
	s_mov_b32 vcc_lo, s3
	v_div_fmas_f32 v13, v13, v17, v25
	s_mov_b32 vcc_lo, s4
	v_div_fixup_f32 v3, v12, v2, v3
	v_div_fmas_f32 v14, v15, v18, v26
	v_fma_f32 v15, -v16, v27, v23
	s_mov_b32 vcc_lo, s5
	v_div_fixup_f32 v7, v13, v2, v7
	v_trunc_f32_e32 v17, v3
	v_div_fixup_f32 v11, v14, v2, v11
	v_div_fmas_f32 v14, v15, v19, v27
	s_delay_alu instid0(VALU_DEP_2) | instskip(NEXT) | instid1(VALU_DEP_2)
	v_trunc_f32_e32 v13, v11
	v_div_fixup_f32 v10, v14, v2, v10
	v_trunc_f32_e32 v14, v7
	s_delay_alu instid0(VALU_DEP_2) | instskip(NEXT) | instid1(VALU_DEP_1)
	v_trunc_f32_e32 v12, v10
	v_dual_sub_f32 v15, v11, v13 :: v_dual_sub_f32 v18, v10, v12
	s_delay_alu instid0(VALU_DEP_1) | instskip(NEXT) | instid1(VALU_DEP_1)
	v_cmp_ge_f32_e64 s3, |v15|, 0.5
	v_cndmask_b32_e64 v15, 0, 1.0, s3
	s_delay_alu instid0(VALU_DEP_1) | instskip(NEXT) | instid1(VALU_DEP_1)
	v_bfi_b32 v11, 0x7fffffff, v15, v11
	v_dual_sub_f32 v16, v7, v14 :: v_dual_add_f32 v11, v13, v11
	s_delay_alu instid0(VALU_DEP_1) | instskip(NEXT) | instid1(VALU_DEP_2)
	v_cmp_ge_f32_e64 s3, |v16|, 0.5
	v_cvt_i32_f32_e32 v11, v11
	s_delay_alu instid0(VALU_DEP_2) | instskip(SKIP_1) | instid1(VALU_DEP_3)
	v_cndmask_b32_e64 v16, 0, 1.0, s3
	v_cmp_ge_f32_e64 s3, |v18|, 0.5
	v_and_b32_e32 v11, 0xff, v11
	s_delay_alu instid0(VALU_DEP_3) | instskip(NEXT) | instid1(VALU_DEP_3)
	v_bfi_b32 v7, 0x7fffffff, v16, v7
	v_cndmask_b32_e64 v18, 0, 1.0, s3
	s_delay_alu instid0(VALU_DEP_3) | instskip(NEXT) | instid1(VALU_DEP_3)
	v_lshlrev_b32_e32 v11, 16, v11
	v_add_f32_e32 v7, v14, v7
	s_delay_alu instid0(VALU_DEP_3) | instskip(SKIP_1) | instid1(VALU_DEP_3)
	v_bfi_b32 v10, 0x7fffffff, v18, v10
	v_sub_f32_e32 v15, v3, v17
	v_cvt_i32_f32_e32 v7, v7
	s_delay_alu instid0(VALU_DEP_3) | instskip(NEXT) | instid1(VALU_DEP_3)
	v_add_f32_e32 v10, v12, v10
	v_cmp_ge_f32_e64 s3, |v15|, 0.5
	s_delay_alu instid0(VALU_DEP_3) | instskip(NEXT) | instid1(VALU_DEP_3)
	v_and_b32_e32 v7, 0xff, v7
	v_cvt_i32_f32_e32 v10, v10
	s_delay_alu instid0(VALU_DEP_3) | instskip(NEXT) | instid1(VALU_DEP_3)
	v_cndmask_b32_e64 v13, 0, 1.0, s3
	v_lshlrev_b32_e32 v7, 8, v7
	s_delay_alu instid0(VALU_DEP_3) | instskip(NEXT) | instid1(VALU_DEP_3)
	v_lshl_or_b32 v10, v10, 24, v11
	v_bfi_b32 v3, 0x7fffffff, v13, v3
	s_delay_alu instid0(VALU_DEP_1) | instskip(NEXT) | instid1(VALU_DEP_1)
	v_add_f32_e32 v3, v17, v3
	v_cvt_i32_f32_e32 v3, v3
	s_delay_alu instid0(VALU_DEP_1) | instskip(NEXT) | instid1(VALU_DEP_1)
	v_and_b32_e32 v3, 0xff, v3
	v_or3_b32 v12, v10, v7, v3
.LBB23_5:
	s_or_b32 exec_lo, exec_lo, s6
	v_and_b32_e32 v3, 7, v64
	v_lshlrev_b32_e32 v7, 2, v64
	s_delay_alu instid0(VALU_DEP_2)
	v_cmp_eq_u32_e64 s3, 0, v3
	ds_store_b32 v7, v12
	s_and_saveexec_b32 s4, s3
	s_cbranch_execz .LBB23_7
; %bb.6:
	s_waitcnt lgkmcnt(1)
	v_add_f32_e32 v3, v8, v9
	ds_store_b64 v64, v[2:3] offset:256
.LBB23_7:
	s_or_b32 exec_lo, exec_lo, s4
	global_load_b128 v[10:13], v[0:1], off offset:512
	s_waitcnt vmcnt(0)
	v_dual_mul_f32 v3, s8, v10 :: v_dual_mul_f32 v8, s8, v11
	s_waitcnt lgkmcnt(1)
	v_dual_mul_f32 v10, s8, v12 :: v_dual_mul_f32 v9, s8, v13
	s_delay_alu instid0(VALU_DEP_2) | instskip(SKIP_1) | instid1(VALU_DEP_2)
	v_max_f32_e64 v0, |v3|, |v3|
	v_fma_f32 v2, s8, v11, v3
	v_max_f32_e64 v0, v0, |v8|
	s_delay_alu instid0(VALU_DEP_2) | instskip(NEXT) | instid1(VALU_DEP_2)
	v_fmac_f32_e32 v2, s8, v12
	v_max3_f32 v0, v0, |v10|, |v9|
	s_delay_alu instid0(VALU_DEP_2)
	v_fmac_f32_e32 v2, s8, v13
	s_mov_b32 s8, exec_lo
	ds_bpermute_b32 v1, v4, v0
	ds_bpermute_b32 v4, v4, v2
	s_waitcnt lgkmcnt(1)
	v_max_f32_e32 v1, v1, v1
	s_delay_alu instid0(VALU_DEP_1) | instskip(SKIP_3) | instid1(VALU_DEP_1)
	v_max_f32_e32 v0, v0, v1
	ds_bpermute_b32 v1, v6, v0
	s_waitcnt lgkmcnt(0)
	v_max_f32_e32 v1, v1, v1
	v_max_f32_e32 v0, v0, v1
	ds_bpermute_b32 v1, v5, v0
	s_waitcnt lgkmcnt(0)
	v_max_f32_e32 v1, v1, v1
	s_delay_alu instid0(VALU_DEP_1) | instskip(NEXT) | instid1(VALU_DEP_1)
	v_dual_max_f32 v0, v0, v1 :: v_dual_add_f32 v1, v2, v4
	v_div_scale_f32 v11, null, 0x42fe0000, 0x42fe0000, v0
	ds_bpermute_b32 v4, v6, v1
	v_div_scale_f32 v6, vcc_lo, v0, 0x42fe0000, v0
	v_rcp_f32_e32 v12, v11
	s_waitcnt_depctr 0xfff
	v_fma_f32 v2, -v11, v12, 1.0
	s_delay_alu instid0(VALU_DEP_1) | instskip(SKIP_2) | instid1(VALU_DEP_2)
	v_fmac_f32_e32 v12, v2, v12
	s_waitcnt lgkmcnt(0)
	v_add_f32_e32 v1, v1, v4
	v_mul_f32_e32 v13, v6, v12
	s_delay_alu instid0(VALU_DEP_1) | instskip(NEXT) | instid1(VALU_DEP_1)
	v_fma_f32 v2, -v11, v13, v6
	v_fmac_f32_e32 v13, v2, v12
	ds_bpermute_b32 v2, v5, v1
	v_fma_f32 v4, -v11, v13, v6
	s_delay_alu instid0(VALU_DEP_1) | instskip(NEXT) | instid1(VALU_DEP_1)
	v_div_fmas_f32 v4, v4, v12, v13
	v_div_fixup_f32 v0, v4, 0x42fe0000, v0
	v_mov_b32_e32 v4, 0
	s_delay_alu instid0(VALU_DEP_2)
	v_cmpx_neq_f32_e32 0, v0
	s_cbranch_execz .LBB23_9
; %bb.8:
	v_div_scale_f32 v4, null, v0, v0, v3
	v_div_scale_f32 v5, null, v0, v0, v8
	;; [unrolled: 1-line block ×3, first 2 shown]
	s_delay_alu instid0(VALU_DEP_3) | instskip(SKIP_1) | instid1(VALU_DEP_3)
	v_rcp_f32_e32 v6, v4
	v_div_scale_f32 v12, null, v0, v0, v9
	v_rcp_f32_e32 v13, v5
	s_delay_alu instid0(VALU_DEP_2) | instskip(SKIP_1) | instid1(VALU_DEP_2)
	v_rcp_f32_e32 v14, v11
	v_div_scale_f32 v18, vcc_lo, v3, v0, v3
	v_rcp_f32_e32 v15, v12
	v_fma_f32 v16, -v4, v6, 1.0
	s_delay_alu instid0(TRANS32_DEP_3)
	v_fma_f32 v17, -v5, v13, 1.0
	s_waitcnt_depctr 0xfff
	v_fma_f32 v19, -v11, v14, 1.0
	v_fmac_f32_e32 v6, v16, v6
	v_div_scale_f32 v16, s4, v8, v0, v8
	v_fmac_f32_e32 v13, v17, v13
	v_fma_f32 v20, -v12, v15, 1.0
	v_fmac_f32_e32 v14, v19, v14
	v_div_scale_f32 v17, s5, v10, v0, v10
	s_delay_alu instid0(VALU_DEP_4) | instskip(NEXT) | instid1(VALU_DEP_4)
	v_mul_f32_e32 v21, v16, v13
	v_dual_fmac_f32 v15, v20, v15 :: v_dual_mul_f32 v20, v18, v6
	v_div_scale_f32 v19, s6, v9, v0, v9
	s_delay_alu instid0(VALU_DEP_4) | instskip(NEXT) | instid1(VALU_DEP_4)
	v_mul_f32_e32 v22, v17, v14
	v_fma_f32 v25, -v5, v21, v16
	s_delay_alu instid0(VALU_DEP_4) | instskip(NEXT) | instid1(VALU_DEP_4)
	v_fma_f32 v24, -v4, v20, v18
	v_mul_f32_e32 v23, v19, v15
	s_delay_alu instid0(VALU_DEP_4) | instskip(NEXT) | instid1(VALU_DEP_3)
	v_fma_f32 v26, -v11, v22, v17
	v_dual_fmac_f32 v21, v25, v13 :: v_dual_fmac_f32 v20, v24, v6
	s_delay_alu instid0(VALU_DEP_3) | instskip(NEXT) | instid1(VALU_DEP_3)
	v_fma_f32 v27, -v12, v23, v19
	v_fmac_f32_e32 v22, v26, v14
	s_delay_alu instid0(VALU_DEP_3) | instskip(NEXT) | instid1(VALU_DEP_4)
	v_fma_f32 v5, -v5, v21, v16
	v_fma_f32 v4, -v4, v20, v18
	s_delay_alu instid0(VALU_DEP_4) | instskip(NEXT) | instid1(VALU_DEP_4)
	v_fmac_f32_e32 v23, v27, v15
	v_fma_f32 v11, -v11, v22, v17
	s_delay_alu instid0(VALU_DEP_3) | instskip(SKIP_3) | instid1(VALU_DEP_2)
	v_div_fmas_f32 v4, v4, v6, v20
	s_mov_b32 vcc_lo, s4
	v_div_fmas_f32 v5, v5, v13, v21
	s_mov_b32 vcc_lo, s5
	v_div_fixup_f32 v3, v4, v0, v3
	v_div_fmas_f32 v6, v11, v14, v22
	v_fma_f32 v11, -v12, v23, v19
	s_mov_b32 vcc_lo, s6
	v_div_fixup_f32 v5, v5, v0, v8
	v_trunc_f32_e32 v13, v3
	v_div_fixup_f32 v6, v6, v0, v10
	v_div_fmas_f32 v10, v11, v15, v23
	s_delay_alu instid0(VALU_DEP_2) | instskip(NEXT) | instid1(VALU_DEP_2)
	v_trunc_f32_e32 v8, v6
	v_div_fixup_f32 v9, v10, v0, v9
	v_trunc_f32_e32 v10, v5
	s_delay_alu instid0(VALU_DEP_3) | instskip(NEXT) | instid1(VALU_DEP_3)
	v_sub_f32_e32 v11, v6, v8
	v_trunc_f32_e32 v4, v9
	s_delay_alu instid0(VALU_DEP_3) | instskip(NEXT) | instid1(VALU_DEP_3)
	v_sub_f32_e32 v12, v5, v10
	v_cmp_ge_f32_e64 s4, |v11|, 0.5
	s_delay_alu instid0(VALU_DEP_3) | instskip(NEXT) | instid1(VALU_DEP_2)
	v_sub_f32_e32 v14, v9, v4
	v_cndmask_b32_e64 v11, 0, 1.0, s4
	s_delay_alu instid0(VALU_DEP_4) | instskip(NEXT) | instid1(VALU_DEP_2)
	v_cmp_ge_f32_e64 s4, |v12|, 0.5
	v_bfi_b32 v6, 0x7fffffff, v11, v6
	v_sub_f32_e32 v11, v3, v13
	s_delay_alu instid0(VALU_DEP_3) | instskip(SKIP_1) | instid1(VALU_DEP_2)
	v_cndmask_b32_e64 v12, 0, 1.0, s4
	v_cmp_ge_f32_e64 s4, |v14|, 0.5
	v_bfi_b32 v5, 0x7fffffff, v12, v5
	s_delay_alu instid0(VALU_DEP_2) | instskip(SKIP_1) | instid1(VALU_DEP_3)
	v_cndmask_b32_e64 v14, 0, 1.0, s4
	v_cmp_ge_f32_e64 s4, |v11|, 0.5
	v_dual_add_f32 v6, v8, v6 :: v_dual_add_f32 v5, v10, v5
	s_delay_alu instid0(VALU_DEP_3) | instskip(NEXT) | instid1(VALU_DEP_3)
	v_bfi_b32 v9, 0x7fffffff, v14, v9
	v_cndmask_b32_e64 v8, 0, 1.0, s4
	s_delay_alu instid0(VALU_DEP_3) | instskip(NEXT) | instid1(VALU_DEP_4)
	v_cvt_i32_f32_e32 v6, v6
	v_cvt_i32_f32_e32 v5, v5
	s_delay_alu instid0(VALU_DEP_3) | instskip(SKIP_1) | instid1(VALU_DEP_4)
	v_bfi_b32 v3, 0x7fffffff, v8, v3
	v_add_f32_e32 v4, v4, v9
	v_and_b32_e32 v6, 0xff, v6
	s_delay_alu instid0(VALU_DEP_4) | instskip(NEXT) | instid1(VALU_DEP_4)
	v_and_b32_e32 v5, 0xff, v5
	v_add_f32_e32 v3, v13, v3
	s_delay_alu instid0(VALU_DEP_4) | instskip(NEXT) | instid1(VALU_DEP_4)
	v_cvt_i32_f32_e32 v4, v4
	v_lshlrev_b32_e32 v6, 16, v6
	s_delay_alu instid0(VALU_DEP_4) | instskip(NEXT) | instid1(VALU_DEP_4)
	v_lshlrev_b32_e32 v5, 8, v5
	v_cvt_i32_f32_e32 v3, v3
	s_delay_alu instid0(VALU_DEP_3) | instskip(NEXT) | instid1(VALU_DEP_2)
	v_lshl_or_b32 v4, v4, 24, v6
	v_and_b32_e32 v3, 0xff, v3
	s_delay_alu instid0(VALU_DEP_1)
	v_or3_b32 v4, v4, v5, v3
.LBB23_9:
	s_or_b32 exec_lo, exec_lo, s8
	ds_store_b32 v7, v4 offset:128
	s_and_b32 exec_lo, exec_lo, s3
	s_cbranch_execz .LBB23_11
; %bb.10:
	s_waitcnt lgkmcnt(1)
	v_add_f32_e32 v1, v1, v2
	ds_store_b64 v64, v[0:1] offset:288
.LBB23_11:
	s_or_b32 exec_lo, exec_lo, s11
	v_dual_mov_b32 v175, 0 :: v_dual_and_b32 v16, 1, v64
	s_waitcnt lgkmcnt(0)
	s_barrier
	buffer_gl0_inv
	v_lshlrev_b32_e32 v70, 2, v16
	s_ashr_i32 s37, s36, 31
	s_ashr_i32 s42, s7, 31
	;; [unrolled: 1-line block ×3, first 2 shown]
	s_cmp_eq_u64 s[26:27], 0
	ds_load_2addr_b32 v[31:32], v70 offset1:2
	ds_load_2addr_b32 v[33:34], v70 offset0:4 offset1:6
	ds_load_2addr_b32 v[35:36], v70 offset0:8 offset1:10
	;; [unrolled: 1-line block ×3, first 2 shown]
	ds_load_b128 v[0:3], v175 offset:256
	ds_load_b128 v[4:7], v175 offset:272
	;; [unrolled: 1-line block ×4, first 2 shown]
	ds_load_2addr_b32 v[39:40], v70 offset0:16 offset1:18
	ds_load_2addr_b32 v[41:42], v70 offset0:20 offset1:22
	;; [unrolled: 1-line block ×12, first 2 shown]
	s_waitcnt lgkmcnt(0)
	s_barrier
	buffer_gl0_inv
	s_cbranch_scc1 .LBB23_13
; %bb.12:
	s_load_b32 s4, s[0:1], 0xd0
	s_mov_b32 s5, 0
	s_waitcnt lgkmcnt(0)
	s_mul_i32 s4, s4, s12
	s_delay_alu instid0(SALU_CYCLE_1) | instskip(NEXT) | instid1(SALU_CYCLE_1)
	s_add_i32 s4, s4, s13
	s_lshl_b64 s[4:5], s[4:5], 2
	s_delay_alu instid0(SALU_CYCLE_1)
	s_add_u32 s4, s26, s4
	s_addc_u32 s5, s27, s5
	s_load_b32 s38, s[4:5], 0x0
.LBB23_13:
	v_dual_mov_b32 v176, 0xfeffffff :: v_dual_lshlrev_b32 v17, 5, v63
	v_dual_mov_b32 v173, 0 :: v_dual_mov_b32 v172, 0
	v_lshlrev_b32_e32 v69, 2, v64
	s_delay_alu instid0(VALU_DEP_3)
	v_dual_mov_b32 v174, 0 :: v_dual_add_nc_u32 v67, v17, v64
	s_lshl_b32 s8, s14, 7
	s_mov_b32 s11, 0
	s_waitcnt lgkmcnt(0)
	s_cmp_ge_i32 s8, s38
	v_dual_mov_b32 v171, 0 :: v_dual_lshlrev_b32 v68, 1, v67
	s_cbranch_scc1 .LBB23_21
; %bb.14:
	s_clause 0x2
	s_load_b128 s[4:7], s[0:1], 0x98
	s_load_b64 s[26:27], s[0:1], 0xa8
	s_load_b64 s[16:17], s[0:1], 0x8c
	s_mul_i32 s43, s10, s33
	s_xor_b32 s42, s37, s42
	s_sub_i32 s43, s39, s43
	s_add_i32 s44, s10, 1
	s_sub_i32 s47, s43, s33
	s_mul_i32 s45, s40, s15
	s_mul_i32 s46, s13, s41
	s_clause 0x1
	s_load_b64 s[40:41], s[0:1], 0xc8
	s_load_b32 s39, s[0:1], 0xd4
	v_dual_add_f32 v1, v1, v1 :: v_dual_and_b32 v18, 0x7e, v64
	v_xor_b32_e32 v20, 1, v65
	v_or_b32_e32 v19, 0x58, v70
	s_delay_alu instid0(VALU_DEP_3) | instskip(SKIP_2) | instid1(VALU_DEP_4)
	v_dual_add_f32 v7, v7, v7 :: v_dual_add_nc_u32 v78, v17, v18
	v_or_b32_e32 v18, 56, v70
	v_or_b32_e32 v80, 24, v70
	v_dual_mov_b32 v170, 0 :: v_dual_and_b32 v89, 12, v19
	s_waitcnt lgkmcnt(0)
	s_mul_i32 s5, s12, s5
	s_mul_hi_u32 s48, s12, s4
	s_mul_i32 s49, s3, s4
	s_add_i32 s5, s48, s5
	s_mul_i32 s4, s12, s4
	s_add_i32 s5, s5, s49
	s_cmp_ge_u32 s43, s33
	s_mul_i32 s27, s12, s27
	s_cselect_b32 s10, s44, s10
	s_cselect_b32 s43, s47, s43
	s_add_i32 s44, s10, 1
	s_cmp_ge_u32 s43, s33
	s_mul_hi_u32 s33, s12, s26
	s_cselect_b32 s10, s44, s10
	s_mul_i32 s43, s3, s26
	s_xor_b32 s10, s10, s42
	s_mul_i32 s26, s12, s26
	s_sub_i32 s10, s10, s42
	v_mul_lo_u32 v71, v17, s6
	s_mul_i32 s17, s10, s17
	s_mul_i32 s10, s10, s7
	s_ashr_i32 s7, s17, 31
	s_add_u32 s4, s18, s4
	s_addc_u32 s5, s19, s5
	s_add_u32 s17, s4, s17
	s_addc_u32 s7, s5, s7
	s_add_i32 s4, s33, s27
	s_ashr_i32 s5, s10, 31
	s_add_i32 s4, s4, s43
	s_add_u32 s18, s20, s26
	s_addc_u32 s4, s21, s4
	s_add_u32 s10, s18, s10
	s_addc_u32 s18, s4, s5
	s_sub_i32 s4, s9, s45
	s_mov_b32 s9, s11
	s_sub_i32 s5, s4, s15
	s_cmp_ge_u32 s4, s15
	v_dual_mov_b32 v174, 0 :: v_dual_and_b32 v87, 28, v18
	s_cselect_b32 s4, s5, s4
	v_dual_mov_b32 v171, 0 :: v_dual_add_nc_u32 v72, s6, v71
	s_sub_i32 s5, s4, s15
	s_cmp_ge_u32 s4, s15
	v_add_f32_e32 v104, v15, v15
	s_cselect_b32 s4, s5, s4
	v_add_nc_u32_e32 v73, s6, v72
	s_xor_b32 s4, s4, s3
	v_xor_b32_e32 v15, 2, v65
	s_sub_i32 s3, s4, s3
	v_add_f32_e32 v3, v3, v3
	s_mul_i32 s4, s3, s41
	s_mul_hi_u32 s5, s3, s40
	s_ashr_i32 s20, s3, 31
	s_add_i32 s4, s5, s4
	s_mul_i32 s20, s20, s40
	s_mul_i32 s3, s3, s40
	s_add_i32 s4, s4, s20
	s_add_u32 s3, s22, s3
	s_addc_u32 s4, s23, s4
	s_ashr_i32 s5, s46, 31
	s_add_u32 s3, s3, s46
	s_addc_u32 s20, s4, s5
	s_lshl_b64 s[4:5], s[8:9], 1
	v_add_nc_u32_e32 v74, s6, v73
	s_add_u32 s4, s3, s4
	v_cmp_eq_u32_e64 s3, 0, v16
	v_xor_b32_e32 v16, 4, v65
	v_and_b32_e32 v85, 12, v18
	v_or_b32_e32 v18, 0x78, v70
	v_and_b32_e32 v90, 28, v19
	v_or_b32_e32 v19, 0x98, v70
	v_mul_lo_u32 v108, v78, s16
	s_mul_i32 s15, s8, s6
	v_and_b32_e32 v91, 12, v18
	v_and_b32_e32 v93, 28, v18
	v_or_b32_e32 v18, 0xb8, v70
	v_and_b32_e32 v95, 12, v19
	v_and_b32_e32 v96, 28, v19
	v_or_b32_e32 v19, 0xd8, v70
	v_add_f32_e32 v5, v5, v5
	v_and_b32_e32 v97, 12, v18
	v_and_b32_e32 v99, 28, v18
	;; [unrolled: 1-line block ×5, first 2 shown]
	v_or_b32_e32 v19, 0xf8, v70
	s_addc_u32 s5, s20, s5
	v_add_nc_u32_e32 v18, 2, v18
	s_mul_i32 s19, s8, s16
	s_add_u32 s9, s10, s15
	v_and_b32_e32 v106, 12, v19
	v_and_b32_e32 v107, 28, v19
	v_cmp_lt_i32_e32 vcc_lo, v20, v18
	v_dual_mov_b32 v172, 0 :: v_dual_add_nc_u32 v75, s6, v74
	v_xor_b32_e32 v19, 16, v65
	v_add_nc_u32_e32 v113, s16, v108
	v_cndmask_b32_e32 v18, v65, v20, vcc_lo
	v_cmp_gt_i32_e32 vcc_lo, 32, v15
	v_dual_add_f32 v9, v9, v9 :: v_dual_add_nc_u32 v76, s6, v75
	s_addc_u32 s15, s18, 0
	s_delay_alu instid0(VALU_DEP_3)
	v_dual_cndmask_b32 v15, v65, v15 :: v_dual_lshlrev_b32 v110, 2, v18
	v_xor_b32_e32 v18, 8, v65
	v_cmp_gt_i32_e32 vcc_lo, 32, v16
	v_add_f32_e32 v13, v13, v13
	s_add_u32 s17, s17, s19
	v_lshlrev_b32_e32 v119, 2, v15
	v_dual_cndmask_b32 v16, v65, v16 :: v_dual_add_nc_u32 v15, 0x80, v69
	v_cmp_gt_i32_e32 vcc_lo, 32, v18
	v_add_nc_u32_e32 v77, s6, v76
	s_addc_u32 s18, s7, 0
	v_mov_b32_e32 v173, 0
	s_cmp_lg_u64 s[22:23], 0
	s_delay_alu instid0(VALU_DEP_2)
	v_dual_cndmask_b32 v18, v65, v18 :: v_dual_add_nc_u32 v79, s6, v77
	v_cmp_gt_i32_e32 vcc_lo, 32, v19
	v_or_b32_e32 v81, 8, v70
	v_or_b32_e32 v83, 16, v70
	v_dual_add_f32 v11, v11, v11 :: v_dual_and_b32 v84, 12, v80
	v_add_nc_u32_e32 v82, s6, v79
	v_cndmask_b32_e32 v19, v65, v19, vcc_lo
	v_and_b32_e32 v111, 4, v64
	v_ashrrev_i32_e32 v114, 31, v108
	v_ashrrev_i32_e32 v116, 31, v113
	v_add_nc_u32_e32 v86, s6, v82
	v_lshlrev_b32_e32 v121, 2, v16
	v_lshlrev_b32_e32 v122, 2, v18
	;; [unrolled: 1-line block ×4, first 2 shown]
	v_add_nc_u32_e32 v88, s6, v86
	v_ashrrev_i32_e32 v126, 31, v71
	v_bfe_u32 v127, v64, 3, 27
	v_and_b32_e32 v128, 12, v69
	v_lshrrev_b32_e32 v130, 5, v15
	v_add_nc_u32_e32 v92, s6, v88
	v_and_b32_e32 v131, 12, v15
	v_ashrrev_i32_e32 v132, 31, v72
	v_ashrrev_i32_e32 v133, 31, v73
	v_ashrrev_i32_e32 v135, 31, v74
	v_add_nc_u32_e32 v94, s6, v92
	v_ashrrev_i32_e32 v136, 31, v75
	v_ashrrev_i32_e32 v137, 31, v76
	v_ashrrev_i32_e32 v138, 31, v77
	v_ashrrev_i32_e32 v140, 31, v79
	v_add_nc_u32_e32 v98, s6, v94
	v_ashrrev_i32_e32 v141, 31, v82
	;; [unrolled: 5-line block ×3, first 2 shown]
	v_ashrrev_i32_e32 v147, 31, v98
	v_mov_b32_e32 v19, 0xfeffffff
	s_cselect_b32 s19, -1, 0
	v_add_nc_u32_e32 v103, s6, v100
	v_ashrrev_i32_e32 v148, 31, v100
	s_lshl_b32 s10, s39, 7
	s_delay_alu instid0(SALU_CYCLE_1) | instskip(NEXT) | instid1(VALU_DEP_2)
	s_mul_i32 s16, s10, s16
	v_add_nc_u32_e32 v105, s6, v103
	v_ashrrev_i32_e32 v150, 31, v103
	s_mul_i32 s20, s10, s6
	s_delay_alu instid0(VALU_DEP_2) | instskip(SKIP_1) | instid1(VALU_DEP_2)
	v_add_nc_u32_e32 v109, s6, v105
	v_ashrrev_i32_e32 v151, 31, v105
	v_add_nc_u32_e32 v112, s6, v109
	v_ashrrev_i32_e32 v152, 31, v109
	s_delay_alu instid0(VALU_DEP_2) | instskip(SKIP_1) | instid1(VALU_DEP_2)
	v_add_nc_u32_e32 v115, s6, v112
	v_ashrrev_i32_e32 v153, 31, v112
	v_add_nc_u32_e32 v117, s6, v115
	v_ashrrev_i32_e32 v155, 31, v115
	;; [unrolled: 5-line block ×7, first 2 shown]
	s_delay_alu instid0(VALU_DEP_2) | instskip(SKIP_2) | instid1(VALU_DEP_2)
	v_add_nc_u32_e32 v164, s6, v159
	v_ashrrev_i32_e32 v168, 31, v159
	s_lshl_b64 s[6:7], s[10:11], 1
	v_ashrrev_i32_e32 v169, 31, v164
.LBB23_15:                              ; =>This Inner Loop Header: Depth=1
	v_add_co_u32 v15, vcc_lo, s17, v108
	v_add_co_ci_u32_e32 v16, vcc_lo, s18, v114, vcc_lo
	s_delay_alu instid0(VALU_DEP_2) | instskip(NEXT) | instid1(VALU_DEP_2)
	v_add_co_u32 v17, vcc_lo, v15, v70
	v_add_co_ci_u32_e32 v18, vcc_lo, 0, v16, vcc_lo
	s_clause 0x2
	global_load_b32 v20, v[17:18], off offset:6
	global_load_b32 v22, v[15:16], off
	global_load_u16 v21, v[15:16], off offset:4
	s_waitcnt vmcnt(2)
	v_and_b32_e32 v25, 0xf0f0f0f, v20
	v_lshrrev_b32_e32 v20, 4, v20
	s_waitcnt vmcnt(0)
	v_perm_b32 v23, v22, v21, 0x1000706
	s_delay_alu instid0(VALU_DEP_2) | instskip(NEXT) | instid1(VALU_DEP_2)
	v_and_b32_e32 v20, 0xf0f0f0f, v20
	v_ashrrev_i32_e32 v21, v70, v23
	s_delay_alu instid0(VALU_DEP_1) | instskip(SKIP_3) | instid1(VALU_DEP_4)
	v_lshlrev_b32_e32 v24, 4, v21
	v_lshlrev_b32_e32 v26, 11, v21
	;; [unrolled: 1-line block ×4, first 2 shown]
	v_and_b32_e32 v24, 16, v24
	s_delay_alu instid0(VALU_DEP_4) | instskip(NEXT) | instid1(VALU_DEP_4)
	v_and_b32_e32 v26, 0x1000, v26
	v_and_b32_e32 v27, 0x100000, v27
	s_delay_alu instid0(VALU_DEP_4) | instskip(NEXT) | instid1(VALU_DEP_1)
	v_and_b32_e32 v21, 0x10000000, v21
	v_or3_b32 v21, v21, v25, v27
	v_ashrrev_i32_e32 v25, v81, v23
	s_delay_alu instid0(VALU_DEP_2)
	v_or3_b32 v21, v21, v24, v26
	global_load_b32 v24, v[17:18], off offset:14
	v_lshlrev_b32_e32 v26, 4, v25
	v_lshlrev_b32_e32 v27, 11, v25
	;; [unrolled: 1-line block ×4, first 2 shown]
	v_dot4_i32_iu8 v21, v21, v31, 0 neg_lo:[1,1,0]
	v_and_b32_e32 v26, 16, v26
	v_and_b32_e32 v27, 0x1000, v27
	;; [unrolled: 1-line block ×4, first 2 shown]
	v_cvt_f32_i32_e32 v21, v21
	s_delay_alu instid0(VALU_DEP_1) | instskip(NEXT) | instid1(VALU_DEP_1)
	v_fma_f32 v21, v0, v21, -v1
	v_fma_mix_f32 v21, v21, v22, 0 op_sel_hi:[0,1,0]
	s_waitcnt vmcnt(0)
	v_and_b32_e32 v24, 0xf0f0f0f, v24
	s_delay_alu instid0(VALU_DEP_1) | instskip(NEXT) | instid1(VALU_DEP_1)
	v_or3_b32 v24, v25, v24, v28
	v_or3_b32 v24, v24, v26, v27
	s_delay_alu instid0(VALU_DEP_1) | instskip(NEXT) | instid1(VALU_DEP_1)
	v_dot4_i32_iu8 v24, v24, v32, 0 neg_lo:[1,1,0]
	v_cvt_f32_i32_e32 v24, v24
	s_delay_alu instid0(VALU_DEP_1) | instskip(NEXT) | instid1(VALU_DEP_1)
	v_fma_f32 v24, v0, v24, -v1
	v_fma_mix_f32 v21, v24, v22, v21 op_sel_hi:[0,1,0]
	v_ashrrev_i32_e32 v24, v83, v23
	s_delay_alu instid0(VALU_DEP_1) | instskip(SKIP_3) | instid1(VALU_DEP_4)
	v_lshlrev_b32_e32 v25, 4, v24
	v_lshlrev_b32_e32 v26, 11, v24
	;; [unrolled: 1-line block ×4, first 2 shown]
	v_and_b32_e32 v25, 16, v25
	s_delay_alu instid0(VALU_DEP_4) | instskip(NEXT) | instid1(VALU_DEP_4)
	v_and_b32_e32 v26, 0x1000, v26
	v_and_b32_e32 v27, 0x100000, v27
	s_delay_alu instid0(VALU_DEP_4) | instskip(NEXT) | instid1(VALU_DEP_1)
	v_and_b32_e32 v24, 0x10000000, v24
	v_or3_b32 v20, v24, v20, v27
	s_delay_alu instid0(VALU_DEP_1) | instskip(NEXT) | instid1(VALU_DEP_1)
	v_or3_b32 v20, v20, v25, v26
	v_dot4_i32_iu8 v20, v20, v33, 0 neg_lo:[1,1,0]
	s_delay_alu instid0(VALU_DEP_1) | instskip(NEXT) | instid1(VALU_DEP_1)
	v_cvt_f32_i32_e32 v20, v20
	v_fma_f32 v20, v0, v20, -v1
	s_delay_alu instid0(VALU_DEP_1) | instskip(SKIP_4) | instid1(VALU_DEP_1)
	v_fma_mix_f32 v24, v20, v22, v21 op_sel_hi:[0,1,0]
	v_add_co_u32 v20, vcc_lo, v15, v84
	v_add_co_ci_u32_e32 v21, vcc_lo, 0, v16, vcc_lo
	global_load_b32 v20, v[20:21], off offset:6
	v_ashrrev_i32_e32 v21, v80, v23
	v_lshlrev_b32_e32 v23, 4, v21
	v_lshlrev_b32_e32 v25, 11, v21
	;; [unrolled: 1-line block ×4, first 2 shown]
	s_delay_alu instid0(VALU_DEP_4) | instskip(NEXT) | instid1(VALU_DEP_4)
	v_and_b32_e32 v23, 16, v23
	v_and_b32_e32 v25, 0x1000, v25
	s_delay_alu instid0(VALU_DEP_4) | instskip(NEXT) | instid1(VALU_DEP_4)
	v_and_b32_e32 v26, 0x100000, v26
	v_and_b32_e32 v21, 0x10000000, v21
	s_delay_alu instid0(VALU_DEP_1) | instskip(SKIP_2) | instid1(VALU_DEP_1)
	v_or3_b32 v21, v26, v21, v23
	s_waitcnt vmcnt(0)
	v_lshrrev_b32_e32 v20, 4, v20
	v_and_b32_e32 v20, 0xf0f0f0f, v20
	s_delay_alu instid0(VALU_DEP_1) | instskip(NEXT) | instid1(VALU_DEP_1)
	v_or3_b32 v20, v21, v25, v20
	v_dot4_i32_iu8 v20, v20, v34, 0 neg_lo:[1,1,0]
	s_delay_alu instid0(VALU_DEP_1) | instskip(NEXT) | instid1(VALU_DEP_1)
	v_cvt_f32_i32_e32 v20, v20
	v_fma_f32 v20, v0, v20, -v1
	s_delay_alu instid0(VALU_DEP_1)
	v_fma_mix_f32 v20, v20, v22, v24 op_sel_hi:[0,1,0]
	s_clause 0x2
	global_load_b32 v21, v[17:18], off offset:28
	global_load_b32 v22, v[15:16], off offset:22
	global_load_u16 v23, v[15:16], off offset:26
	s_waitcnt vmcnt(2)
	v_and_b32_e32 v26, 0xf0f0f0f, v21
	v_lshrrev_b32_e32 v21, 4, v21
	s_waitcnt vmcnt(0)
	v_perm_b32 v23, v22, v23, 0x1000706
	s_delay_alu instid0(VALU_DEP_2) | instskip(NEXT) | instid1(VALU_DEP_2)
	v_and_b32_e32 v21, 0xf0f0f0f, v21
	v_ashrrev_i32_e32 v24, v70, v23
	s_delay_alu instid0(VALU_DEP_1) | instskip(SKIP_3) | instid1(VALU_DEP_4)
	v_lshlrev_b32_e32 v25, 4, v24
	v_lshlrev_b32_e32 v27, 11, v24
	;; [unrolled: 1-line block ×4, first 2 shown]
	v_and_b32_e32 v25, 16, v25
	s_delay_alu instid0(VALU_DEP_4) | instskip(NEXT) | instid1(VALU_DEP_4)
	v_and_b32_e32 v27, 0x1000, v27
	v_and_b32_e32 v28, 0x100000, v28
	s_delay_alu instid0(VALU_DEP_4) | instskip(NEXT) | instid1(VALU_DEP_1)
	v_and_b32_e32 v24, 0x10000000, v24
	v_or3_b32 v24, v24, v26, v28
	s_delay_alu instid0(VALU_DEP_1) | instskip(SKIP_1) | instid1(VALU_DEP_2)
	v_or3_b32 v24, v24, v25, v27
	v_ashrrev_i32_e32 v25, v81, v23
	v_dot4_i32_iu8 v24, v24, v35, 0 neg_lo:[1,1,0]
	s_delay_alu instid0(VALU_DEP_2)
	v_lshlrev_b32_e32 v26, 4, v25
	v_lshlrev_b32_e32 v27, 11, v25
	;; [unrolled: 1-line block ×4, first 2 shown]
	v_cvt_f32_i32_e32 v24, v24
	v_and_b32_e32 v26, 16, v26
	v_and_b32_e32 v27, 0x1000, v27
	;; [unrolled: 1-line block ×4, first 2 shown]
	v_fma_f32 v24, v2, v24, -v3
	s_delay_alu instid0(VALU_DEP_1) | instskip(SKIP_3) | instid1(VALU_DEP_1)
	v_fma_mix_f32 v20, v24, v22, v20 op_sel_hi:[0,1,0]
	global_load_b32 v24, v[17:18], off offset:36
	s_waitcnt vmcnt(0)
	v_and_b32_e32 v24, 0xf0f0f0f, v24
	v_or3_b32 v24, v25, v24, v28
	s_delay_alu instid0(VALU_DEP_1) | instskip(NEXT) | instid1(VALU_DEP_1)
	v_or3_b32 v24, v24, v26, v27
	v_dot4_i32_iu8 v24, v24, v36, 0 neg_lo:[1,1,0]
	s_delay_alu instid0(VALU_DEP_1) | instskip(NEXT) | instid1(VALU_DEP_1)
	v_cvt_f32_i32_e32 v24, v24
	v_fma_f32 v24, v2, v24, -v3
	s_delay_alu instid0(VALU_DEP_1) | instskip(SKIP_1) | instid1(VALU_DEP_1)
	v_fma_mix_f32 v20, v24, v22, v20 op_sel_hi:[0,1,0]
	v_ashrrev_i32_e32 v24, v83, v23
	v_lshlrev_b32_e32 v25, 4, v24
	v_lshlrev_b32_e32 v26, 11, v24
	;; [unrolled: 1-line block ×4, first 2 shown]
	s_delay_alu instid0(VALU_DEP_4) | instskip(NEXT) | instid1(VALU_DEP_4)
	v_and_b32_e32 v25, 16, v25
	v_and_b32_e32 v26, 0x1000, v26
	s_delay_alu instid0(VALU_DEP_4) | instskip(NEXT) | instid1(VALU_DEP_4)
	v_and_b32_e32 v27, 0x100000, v27
	v_and_b32_e32 v24, 0x10000000, v24
	s_delay_alu instid0(VALU_DEP_1) | instskip(NEXT) | instid1(VALU_DEP_1)
	v_or3_b32 v21, v24, v21, v27
	v_or3_b32 v21, v21, v25, v26
	s_delay_alu instid0(VALU_DEP_1) | instskip(NEXT) | instid1(VALU_DEP_1)
	v_dot4_i32_iu8 v21, v21, v37, 0 neg_lo:[1,1,0]
	v_cvt_f32_i32_e32 v21, v21
	s_delay_alu instid0(VALU_DEP_1) | instskip(NEXT) | instid1(VALU_DEP_1)
	v_fma_f32 v21, v2, v21, -v3
	v_fma_mix_f32 v24, v21, v22, v20 op_sel_hi:[0,1,0]
	v_add_co_u32 v20, vcc_lo, v15, v85
	v_add_co_ci_u32_e32 v21, vcc_lo, 0, v16, vcc_lo
	global_load_b32 v20, v[20:21], off offset:28
	v_ashrrev_i32_e32 v21, v87, v23
	s_delay_alu instid0(VALU_DEP_1) | instskip(SKIP_3) | instid1(VALU_DEP_4)
	v_lshlrev_b32_e32 v23, 4, v21
	v_lshlrev_b32_e32 v25, 11, v21
	;; [unrolled: 1-line block ×4, first 2 shown]
	v_and_b32_e32 v23, 16, v23
	s_delay_alu instid0(VALU_DEP_4) | instskip(NEXT) | instid1(VALU_DEP_4)
	v_and_b32_e32 v25, 0x1000, v25
	v_and_b32_e32 v26, 0x100000, v26
	s_delay_alu instid0(VALU_DEP_4) | instskip(NEXT) | instid1(VALU_DEP_1)
	v_and_b32_e32 v21, 0x10000000, v21
	v_or3_b32 v21, v26, v21, v23
	s_waitcnt vmcnt(0)
	v_lshrrev_b32_e32 v20, 4, v20
	s_delay_alu instid0(VALU_DEP_1) | instskip(NEXT) | instid1(VALU_DEP_1)
	v_and_b32_e32 v20, 0xf0f0f0f, v20
	v_or3_b32 v20, v21, v25, v20
	s_delay_alu instid0(VALU_DEP_1) | instskip(NEXT) | instid1(VALU_DEP_1)
	v_dot4_i32_iu8 v20, v20, v38, 0 neg_lo:[1,1,0]
	v_cvt_f32_i32_e32 v20, v20
	s_delay_alu instid0(VALU_DEP_1) | instskip(NEXT) | instid1(VALU_DEP_1)
	v_fma_f32 v20, v2, v20, -v3
	v_fma_mix_f32 v20, v20, v22, v24 op_sel_hi:[0,1,0]
	s_clause 0x2
	global_load_b32 v21, v[17:18], off offset:50
	global_load_b32 v22, v[15:16], off offset:44
	global_load_u16 v23, v[15:16], off offset:48
	s_waitcnt vmcnt(2)
	v_and_b32_e32 v26, 0xf0f0f0f, v21
	v_lshrrev_b32_e32 v21, 4, v21
	s_waitcnt vmcnt(0)
	v_perm_b32 v23, v22, v23, 0x1000706
	s_delay_alu instid0(VALU_DEP_2) | instskip(NEXT) | instid1(VALU_DEP_2)
	v_and_b32_e32 v21, 0xf0f0f0f, v21
	v_ashrrev_i32_e32 v24, v70, v23
	s_delay_alu instid0(VALU_DEP_1) | instskip(SKIP_3) | instid1(VALU_DEP_4)
	v_lshlrev_b32_e32 v25, 4, v24
	v_lshlrev_b32_e32 v27, 11, v24
	;; [unrolled: 1-line block ×4, first 2 shown]
	v_and_b32_e32 v25, 16, v25
	s_delay_alu instid0(VALU_DEP_4) | instskip(NEXT) | instid1(VALU_DEP_4)
	v_and_b32_e32 v27, 0x1000, v27
	v_and_b32_e32 v28, 0x100000, v28
	s_delay_alu instid0(VALU_DEP_4) | instskip(NEXT) | instid1(VALU_DEP_1)
	v_and_b32_e32 v24, 0x10000000, v24
	v_or3_b32 v24, v24, v26, v28
	s_delay_alu instid0(VALU_DEP_1) | instskip(SKIP_1) | instid1(VALU_DEP_2)
	v_or3_b32 v24, v24, v25, v27
	v_ashrrev_i32_e32 v25, v81, v23
	v_dot4_i32_iu8 v24, v24, v39, 0 neg_lo:[1,1,0]
	s_delay_alu instid0(VALU_DEP_2)
	v_lshlrev_b32_e32 v26, 4, v25
	v_lshlrev_b32_e32 v27, 11, v25
	;; [unrolled: 1-line block ×4, first 2 shown]
	v_cvt_f32_i32_e32 v24, v24
	v_and_b32_e32 v26, 16, v26
	v_and_b32_e32 v27, 0x1000, v27
	;; [unrolled: 1-line block ×4, first 2 shown]
	v_fma_f32 v24, v4, v24, -v5
	s_delay_alu instid0(VALU_DEP_1) | instskip(SKIP_3) | instid1(VALU_DEP_1)
	v_fma_mix_f32 v20, v24, v22, v20 op_sel_hi:[0,1,0]
	global_load_b32 v24, v[17:18], off offset:58
	s_waitcnt vmcnt(0)
	v_and_b32_e32 v24, 0xf0f0f0f, v24
	v_or3_b32 v24, v25, v24, v28
	s_delay_alu instid0(VALU_DEP_1) | instskip(NEXT) | instid1(VALU_DEP_1)
	v_or3_b32 v24, v24, v26, v27
	v_dot4_i32_iu8 v24, v24, v40, 0 neg_lo:[1,1,0]
	s_delay_alu instid0(VALU_DEP_1) | instskip(NEXT) | instid1(VALU_DEP_1)
	v_cvt_f32_i32_e32 v24, v24
	v_fma_f32 v24, v4, v24, -v5
	s_delay_alu instid0(VALU_DEP_1) | instskip(SKIP_1) | instid1(VALU_DEP_1)
	v_fma_mix_f32 v20, v24, v22, v20 op_sel_hi:[0,1,0]
	v_ashrrev_i32_e32 v24, v83, v23
	v_lshlrev_b32_e32 v25, 4, v24
	v_lshlrev_b32_e32 v26, 11, v24
	;; [unrolled: 1-line block ×4, first 2 shown]
	s_delay_alu instid0(VALU_DEP_4) | instskip(NEXT) | instid1(VALU_DEP_4)
	v_and_b32_e32 v25, 16, v25
	v_and_b32_e32 v26, 0x1000, v26
	s_delay_alu instid0(VALU_DEP_4) | instskip(NEXT) | instid1(VALU_DEP_4)
	v_and_b32_e32 v27, 0x100000, v27
	v_and_b32_e32 v24, 0x10000000, v24
	s_delay_alu instid0(VALU_DEP_1) | instskip(NEXT) | instid1(VALU_DEP_1)
	v_or3_b32 v21, v24, v21, v27
	v_or3_b32 v21, v21, v25, v26
	s_delay_alu instid0(VALU_DEP_1) | instskip(NEXT) | instid1(VALU_DEP_1)
	v_dot4_i32_iu8 v21, v21, v41, 0 neg_lo:[1,1,0]
	v_cvt_f32_i32_e32 v21, v21
	s_delay_alu instid0(VALU_DEP_1) | instskip(NEXT) | instid1(VALU_DEP_1)
	v_fma_f32 v21, v4, v21, -v5
	v_fma_mix_f32 v24, v21, v22, v20 op_sel_hi:[0,1,0]
	v_add_co_u32 v20, vcc_lo, v15, v89
	v_add_co_ci_u32_e32 v21, vcc_lo, 0, v16, vcc_lo
	global_load_b32 v20, v[20:21], off offset:50
	v_ashrrev_i32_e32 v21, v90, v23
	s_delay_alu instid0(VALU_DEP_1) | instskip(SKIP_3) | instid1(VALU_DEP_4)
	v_lshlrev_b32_e32 v23, 4, v21
	v_lshlrev_b32_e32 v25, 11, v21
	;; [unrolled: 1-line block ×4, first 2 shown]
	v_and_b32_e32 v23, 16, v23
	s_delay_alu instid0(VALU_DEP_4) | instskip(NEXT) | instid1(VALU_DEP_4)
	v_and_b32_e32 v25, 0x1000, v25
	v_and_b32_e32 v26, 0x100000, v26
	s_delay_alu instid0(VALU_DEP_4) | instskip(NEXT) | instid1(VALU_DEP_1)
	v_and_b32_e32 v21, 0x10000000, v21
	v_or3_b32 v21, v26, v21, v23
	s_waitcnt vmcnt(0)
	v_lshrrev_b32_e32 v20, 4, v20
	s_delay_alu instid0(VALU_DEP_1) | instskip(NEXT) | instid1(VALU_DEP_1)
	v_and_b32_e32 v20, 0xf0f0f0f, v20
	v_or3_b32 v20, v21, v25, v20
	s_delay_alu instid0(VALU_DEP_1) | instskip(NEXT) | instid1(VALU_DEP_1)
	v_dot4_i32_iu8 v20, v20, v42, 0 neg_lo:[1,1,0]
	v_cvt_f32_i32_e32 v20, v20
	s_delay_alu instid0(VALU_DEP_1) | instskip(NEXT) | instid1(VALU_DEP_1)
	v_fma_f32 v20, v4, v20, -v5
	v_fma_mix_f32 v20, v20, v22, v24 op_sel_hi:[0,1,0]
	s_clause 0x2
	global_load_b32 v21, v[17:18], off offset:72
	global_load_b32 v22, v[15:16], off offset:66
	global_load_u16 v23, v[15:16], off offset:70
	s_waitcnt vmcnt(2)
	v_and_b32_e32 v26, 0xf0f0f0f, v21
	v_lshrrev_b32_e32 v21, 4, v21
	s_waitcnt vmcnt(0)
	v_perm_b32 v23, v22, v23, 0x1000706
	s_delay_alu instid0(VALU_DEP_2) | instskip(NEXT) | instid1(VALU_DEP_2)
	v_and_b32_e32 v21, 0xf0f0f0f, v21
	v_ashrrev_i32_e32 v24, v70, v23
	s_delay_alu instid0(VALU_DEP_1) | instskip(SKIP_3) | instid1(VALU_DEP_4)
	v_lshlrev_b32_e32 v25, 4, v24
	v_lshlrev_b32_e32 v27, 11, v24
	;; [unrolled: 1-line block ×4, first 2 shown]
	v_and_b32_e32 v25, 16, v25
	s_delay_alu instid0(VALU_DEP_4) | instskip(NEXT) | instid1(VALU_DEP_4)
	v_and_b32_e32 v27, 0x1000, v27
	v_and_b32_e32 v28, 0x100000, v28
	s_delay_alu instid0(VALU_DEP_4) | instskip(NEXT) | instid1(VALU_DEP_1)
	v_and_b32_e32 v24, 0x10000000, v24
	v_or3_b32 v24, v24, v26, v28
	s_delay_alu instid0(VALU_DEP_1) | instskip(SKIP_1) | instid1(VALU_DEP_2)
	v_or3_b32 v24, v24, v25, v27
	v_ashrrev_i32_e32 v25, v81, v23
	v_dot4_i32_iu8 v24, v24, v43, 0 neg_lo:[1,1,0]
	s_delay_alu instid0(VALU_DEP_2)
	v_lshlrev_b32_e32 v26, 4, v25
	v_lshlrev_b32_e32 v27, 11, v25
	;; [unrolled: 1-line block ×4, first 2 shown]
	v_cvt_f32_i32_e32 v24, v24
	v_and_b32_e32 v26, 16, v26
	v_and_b32_e32 v27, 0x1000, v27
	;; [unrolled: 1-line block ×4, first 2 shown]
	v_fma_f32 v24, v6, v24, -v7
	s_delay_alu instid0(VALU_DEP_1) | instskip(SKIP_3) | instid1(VALU_DEP_1)
	v_fma_mix_f32 v20, v24, v22, v20 op_sel_hi:[0,1,0]
	global_load_b32 v24, v[17:18], off offset:80
	s_waitcnt vmcnt(0)
	v_and_b32_e32 v24, 0xf0f0f0f, v24
	v_or3_b32 v24, v25, v24, v28
	s_delay_alu instid0(VALU_DEP_1) | instskip(NEXT) | instid1(VALU_DEP_1)
	v_or3_b32 v24, v24, v26, v27
	v_dot4_i32_iu8 v24, v24, v44, 0 neg_lo:[1,1,0]
	s_delay_alu instid0(VALU_DEP_1) | instskip(NEXT) | instid1(VALU_DEP_1)
	v_cvt_f32_i32_e32 v24, v24
	v_fma_f32 v24, v6, v24, -v7
	s_delay_alu instid0(VALU_DEP_1) | instskip(SKIP_1) | instid1(VALU_DEP_1)
	v_fma_mix_f32 v20, v24, v22, v20 op_sel_hi:[0,1,0]
	v_ashrrev_i32_e32 v24, v83, v23
	v_lshlrev_b32_e32 v25, 4, v24
	v_lshlrev_b32_e32 v26, 11, v24
	;; [unrolled: 1-line block ×4, first 2 shown]
	s_delay_alu instid0(VALU_DEP_4) | instskip(NEXT) | instid1(VALU_DEP_4)
	v_and_b32_e32 v25, 16, v25
	v_and_b32_e32 v26, 0x1000, v26
	s_delay_alu instid0(VALU_DEP_4) | instskip(NEXT) | instid1(VALU_DEP_4)
	v_and_b32_e32 v27, 0x100000, v27
	v_and_b32_e32 v24, 0x10000000, v24
	s_delay_alu instid0(VALU_DEP_1) | instskip(NEXT) | instid1(VALU_DEP_1)
	v_or3_b32 v21, v24, v21, v27
	v_or3_b32 v21, v21, v25, v26
	s_delay_alu instid0(VALU_DEP_1) | instskip(NEXT) | instid1(VALU_DEP_1)
	v_dot4_i32_iu8 v21, v21, v45, 0 neg_lo:[1,1,0]
	v_cvt_f32_i32_e32 v21, v21
	s_delay_alu instid0(VALU_DEP_1) | instskip(NEXT) | instid1(VALU_DEP_1)
	v_fma_f32 v21, v6, v21, -v7
	v_fma_mix_f32 v24, v21, v22, v20 op_sel_hi:[0,1,0]
	v_add_co_u32 v20, vcc_lo, v15, v91
	v_add_co_ci_u32_e32 v21, vcc_lo, 0, v16, vcc_lo
	global_load_b32 v20, v[20:21], off offset:72
	v_ashrrev_i32_e32 v21, v93, v23
	s_delay_alu instid0(VALU_DEP_1) | instskip(SKIP_3) | instid1(VALU_DEP_4)
	v_lshlrev_b32_e32 v23, 4, v21
	v_lshlrev_b32_e32 v25, 11, v21
	;; [unrolled: 1-line block ×4, first 2 shown]
	v_and_b32_e32 v23, 16, v23
	s_delay_alu instid0(VALU_DEP_4) | instskip(NEXT) | instid1(VALU_DEP_4)
	v_and_b32_e32 v25, 0x1000, v25
	v_and_b32_e32 v26, 0x100000, v26
	s_delay_alu instid0(VALU_DEP_4) | instskip(NEXT) | instid1(VALU_DEP_1)
	v_and_b32_e32 v21, 0x10000000, v21
	v_or3_b32 v21, v26, v21, v23
	s_waitcnt vmcnt(0)
	v_lshrrev_b32_e32 v20, 4, v20
	s_delay_alu instid0(VALU_DEP_1) | instskip(NEXT) | instid1(VALU_DEP_1)
	v_and_b32_e32 v20, 0xf0f0f0f, v20
	v_or3_b32 v20, v21, v25, v20
	s_delay_alu instid0(VALU_DEP_1) | instskip(NEXT) | instid1(VALU_DEP_1)
	v_dot4_i32_iu8 v20, v20, v46, 0 neg_lo:[1,1,0]
	v_cvt_f32_i32_e32 v20, v20
	s_delay_alu instid0(VALU_DEP_1) | instskip(NEXT) | instid1(VALU_DEP_1)
	v_fma_f32 v20, v6, v20, -v7
	v_fma_mix_f32 v20, v20, v22, v24 op_sel_hi:[0,1,0]
	s_clause 0x2
	global_load_b32 v21, v[17:18], off offset:94
	global_load_b32 v22, v[15:16], off offset:88
	global_load_u16 v23, v[15:16], off offset:92
	s_waitcnt vmcnt(2)
	v_and_b32_e32 v26, 0xf0f0f0f, v21
	v_lshrrev_b32_e32 v21, 4, v21
	s_waitcnt vmcnt(0)
	v_perm_b32 v23, v22, v23, 0x1000706
	s_delay_alu instid0(VALU_DEP_2) | instskip(NEXT) | instid1(VALU_DEP_2)
	v_and_b32_e32 v21, 0xf0f0f0f, v21
	v_ashrrev_i32_e32 v24, v70, v23
	s_delay_alu instid0(VALU_DEP_1) | instskip(SKIP_3) | instid1(VALU_DEP_4)
	v_lshlrev_b32_e32 v25, 4, v24
	v_lshlrev_b32_e32 v27, 11, v24
	v_lshlrev_b32_e32 v28, 18, v24
	v_lshlrev_b32_e32 v24, 25, v24
	v_and_b32_e32 v25, 16, v25
	s_delay_alu instid0(VALU_DEP_4) | instskip(NEXT) | instid1(VALU_DEP_4)
	v_and_b32_e32 v27, 0x1000, v27
	v_and_b32_e32 v28, 0x100000, v28
	s_delay_alu instid0(VALU_DEP_4) | instskip(NEXT) | instid1(VALU_DEP_1)
	v_and_b32_e32 v24, 0x10000000, v24
	v_or3_b32 v24, v24, v26, v28
	s_delay_alu instid0(VALU_DEP_1) | instskip(SKIP_1) | instid1(VALU_DEP_2)
	v_or3_b32 v24, v24, v25, v27
	v_ashrrev_i32_e32 v25, v81, v23
	v_dot4_i32_iu8 v24, v24, v47, 0 neg_lo:[1,1,0]
	s_delay_alu instid0(VALU_DEP_2)
	v_lshlrev_b32_e32 v26, 4, v25
	v_lshlrev_b32_e32 v27, 11, v25
	;; [unrolled: 1-line block ×4, first 2 shown]
	v_cvt_f32_i32_e32 v24, v24
	v_and_b32_e32 v26, 16, v26
	v_and_b32_e32 v27, 0x1000, v27
	;; [unrolled: 1-line block ×4, first 2 shown]
	v_fma_f32 v24, v8, v24, -v9
	s_delay_alu instid0(VALU_DEP_1) | instskip(SKIP_3) | instid1(VALU_DEP_1)
	v_fma_mix_f32 v20, v24, v22, v20 op_sel_hi:[0,1,0]
	global_load_b32 v24, v[17:18], off offset:102
	s_waitcnt vmcnt(0)
	v_and_b32_e32 v24, 0xf0f0f0f, v24
	v_or3_b32 v24, v25, v24, v28
	s_delay_alu instid0(VALU_DEP_1) | instskip(NEXT) | instid1(VALU_DEP_1)
	v_or3_b32 v24, v24, v26, v27
	v_dot4_i32_iu8 v24, v24, v48, 0 neg_lo:[1,1,0]
	s_delay_alu instid0(VALU_DEP_1) | instskip(NEXT) | instid1(VALU_DEP_1)
	v_cvt_f32_i32_e32 v24, v24
	v_fma_f32 v24, v8, v24, -v9
	s_delay_alu instid0(VALU_DEP_1) | instskip(SKIP_1) | instid1(VALU_DEP_1)
	v_fma_mix_f32 v20, v24, v22, v20 op_sel_hi:[0,1,0]
	v_ashrrev_i32_e32 v24, v83, v23
	v_lshlrev_b32_e32 v25, 4, v24
	v_lshlrev_b32_e32 v26, 11, v24
	v_lshlrev_b32_e32 v27, 18, v24
	v_lshlrev_b32_e32 v24, 25, v24
	s_delay_alu instid0(VALU_DEP_4) | instskip(NEXT) | instid1(VALU_DEP_4)
	v_and_b32_e32 v25, 16, v25
	v_and_b32_e32 v26, 0x1000, v26
	s_delay_alu instid0(VALU_DEP_4) | instskip(NEXT) | instid1(VALU_DEP_4)
	v_and_b32_e32 v27, 0x100000, v27
	v_and_b32_e32 v24, 0x10000000, v24
	s_delay_alu instid0(VALU_DEP_1) | instskip(NEXT) | instid1(VALU_DEP_1)
	v_or3_b32 v21, v24, v21, v27
	v_or3_b32 v21, v21, v25, v26
	s_delay_alu instid0(VALU_DEP_1) | instskip(NEXT) | instid1(VALU_DEP_1)
	v_dot4_i32_iu8 v21, v21, v49, 0 neg_lo:[1,1,0]
	v_cvt_f32_i32_e32 v21, v21
	s_delay_alu instid0(VALU_DEP_1) | instskip(NEXT) | instid1(VALU_DEP_1)
	v_fma_f32 v21, v8, v21, -v9
	v_fma_mix_f32 v24, v21, v22, v20 op_sel_hi:[0,1,0]
	v_add_co_u32 v20, vcc_lo, v15, v95
	v_add_co_ci_u32_e32 v21, vcc_lo, 0, v16, vcc_lo
	global_load_b32 v20, v[20:21], off offset:94
	v_ashrrev_i32_e32 v21, v96, v23
	s_delay_alu instid0(VALU_DEP_1) | instskip(SKIP_3) | instid1(VALU_DEP_4)
	v_lshlrev_b32_e32 v23, 4, v21
	v_lshlrev_b32_e32 v25, 11, v21
	;; [unrolled: 1-line block ×4, first 2 shown]
	v_and_b32_e32 v23, 16, v23
	s_delay_alu instid0(VALU_DEP_4) | instskip(NEXT) | instid1(VALU_DEP_4)
	v_and_b32_e32 v25, 0x1000, v25
	v_and_b32_e32 v26, 0x100000, v26
	s_delay_alu instid0(VALU_DEP_4) | instskip(NEXT) | instid1(VALU_DEP_1)
	v_and_b32_e32 v21, 0x10000000, v21
	v_or3_b32 v21, v26, v21, v23
	s_waitcnt vmcnt(0)
	v_lshrrev_b32_e32 v20, 4, v20
	s_delay_alu instid0(VALU_DEP_1) | instskip(NEXT) | instid1(VALU_DEP_1)
	v_and_b32_e32 v20, 0xf0f0f0f, v20
	v_or3_b32 v20, v21, v25, v20
	s_delay_alu instid0(VALU_DEP_1) | instskip(NEXT) | instid1(VALU_DEP_1)
	v_dot4_i32_iu8 v20, v20, v50, 0 neg_lo:[1,1,0]
	v_cvt_f32_i32_e32 v20, v20
	s_delay_alu instid0(VALU_DEP_1) | instskip(NEXT) | instid1(VALU_DEP_1)
	v_fma_f32 v20, v8, v20, -v9
	v_fma_mix_f32 v20, v20, v22, v24 op_sel_hi:[0,1,0]
	s_clause 0x2
	global_load_b32 v21, v[17:18], off offset:116
	global_load_b32 v22, v[15:16], off offset:110
	global_load_u16 v23, v[15:16], off offset:114
	s_waitcnt vmcnt(2)
	v_and_b32_e32 v26, 0xf0f0f0f, v21
	v_lshrrev_b32_e32 v21, 4, v21
	s_waitcnt vmcnt(0)
	v_perm_b32 v23, v22, v23, 0x1000706
	s_delay_alu instid0(VALU_DEP_2) | instskip(NEXT) | instid1(VALU_DEP_2)
	v_and_b32_e32 v21, 0xf0f0f0f, v21
	v_ashrrev_i32_e32 v24, v70, v23
	s_delay_alu instid0(VALU_DEP_1) | instskip(SKIP_3) | instid1(VALU_DEP_4)
	v_lshlrev_b32_e32 v25, 4, v24
	v_lshlrev_b32_e32 v27, 11, v24
	;; [unrolled: 1-line block ×4, first 2 shown]
	v_and_b32_e32 v25, 16, v25
	s_delay_alu instid0(VALU_DEP_4) | instskip(NEXT) | instid1(VALU_DEP_4)
	v_and_b32_e32 v27, 0x1000, v27
	v_and_b32_e32 v28, 0x100000, v28
	s_delay_alu instid0(VALU_DEP_4) | instskip(NEXT) | instid1(VALU_DEP_1)
	v_and_b32_e32 v24, 0x10000000, v24
	v_or3_b32 v24, v24, v26, v28
	s_delay_alu instid0(VALU_DEP_1) | instskip(SKIP_1) | instid1(VALU_DEP_2)
	v_or3_b32 v24, v24, v25, v27
	v_ashrrev_i32_e32 v25, v81, v23
	v_dot4_i32_iu8 v24, v24, v51, 0 neg_lo:[1,1,0]
	s_delay_alu instid0(VALU_DEP_2)
	v_lshlrev_b32_e32 v26, 4, v25
	v_lshlrev_b32_e32 v27, 11, v25
	;; [unrolled: 1-line block ×4, first 2 shown]
	v_cvt_f32_i32_e32 v24, v24
	v_and_b32_e32 v26, 16, v26
	v_and_b32_e32 v27, 0x1000, v27
	;; [unrolled: 1-line block ×4, first 2 shown]
	v_fma_f32 v24, v10, v24, -v11
	s_delay_alu instid0(VALU_DEP_1) | instskip(SKIP_3) | instid1(VALU_DEP_1)
	v_fma_mix_f32 v20, v24, v22, v20 op_sel_hi:[0,1,0]
	global_load_b32 v24, v[17:18], off offset:124
	s_waitcnt vmcnt(0)
	v_and_b32_e32 v24, 0xf0f0f0f, v24
	v_or3_b32 v24, v25, v24, v28
	s_delay_alu instid0(VALU_DEP_1) | instskip(NEXT) | instid1(VALU_DEP_1)
	v_or3_b32 v24, v24, v26, v27
	v_dot4_i32_iu8 v24, v24, v52, 0 neg_lo:[1,1,0]
	s_delay_alu instid0(VALU_DEP_1) | instskip(NEXT) | instid1(VALU_DEP_1)
	v_cvt_f32_i32_e32 v24, v24
	v_fma_f32 v24, v10, v24, -v11
	s_delay_alu instid0(VALU_DEP_1) | instskip(SKIP_1) | instid1(VALU_DEP_1)
	v_fma_mix_f32 v20, v24, v22, v20 op_sel_hi:[0,1,0]
	v_ashrrev_i32_e32 v24, v83, v23
	v_lshlrev_b32_e32 v25, 4, v24
	v_lshlrev_b32_e32 v26, 11, v24
	;; [unrolled: 1-line block ×4, first 2 shown]
	s_delay_alu instid0(VALU_DEP_4) | instskip(NEXT) | instid1(VALU_DEP_4)
	v_and_b32_e32 v25, 16, v25
	v_and_b32_e32 v26, 0x1000, v26
	s_delay_alu instid0(VALU_DEP_4) | instskip(NEXT) | instid1(VALU_DEP_4)
	v_and_b32_e32 v27, 0x100000, v27
	v_and_b32_e32 v24, 0x10000000, v24
	s_delay_alu instid0(VALU_DEP_1) | instskip(NEXT) | instid1(VALU_DEP_1)
	v_or3_b32 v21, v24, v21, v27
	v_or3_b32 v21, v21, v25, v26
	s_delay_alu instid0(VALU_DEP_1) | instskip(NEXT) | instid1(VALU_DEP_1)
	v_dot4_i32_iu8 v21, v21, v53, 0 neg_lo:[1,1,0]
	v_cvt_f32_i32_e32 v21, v21
	s_delay_alu instid0(VALU_DEP_1) | instskip(NEXT) | instid1(VALU_DEP_1)
	v_fma_f32 v21, v10, v21, -v11
	v_fma_mix_f32 v24, v21, v22, v20 op_sel_hi:[0,1,0]
	v_add_co_u32 v20, vcc_lo, v15, v97
	v_add_co_ci_u32_e32 v21, vcc_lo, 0, v16, vcc_lo
	global_load_b32 v20, v[20:21], off offset:116
	v_ashrrev_i32_e32 v21, v99, v23
	s_delay_alu instid0(VALU_DEP_1) | instskip(SKIP_3) | instid1(VALU_DEP_4)
	v_lshlrev_b32_e32 v23, 4, v21
	v_lshlrev_b32_e32 v25, 11, v21
	;; [unrolled: 1-line block ×4, first 2 shown]
	v_and_b32_e32 v23, 16, v23
	s_delay_alu instid0(VALU_DEP_4) | instskip(NEXT) | instid1(VALU_DEP_4)
	v_and_b32_e32 v25, 0x1000, v25
	v_and_b32_e32 v26, 0x100000, v26
	s_delay_alu instid0(VALU_DEP_4) | instskip(NEXT) | instid1(VALU_DEP_1)
	v_and_b32_e32 v21, 0x10000000, v21
	v_or3_b32 v21, v26, v21, v23
	s_waitcnt vmcnt(0)
	v_lshrrev_b32_e32 v20, 4, v20
	s_delay_alu instid0(VALU_DEP_1) | instskip(NEXT) | instid1(VALU_DEP_1)
	v_and_b32_e32 v20, 0xf0f0f0f, v20
	v_or3_b32 v20, v21, v25, v20
	s_delay_alu instid0(VALU_DEP_1) | instskip(NEXT) | instid1(VALU_DEP_1)
	v_dot4_i32_iu8 v20, v20, v54, 0 neg_lo:[1,1,0]
	v_cvt_f32_i32_e32 v20, v20
	s_delay_alu instid0(VALU_DEP_1) | instskip(NEXT) | instid1(VALU_DEP_1)
	v_fma_f32 v20, v10, v20, -v11
	v_fma_mix_f32 v20, v20, v22, v24 op_sel_hi:[0,1,0]
	s_clause 0x2
	global_load_b32 v21, v[17:18], off offset:138
	global_load_b32 v22, v[15:16], off offset:132
	global_load_u16 v23, v[15:16], off offset:136
	s_waitcnt vmcnt(2)
	v_and_b32_e32 v26, 0xf0f0f0f, v21
	v_lshrrev_b32_e32 v21, 4, v21
	s_waitcnt vmcnt(0)
	v_perm_b32 v23, v22, v23, 0x1000706
	s_delay_alu instid0(VALU_DEP_2) | instskip(NEXT) | instid1(VALU_DEP_2)
	v_and_b32_e32 v21, 0xf0f0f0f, v21
	v_ashrrev_i32_e32 v24, v70, v23
	s_delay_alu instid0(VALU_DEP_1) | instskip(SKIP_3) | instid1(VALU_DEP_4)
	v_lshlrev_b32_e32 v25, 4, v24
	v_lshlrev_b32_e32 v27, 11, v24
	;; [unrolled: 1-line block ×4, first 2 shown]
	v_and_b32_e32 v25, 16, v25
	s_delay_alu instid0(VALU_DEP_4) | instskip(NEXT) | instid1(VALU_DEP_4)
	v_and_b32_e32 v27, 0x1000, v27
	v_and_b32_e32 v28, 0x100000, v28
	s_delay_alu instid0(VALU_DEP_4) | instskip(NEXT) | instid1(VALU_DEP_1)
	v_and_b32_e32 v24, 0x10000000, v24
	v_or3_b32 v24, v24, v26, v28
	s_delay_alu instid0(VALU_DEP_1) | instskip(SKIP_1) | instid1(VALU_DEP_2)
	v_or3_b32 v24, v24, v25, v27
	v_ashrrev_i32_e32 v25, v81, v23
	v_dot4_i32_iu8 v24, v24, v55, 0 neg_lo:[1,1,0]
	s_delay_alu instid0(VALU_DEP_2)
	v_lshlrev_b32_e32 v26, 4, v25
	v_lshlrev_b32_e32 v27, 11, v25
	;; [unrolled: 1-line block ×4, first 2 shown]
	v_cvt_f32_i32_e32 v24, v24
	v_and_b32_e32 v26, 16, v26
	v_and_b32_e32 v27, 0x1000, v27
	;; [unrolled: 1-line block ×4, first 2 shown]
	v_fma_f32 v24, v12, v24, -v13
	s_delay_alu instid0(VALU_DEP_1) | instskip(SKIP_3) | instid1(VALU_DEP_1)
	v_fma_mix_f32 v20, v24, v22, v20 op_sel_hi:[0,1,0]
	global_load_b32 v24, v[17:18], off offset:146
	s_waitcnt vmcnt(0)
	v_and_b32_e32 v24, 0xf0f0f0f, v24
	v_or3_b32 v24, v25, v24, v28
	s_delay_alu instid0(VALU_DEP_1) | instskip(NEXT) | instid1(VALU_DEP_1)
	v_or3_b32 v24, v24, v26, v27
	v_dot4_i32_iu8 v24, v24, v56, 0 neg_lo:[1,1,0]
	s_delay_alu instid0(VALU_DEP_1) | instskip(NEXT) | instid1(VALU_DEP_1)
	v_cvt_f32_i32_e32 v24, v24
	v_fma_f32 v24, v12, v24, -v13
	s_delay_alu instid0(VALU_DEP_1) | instskip(SKIP_1) | instid1(VALU_DEP_1)
	v_fma_mix_f32 v20, v24, v22, v20 op_sel_hi:[0,1,0]
	v_ashrrev_i32_e32 v24, v83, v23
	v_lshlrev_b32_e32 v25, 4, v24
	v_lshlrev_b32_e32 v26, 11, v24
	;; [unrolled: 1-line block ×4, first 2 shown]
	s_delay_alu instid0(VALU_DEP_4) | instskip(NEXT) | instid1(VALU_DEP_4)
	v_and_b32_e32 v25, 16, v25
	v_and_b32_e32 v26, 0x1000, v26
	s_delay_alu instid0(VALU_DEP_4) | instskip(NEXT) | instid1(VALU_DEP_4)
	v_and_b32_e32 v27, 0x100000, v27
	v_and_b32_e32 v24, 0x10000000, v24
	s_delay_alu instid0(VALU_DEP_1) | instskip(NEXT) | instid1(VALU_DEP_1)
	v_or3_b32 v21, v24, v21, v27
	v_or3_b32 v21, v21, v25, v26
	s_delay_alu instid0(VALU_DEP_1) | instskip(NEXT) | instid1(VALU_DEP_1)
	v_dot4_i32_iu8 v21, v21, v57, 0 neg_lo:[1,1,0]
	v_cvt_f32_i32_e32 v21, v21
	s_delay_alu instid0(VALU_DEP_1) | instskip(NEXT) | instid1(VALU_DEP_1)
	v_fma_f32 v21, v12, v21, -v13
	v_fma_mix_f32 v24, v21, v22, v20 op_sel_hi:[0,1,0]
	v_add_co_u32 v20, vcc_lo, v15, v101
	v_add_co_ci_u32_e32 v21, vcc_lo, 0, v16, vcc_lo
	global_load_b32 v20, v[20:21], off offset:138
	v_ashrrev_i32_e32 v21, v102, v23
	s_delay_alu instid0(VALU_DEP_1) | instskip(SKIP_3) | instid1(VALU_DEP_4)
	v_lshlrev_b32_e32 v23, 4, v21
	v_lshlrev_b32_e32 v25, 11, v21
	;; [unrolled: 1-line block ×4, first 2 shown]
	v_and_b32_e32 v23, 16, v23
	s_delay_alu instid0(VALU_DEP_4) | instskip(NEXT) | instid1(VALU_DEP_4)
	v_and_b32_e32 v25, 0x1000, v25
	v_and_b32_e32 v26, 0x100000, v26
	s_delay_alu instid0(VALU_DEP_4) | instskip(NEXT) | instid1(VALU_DEP_1)
	v_and_b32_e32 v21, 0x10000000, v21
	v_or3_b32 v21, v26, v21, v23
	s_waitcnt vmcnt(0)
	v_lshrrev_b32_e32 v20, 4, v20
	s_delay_alu instid0(VALU_DEP_1) | instskip(NEXT) | instid1(VALU_DEP_1)
	v_and_b32_e32 v20, 0xf0f0f0f, v20
	v_or3_b32 v20, v21, v25, v20
	s_delay_alu instid0(VALU_DEP_1) | instskip(NEXT) | instid1(VALU_DEP_1)
	v_dot4_i32_iu8 v20, v20, v58, 0 neg_lo:[1,1,0]
	v_cvt_f32_i32_e32 v20, v20
	s_delay_alu instid0(VALU_DEP_1) | instskip(NEXT) | instid1(VALU_DEP_1)
	v_fma_f32 v20, v12, v20, -v13
	v_fma_mix_f32 v22, v20, v22, v24 op_sel_hi:[0,1,0]
	s_clause 0x3
	global_load_b32 v23, v[17:18], off offset:160
	global_load_b32 v20, v[15:16], off offset:154
	global_load_u16 v21, v[15:16], off offset:158
	global_load_b32 v17, v[17:18], off offset:168
	v_add_co_u32 v15, vcc_lo, v15, v106
	v_add_co_ci_u32_e32 v16, vcc_lo, 0, v16, vcc_lo
	s_and_b32 vcc_lo, exec_lo, s19
	global_load_b32 v15, v[15:16], off offset:160
	s_waitcnt vmcnt(4)
	v_and_b32_e32 v26, 0xf0f0f0f, v23
	s_waitcnt vmcnt(2)
	v_perm_b32 v21, v20, v21, 0x1000706
	s_waitcnt vmcnt(1)
	v_and_b32_e32 v17, 0xf0f0f0f, v17
	s_delay_alu instid0(VALU_DEP_2)
	v_ashrrev_i32_e32 v24, v70, v21
	v_ashrrev_i32_e32 v18, v81, v21
	;; [unrolled: 1-line block ×3, first 2 shown]
	s_waitcnt vmcnt(0)
	v_lshrrev_b32_e32 v15, 4, v15
	v_lshlrev_b32_e32 v25, 4, v24
	v_lshlrev_b32_e32 v27, 11, v24
	;; [unrolled: 1-line block ×4, first 2 shown]
	v_and_b32_e32 v15, 0xf0f0f0f, v15
	v_and_b32_e32 v25, 16, v25
	;; [unrolled: 1-line block ×5, first 2 shown]
	s_delay_alu instid0(VALU_DEP_1) | instskip(SKIP_1) | instid1(VALU_DEP_2)
	v_or3_b32 v24, v24, v26, v28
	v_lshlrev_b32_e32 v26, 18, v18
	v_or3_b32 v24, v24, v25, v27
	v_lshlrev_b32_e32 v25, 11, v18
	s_delay_alu instid0(VALU_DEP_3) | instskip(NEXT) | instid1(VALU_DEP_3)
	v_and_b32_e32 v26, 0x100000, v26
	v_dot4_i32_iu8 v24, v24, v59, 0 neg_lo:[1,1,0]
	s_delay_alu instid0(VALU_DEP_3) | instskip(NEXT) | instid1(VALU_DEP_2)
	v_and_b32_e32 v25, 0x1000, v25
	v_cvt_f32_i32_e32 v24, v24
	s_delay_alu instid0(VALU_DEP_1) | instskip(NEXT) | instid1(VALU_DEP_1)
	v_fma_f32 v24, v14, v24, -v104
	v_fma_mix_f32 v22, v24, v20, v22 op_sel_hi:[0,1,0]
	v_lshlrev_b32_e32 v24, 4, v18
	v_lshlrev_b32_e32 v18, 25, v18
	s_delay_alu instid0(VALU_DEP_2) | instskip(NEXT) | instid1(VALU_DEP_2)
	v_and_b32_e32 v24, 16, v24
	v_and_b32_e32 v18, 0x10000000, v18
	s_delay_alu instid0(VALU_DEP_1) | instskip(SKIP_1) | instid1(VALU_DEP_2)
	v_or3_b32 v17, v18, v17, v26
	v_lshrrev_b32_e32 v18, 4, v23
	v_or3_b32 v17, v17, v24, v25
	s_delay_alu instid0(VALU_DEP_2) | instskip(NEXT) | instid1(VALU_DEP_2)
	v_and_b32_e32 v18, 0xf0f0f0f, v18
	v_dot4_i32_iu8 v17, v17, v60, 0 neg_lo:[1,1,0]
	s_delay_alu instid0(VALU_DEP_1) | instskip(NEXT) | instid1(VALU_DEP_1)
	v_cvt_f32_i32_e32 v17, v17
	v_fma_f32 v17, v14, v17, -v104
	s_delay_alu instid0(VALU_DEP_1) | instskip(SKIP_2) | instid1(VALU_DEP_2)
	v_fma_mix_f32 v17, v17, v20, v22 op_sel_hi:[0,1,0]
	v_ashrrev_i32_e32 v22, v83, v21
	v_lshlrev_b32_e32 v21, 11, v16
	v_lshlrev_b32_e32 v23, 4, v22
	;; [unrolled: 1-line block ×5, first 2 shown]
	v_and_b32_e32 v21, 0x1000, v21
	v_and_b32_e32 v23, 16, v23
	;; [unrolled: 1-line block ×5, first 2 shown]
	s_delay_alu instid0(VALU_DEP_1) | instskip(SKIP_1) | instid1(VALU_DEP_2)
	v_or3_b32 v18, v22, v18, v25
	v_lshlrev_b32_e32 v22, 18, v16
	v_or3_b32 v18, v18, v23, v24
	s_delay_alu instid0(VALU_DEP_2) | instskip(NEXT) | instid1(VALU_DEP_2)
	v_and_b32_e32 v22, 0x100000, v22
	v_dot4_i32_iu8 v18, v18, v61, 0 neg_lo:[1,1,0]
	s_delay_alu instid0(VALU_DEP_1) | instskip(NEXT) | instid1(VALU_DEP_1)
	v_cvt_f32_i32_e32 v18, v18
	v_fma_f32 v18, v14, v18, -v104
	s_delay_alu instid0(VALU_DEP_1) | instskip(SKIP_2) | instid1(VALU_DEP_2)
	v_fma_mix_f32 v17, v18, v20, v17 op_sel_hi:[0,1,0]
	v_lshlrev_b32_e32 v18, 4, v16
	v_lshlrev_b32_e32 v16, 25, v16
	v_and_b32_e32 v18, 16, v18
	s_delay_alu instid0(VALU_DEP_2) | instskip(NEXT) | instid1(VALU_DEP_1)
	v_and_b32_e32 v16, 0x10000000, v16
	v_or3_b32 v16, v22, v16, v18
	s_delay_alu instid0(VALU_DEP_1) | instskip(SKIP_1) | instid1(VALU_DEP_2)
	v_or3_b32 v15, v16, v21, v15
	v_lshlrev_b32_e32 v21, 1, v78
	v_dot4_i32_iu8 v15, v15, v62, 0 neg_lo:[1,1,0]
	s_delay_alu instid0(VALU_DEP_1) | instskip(NEXT) | instid1(VALU_DEP_1)
	v_cvt_f32_i32_e32 v15, v15
	v_fma_f32 v15, v14, v15, -v104
	s_delay_alu instid0(VALU_DEP_1)
	v_fma_mix_f32 v15, v15, v20, v17 op_sel_hi:[0,1,0]
	ds_bpermute_b32 v16, v110, v15
	s_waitcnt lgkmcnt(0)
	v_add_f32_e32 v20, v15, v16
	s_cbranch_vccz .LBB23_17
; %bb.16:                               ;   in Loop: Header=BB23_15 Depth=1
	global_load_u16 v15, v21, s[4:5]
	s_waitcnt vmcnt(0)
	v_fma_mix_f32 v20, v66, v15, v20 op_sel_hi:[0,1,0]
.LBB23_17:                              ;   in Loop: Header=BB23_15 Depth=1
	v_add_co_u32 v15, vcc_lo, s17, v113
	v_add_co_ci_u32_e32 v16, vcc_lo, s18, v116, vcc_lo
	s_delay_alu instid0(VALU_DEP_2) | instskip(NEXT) | instid1(VALU_DEP_2)
	v_add_co_u32 v17, vcc_lo, v15, v70
	v_add_co_ci_u32_e32 v18, vcc_lo, 0, v16, vcc_lo
	s_clause 0x2
	global_load_b32 v22, v[17:18], off offset:6
	global_load_b32 v24, v[15:16], off
	global_load_u16 v23, v[15:16], off offset:4
	s_waitcnt vmcnt(2)
	v_and_b32_e32 v27, 0xf0f0f0f, v22
	v_lshrrev_b32_e32 v22, 4, v22
	s_waitcnt vmcnt(0)
	v_perm_b32 v25, v24, v23, 0x1000706
	s_delay_alu instid0(VALU_DEP_2) | instskip(NEXT) | instid1(VALU_DEP_2)
	v_and_b32_e32 v22, 0xf0f0f0f, v22
	v_ashrrev_i32_e32 v23, v70, v25
	s_delay_alu instid0(VALU_DEP_1) | instskip(SKIP_3) | instid1(VALU_DEP_4)
	v_lshlrev_b32_e32 v26, 4, v23
	v_lshlrev_b32_e32 v28, 11, v23
	;; [unrolled: 1-line block ×4, first 2 shown]
	v_and_b32_e32 v26, 16, v26
	s_delay_alu instid0(VALU_DEP_4) | instskip(NEXT) | instid1(VALU_DEP_4)
	v_and_b32_e32 v28, 0x1000, v28
	v_and_b32_e32 v29, 0x100000, v29
	s_delay_alu instid0(VALU_DEP_4) | instskip(NEXT) | instid1(VALU_DEP_1)
	v_and_b32_e32 v23, 0x10000000, v23
	v_or3_b32 v23, v23, v27, v29
	v_ashrrev_i32_e32 v27, v81, v25
	s_delay_alu instid0(VALU_DEP_2)
	v_or3_b32 v23, v23, v26, v28
	global_load_b32 v26, v[17:18], off offset:14
	v_lshlrev_b32_e32 v28, 4, v27
	v_lshlrev_b32_e32 v29, 11, v27
	;; [unrolled: 1-line block ×4, first 2 shown]
	v_dot4_i32_iu8 v23, v23, v31, 0 neg_lo:[1,1,0]
	v_and_b32_e32 v28, 16, v28
	v_and_b32_e32 v29, 0x1000, v29
	;; [unrolled: 1-line block ×4, first 2 shown]
	v_cvt_f32_i32_e32 v23, v23
	s_delay_alu instid0(VALU_DEP_1) | instskip(NEXT) | instid1(VALU_DEP_1)
	v_fma_f32 v23, v0, v23, -v1
	v_fma_mix_f32 v23, v23, v24, 0 op_sel_hi:[0,1,0]
	s_waitcnt vmcnt(0)
	v_and_b32_e32 v26, 0xf0f0f0f, v26
	s_delay_alu instid0(VALU_DEP_1) | instskip(NEXT) | instid1(VALU_DEP_1)
	v_or3_b32 v26, v27, v26, v30
	v_or3_b32 v26, v26, v28, v29
	s_delay_alu instid0(VALU_DEP_1) | instskip(NEXT) | instid1(VALU_DEP_1)
	v_dot4_i32_iu8 v26, v26, v32, 0 neg_lo:[1,1,0]
	v_cvt_f32_i32_e32 v26, v26
	s_delay_alu instid0(VALU_DEP_1) | instskip(NEXT) | instid1(VALU_DEP_1)
	v_fma_f32 v26, v0, v26, -v1
	v_fma_mix_f32 v23, v26, v24, v23 op_sel_hi:[0,1,0]
	v_ashrrev_i32_e32 v26, v83, v25
	s_delay_alu instid0(VALU_DEP_1) | instskip(SKIP_3) | instid1(VALU_DEP_4)
	v_lshlrev_b32_e32 v27, 4, v26
	v_lshlrev_b32_e32 v28, 11, v26
	;; [unrolled: 1-line block ×4, first 2 shown]
	v_and_b32_e32 v27, 16, v27
	s_delay_alu instid0(VALU_DEP_4) | instskip(NEXT) | instid1(VALU_DEP_4)
	v_and_b32_e32 v28, 0x1000, v28
	v_and_b32_e32 v29, 0x100000, v29
	s_delay_alu instid0(VALU_DEP_4) | instskip(NEXT) | instid1(VALU_DEP_1)
	v_and_b32_e32 v26, 0x10000000, v26
	v_or3_b32 v22, v26, v22, v29
	s_delay_alu instid0(VALU_DEP_1) | instskip(NEXT) | instid1(VALU_DEP_1)
	v_or3_b32 v22, v22, v27, v28
	v_dot4_i32_iu8 v22, v22, v33, 0 neg_lo:[1,1,0]
	s_delay_alu instid0(VALU_DEP_1) | instskip(NEXT) | instid1(VALU_DEP_1)
	v_cvt_f32_i32_e32 v22, v22
	v_fma_f32 v22, v0, v22, -v1
	s_delay_alu instid0(VALU_DEP_1) | instskip(SKIP_4) | instid1(VALU_DEP_1)
	v_fma_mix_f32 v26, v22, v24, v23 op_sel_hi:[0,1,0]
	v_add_co_u32 v22, vcc_lo, v15, v84
	v_add_co_ci_u32_e32 v23, vcc_lo, 0, v16, vcc_lo
	global_load_b32 v22, v[22:23], off offset:6
	v_ashrrev_i32_e32 v23, v80, v25
	v_lshlrev_b32_e32 v25, 4, v23
	v_lshlrev_b32_e32 v27, 11, v23
	;; [unrolled: 1-line block ×4, first 2 shown]
	s_delay_alu instid0(VALU_DEP_4) | instskip(NEXT) | instid1(VALU_DEP_4)
	v_and_b32_e32 v25, 16, v25
	v_and_b32_e32 v27, 0x1000, v27
	s_delay_alu instid0(VALU_DEP_4) | instskip(NEXT) | instid1(VALU_DEP_4)
	v_and_b32_e32 v28, 0x100000, v28
	v_and_b32_e32 v23, 0x10000000, v23
	s_delay_alu instid0(VALU_DEP_1) | instskip(SKIP_2) | instid1(VALU_DEP_1)
	v_or3_b32 v23, v28, v23, v25
	s_waitcnt vmcnt(0)
	v_lshrrev_b32_e32 v22, 4, v22
	v_and_b32_e32 v22, 0xf0f0f0f, v22
	s_delay_alu instid0(VALU_DEP_1) | instskip(NEXT) | instid1(VALU_DEP_1)
	v_or3_b32 v22, v23, v27, v22
	v_dot4_i32_iu8 v22, v22, v34, 0 neg_lo:[1,1,0]
	s_delay_alu instid0(VALU_DEP_1) | instskip(NEXT) | instid1(VALU_DEP_1)
	v_cvt_f32_i32_e32 v22, v22
	v_fma_f32 v22, v0, v22, -v1
	s_delay_alu instid0(VALU_DEP_1)
	v_fma_mix_f32 v22, v22, v24, v26 op_sel_hi:[0,1,0]
	s_clause 0x2
	global_load_b32 v23, v[17:18], off offset:28
	global_load_b32 v24, v[15:16], off offset:22
	global_load_u16 v25, v[15:16], off offset:26
	s_waitcnt vmcnt(2)
	v_and_b32_e32 v28, 0xf0f0f0f, v23
	v_lshrrev_b32_e32 v23, 4, v23
	s_waitcnt vmcnt(0)
	v_perm_b32 v25, v24, v25, 0x1000706
	s_delay_alu instid0(VALU_DEP_2) | instskip(NEXT) | instid1(VALU_DEP_2)
	v_and_b32_e32 v23, 0xf0f0f0f, v23
	v_ashrrev_i32_e32 v26, v70, v25
	s_delay_alu instid0(VALU_DEP_1) | instskip(SKIP_3) | instid1(VALU_DEP_4)
	v_lshlrev_b32_e32 v27, 4, v26
	v_lshlrev_b32_e32 v29, 11, v26
	;; [unrolled: 1-line block ×4, first 2 shown]
	v_and_b32_e32 v27, 16, v27
	s_delay_alu instid0(VALU_DEP_4) | instskip(NEXT) | instid1(VALU_DEP_4)
	v_and_b32_e32 v29, 0x1000, v29
	v_and_b32_e32 v30, 0x100000, v30
	s_delay_alu instid0(VALU_DEP_4) | instskip(NEXT) | instid1(VALU_DEP_1)
	v_and_b32_e32 v26, 0x10000000, v26
	v_or3_b32 v26, v26, v28, v30
	s_delay_alu instid0(VALU_DEP_1) | instskip(SKIP_1) | instid1(VALU_DEP_2)
	v_or3_b32 v26, v26, v27, v29
	v_ashrrev_i32_e32 v27, v81, v25
	v_dot4_i32_iu8 v26, v26, v35, 0 neg_lo:[1,1,0]
	s_delay_alu instid0(VALU_DEP_2)
	v_lshlrev_b32_e32 v28, 4, v27
	v_lshlrev_b32_e32 v29, 11, v27
	;; [unrolled: 1-line block ×4, first 2 shown]
	v_cvt_f32_i32_e32 v26, v26
	v_and_b32_e32 v28, 16, v28
	v_and_b32_e32 v29, 0x1000, v29
	;; [unrolled: 1-line block ×4, first 2 shown]
	v_fma_f32 v26, v2, v26, -v3
	s_delay_alu instid0(VALU_DEP_1) | instskip(SKIP_3) | instid1(VALU_DEP_1)
	v_fma_mix_f32 v22, v26, v24, v22 op_sel_hi:[0,1,0]
	global_load_b32 v26, v[17:18], off offset:36
	s_waitcnt vmcnt(0)
	v_and_b32_e32 v26, 0xf0f0f0f, v26
	v_or3_b32 v26, v27, v26, v30
	s_delay_alu instid0(VALU_DEP_1) | instskip(NEXT) | instid1(VALU_DEP_1)
	v_or3_b32 v26, v26, v28, v29
	v_dot4_i32_iu8 v26, v26, v36, 0 neg_lo:[1,1,0]
	s_delay_alu instid0(VALU_DEP_1) | instskip(NEXT) | instid1(VALU_DEP_1)
	v_cvt_f32_i32_e32 v26, v26
	v_fma_f32 v26, v2, v26, -v3
	s_delay_alu instid0(VALU_DEP_1) | instskip(SKIP_1) | instid1(VALU_DEP_1)
	v_fma_mix_f32 v22, v26, v24, v22 op_sel_hi:[0,1,0]
	v_ashrrev_i32_e32 v26, v83, v25
	v_lshlrev_b32_e32 v27, 4, v26
	v_lshlrev_b32_e32 v28, 11, v26
	;; [unrolled: 1-line block ×4, first 2 shown]
	s_delay_alu instid0(VALU_DEP_4) | instskip(NEXT) | instid1(VALU_DEP_4)
	v_and_b32_e32 v27, 16, v27
	v_and_b32_e32 v28, 0x1000, v28
	s_delay_alu instid0(VALU_DEP_4) | instskip(NEXT) | instid1(VALU_DEP_4)
	v_and_b32_e32 v29, 0x100000, v29
	v_and_b32_e32 v26, 0x10000000, v26
	s_delay_alu instid0(VALU_DEP_1) | instskip(NEXT) | instid1(VALU_DEP_1)
	v_or3_b32 v23, v26, v23, v29
	v_or3_b32 v23, v23, v27, v28
	s_delay_alu instid0(VALU_DEP_1) | instskip(NEXT) | instid1(VALU_DEP_1)
	v_dot4_i32_iu8 v23, v23, v37, 0 neg_lo:[1,1,0]
	v_cvt_f32_i32_e32 v23, v23
	s_delay_alu instid0(VALU_DEP_1) | instskip(NEXT) | instid1(VALU_DEP_1)
	v_fma_f32 v23, v2, v23, -v3
	v_fma_mix_f32 v26, v23, v24, v22 op_sel_hi:[0,1,0]
	v_add_co_u32 v22, vcc_lo, v15, v85
	v_add_co_ci_u32_e32 v23, vcc_lo, 0, v16, vcc_lo
	global_load_b32 v22, v[22:23], off offset:28
	v_ashrrev_i32_e32 v23, v87, v25
	s_delay_alu instid0(VALU_DEP_1) | instskip(SKIP_3) | instid1(VALU_DEP_4)
	v_lshlrev_b32_e32 v25, 4, v23
	v_lshlrev_b32_e32 v27, 11, v23
	;; [unrolled: 1-line block ×4, first 2 shown]
	v_and_b32_e32 v25, 16, v25
	s_delay_alu instid0(VALU_DEP_4) | instskip(NEXT) | instid1(VALU_DEP_4)
	v_and_b32_e32 v27, 0x1000, v27
	v_and_b32_e32 v28, 0x100000, v28
	s_delay_alu instid0(VALU_DEP_4) | instskip(NEXT) | instid1(VALU_DEP_1)
	v_and_b32_e32 v23, 0x10000000, v23
	v_or3_b32 v23, v28, v23, v25
	s_waitcnt vmcnt(0)
	v_lshrrev_b32_e32 v22, 4, v22
	s_delay_alu instid0(VALU_DEP_1) | instskip(NEXT) | instid1(VALU_DEP_1)
	v_and_b32_e32 v22, 0xf0f0f0f, v22
	v_or3_b32 v22, v23, v27, v22
	s_delay_alu instid0(VALU_DEP_1) | instskip(NEXT) | instid1(VALU_DEP_1)
	v_dot4_i32_iu8 v22, v22, v38, 0 neg_lo:[1,1,0]
	v_cvt_f32_i32_e32 v22, v22
	s_delay_alu instid0(VALU_DEP_1) | instskip(NEXT) | instid1(VALU_DEP_1)
	v_fma_f32 v22, v2, v22, -v3
	v_fma_mix_f32 v22, v22, v24, v26 op_sel_hi:[0,1,0]
	s_clause 0x2
	global_load_b32 v23, v[17:18], off offset:50
	global_load_b32 v24, v[15:16], off offset:44
	global_load_u16 v25, v[15:16], off offset:48
	s_waitcnt vmcnt(2)
	v_and_b32_e32 v28, 0xf0f0f0f, v23
	v_lshrrev_b32_e32 v23, 4, v23
	s_waitcnt vmcnt(0)
	v_perm_b32 v25, v24, v25, 0x1000706
	s_delay_alu instid0(VALU_DEP_2) | instskip(NEXT) | instid1(VALU_DEP_2)
	v_and_b32_e32 v23, 0xf0f0f0f, v23
	v_ashrrev_i32_e32 v26, v70, v25
	s_delay_alu instid0(VALU_DEP_1) | instskip(SKIP_3) | instid1(VALU_DEP_4)
	v_lshlrev_b32_e32 v27, 4, v26
	v_lshlrev_b32_e32 v29, 11, v26
	;; [unrolled: 1-line block ×4, first 2 shown]
	v_and_b32_e32 v27, 16, v27
	s_delay_alu instid0(VALU_DEP_4) | instskip(NEXT) | instid1(VALU_DEP_4)
	v_and_b32_e32 v29, 0x1000, v29
	v_and_b32_e32 v30, 0x100000, v30
	s_delay_alu instid0(VALU_DEP_4) | instskip(NEXT) | instid1(VALU_DEP_1)
	v_and_b32_e32 v26, 0x10000000, v26
	v_or3_b32 v26, v26, v28, v30
	s_delay_alu instid0(VALU_DEP_1) | instskip(SKIP_1) | instid1(VALU_DEP_2)
	v_or3_b32 v26, v26, v27, v29
	v_ashrrev_i32_e32 v27, v81, v25
	v_dot4_i32_iu8 v26, v26, v39, 0 neg_lo:[1,1,0]
	s_delay_alu instid0(VALU_DEP_2)
	v_lshlrev_b32_e32 v28, 4, v27
	v_lshlrev_b32_e32 v29, 11, v27
	;; [unrolled: 1-line block ×4, first 2 shown]
	v_cvt_f32_i32_e32 v26, v26
	v_and_b32_e32 v28, 16, v28
	v_and_b32_e32 v29, 0x1000, v29
	;; [unrolled: 1-line block ×4, first 2 shown]
	v_fma_f32 v26, v4, v26, -v5
	s_delay_alu instid0(VALU_DEP_1) | instskip(SKIP_3) | instid1(VALU_DEP_1)
	v_fma_mix_f32 v22, v26, v24, v22 op_sel_hi:[0,1,0]
	global_load_b32 v26, v[17:18], off offset:58
	s_waitcnt vmcnt(0)
	v_and_b32_e32 v26, 0xf0f0f0f, v26
	v_or3_b32 v26, v27, v26, v30
	s_delay_alu instid0(VALU_DEP_1) | instskip(NEXT) | instid1(VALU_DEP_1)
	v_or3_b32 v26, v26, v28, v29
	v_dot4_i32_iu8 v26, v26, v40, 0 neg_lo:[1,1,0]
	s_delay_alu instid0(VALU_DEP_1) | instskip(NEXT) | instid1(VALU_DEP_1)
	v_cvt_f32_i32_e32 v26, v26
	v_fma_f32 v26, v4, v26, -v5
	s_delay_alu instid0(VALU_DEP_1) | instskip(SKIP_1) | instid1(VALU_DEP_1)
	v_fma_mix_f32 v22, v26, v24, v22 op_sel_hi:[0,1,0]
	v_ashrrev_i32_e32 v26, v83, v25
	v_lshlrev_b32_e32 v27, 4, v26
	v_lshlrev_b32_e32 v28, 11, v26
	;; [unrolled: 1-line block ×4, first 2 shown]
	s_delay_alu instid0(VALU_DEP_4) | instskip(NEXT) | instid1(VALU_DEP_4)
	v_and_b32_e32 v27, 16, v27
	v_and_b32_e32 v28, 0x1000, v28
	s_delay_alu instid0(VALU_DEP_4) | instskip(NEXT) | instid1(VALU_DEP_4)
	v_and_b32_e32 v29, 0x100000, v29
	v_and_b32_e32 v26, 0x10000000, v26
	s_delay_alu instid0(VALU_DEP_1) | instskip(NEXT) | instid1(VALU_DEP_1)
	v_or3_b32 v23, v26, v23, v29
	v_or3_b32 v23, v23, v27, v28
	s_delay_alu instid0(VALU_DEP_1) | instskip(NEXT) | instid1(VALU_DEP_1)
	v_dot4_i32_iu8 v23, v23, v41, 0 neg_lo:[1,1,0]
	v_cvt_f32_i32_e32 v23, v23
	s_delay_alu instid0(VALU_DEP_1) | instskip(NEXT) | instid1(VALU_DEP_1)
	v_fma_f32 v23, v4, v23, -v5
	v_fma_mix_f32 v26, v23, v24, v22 op_sel_hi:[0,1,0]
	v_add_co_u32 v22, vcc_lo, v15, v89
	v_add_co_ci_u32_e32 v23, vcc_lo, 0, v16, vcc_lo
	global_load_b32 v22, v[22:23], off offset:50
	v_ashrrev_i32_e32 v23, v90, v25
	s_delay_alu instid0(VALU_DEP_1) | instskip(SKIP_3) | instid1(VALU_DEP_4)
	v_lshlrev_b32_e32 v25, 4, v23
	v_lshlrev_b32_e32 v27, 11, v23
	;; [unrolled: 1-line block ×4, first 2 shown]
	v_and_b32_e32 v25, 16, v25
	s_delay_alu instid0(VALU_DEP_4) | instskip(NEXT) | instid1(VALU_DEP_4)
	v_and_b32_e32 v27, 0x1000, v27
	v_and_b32_e32 v28, 0x100000, v28
	s_delay_alu instid0(VALU_DEP_4) | instskip(NEXT) | instid1(VALU_DEP_1)
	v_and_b32_e32 v23, 0x10000000, v23
	v_or3_b32 v23, v28, v23, v25
	s_waitcnt vmcnt(0)
	v_lshrrev_b32_e32 v22, 4, v22
	s_delay_alu instid0(VALU_DEP_1) | instskip(NEXT) | instid1(VALU_DEP_1)
	v_and_b32_e32 v22, 0xf0f0f0f, v22
	v_or3_b32 v22, v23, v27, v22
	s_delay_alu instid0(VALU_DEP_1) | instskip(NEXT) | instid1(VALU_DEP_1)
	v_dot4_i32_iu8 v22, v22, v42, 0 neg_lo:[1,1,0]
	v_cvt_f32_i32_e32 v22, v22
	s_delay_alu instid0(VALU_DEP_1) | instskip(NEXT) | instid1(VALU_DEP_1)
	v_fma_f32 v22, v4, v22, -v5
	v_fma_mix_f32 v22, v22, v24, v26 op_sel_hi:[0,1,0]
	s_clause 0x2
	global_load_b32 v23, v[17:18], off offset:72
	global_load_b32 v24, v[15:16], off offset:66
	global_load_u16 v25, v[15:16], off offset:70
	s_waitcnt vmcnt(2)
	v_and_b32_e32 v28, 0xf0f0f0f, v23
	v_lshrrev_b32_e32 v23, 4, v23
	s_waitcnt vmcnt(0)
	v_perm_b32 v25, v24, v25, 0x1000706
	s_delay_alu instid0(VALU_DEP_2) | instskip(NEXT) | instid1(VALU_DEP_2)
	v_and_b32_e32 v23, 0xf0f0f0f, v23
	v_ashrrev_i32_e32 v26, v70, v25
	s_delay_alu instid0(VALU_DEP_1) | instskip(SKIP_3) | instid1(VALU_DEP_4)
	v_lshlrev_b32_e32 v27, 4, v26
	v_lshlrev_b32_e32 v29, 11, v26
	;; [unrolled: 1-line block ×4, first 2 shown]
	v_and_b32_e32 v27, 16, v27
	s_delay_alu instid0(VALU_DEP_4) | instskip(NEXT) | instid1(VALU_DEP_4)
	v_and_b32_e32 v29, 0x1000, v29
	v_and_b32_e32 v30, 0x100000, v30
	s_delay_alu instid0(VALU_DEP_4) | instskip(NEXT) | instid1(VALU_DEP_1)
	v_and_b32_e32 v26, 0x10000000, v26
	v_or3_b32 v26, v26, v28, v30
	s_delay_alu instid0(VALU_DEP_1) | instskip(SKIP_1) | instid1(VALU_DEP_2)
	v_or3_b32 v26, v26, v27, v29
	v_ashrrev_i32_e32 v27, v81, v25
	v_dot4_i32_iu8 v26, v26, v43, 0 neg_lo:[1,1,0]
	s_delay_alu instid0(VALU_DEP_2)
	v_lshlrev_b32_e32 v28, 4, v27
	v_lshlrev_b32_e32 v29, 11, v27
	;; [unrolled: 1-line block ×4, first 2 shown]
	v_cvt_f32_i32_e32 v26, v26
	v_and_b32_e32 v28, 16, v28
	v_and_b32_e32 v29, 0x1000, v29
	;; [unrolled: 1-line block ×4, first 2 shown]
	v_fma_f32 v26, v6, v26, -v7
	s_delay_alu instid0(VALU_DEP_1) | instskip(SKIP_3) | instid1(VALU_DEP_1)
	v_fma_mix_f32 v22, v26, v24, v22 op_sel_hi:[0,1,0]
	global_load_b32 v26, v[17:18], off offset:80
	s_waitcnt vmcnt(0)
	v_and_b32_e32 v26, 0xf0f0f0f, v26
	v_or3_b32 v26, v27, v26, v30
	s_delay_alu instid0(VALU_DEP_1) | instskip(NEXT) | instid1(VALU_DEP_1)
	v_or3_b32 v26, v26, v28, v29
	v_dot4_i32_iu8 v26, v26, v44, 0 neg_lo:[1,1,0]
	s_delay_alu instid0(VALU_DEP_1) | instskip(NEXT) | instid1(VALU_DEP_1)
	v_cvt_f32_i32_e32 v26, v26
	v_fma_f32 v26, v6, v26, -v7
	s_delay_alu instid0(VALU_DEP_1) | instskip(SKIP_1) | instid1(VALU_DEP_1)
	v_fma_mix_f32 v22, v26, v24, v22 op_sel_hi:[0,1,0]
	v_ashrrev_i32_e32 v26, v83, v25
	v_lshlrev_b32_e32 v27, 4, v26
	v_lshlrev_b32_e32 v28, 11, v26
	v_lshlrev_b32_e32 v29, 18, v26
	v_lshlrev_b32_e32 v26, 25, v26
	s_delay_alu instid0(VALU_DEP_4) | instskip(NEXT) | instid1(VALU_DEP_4)
	v_and_b32_e32 v27, 16, v27
	v_and_b32_e32 v28, 0x1000, v28
	s_delay_alu instid0(VALU_DEP_4) | instskip(NEXT) | instid1(VALU_DEP_4)
	v_and_b32_e32 v29, 0x100000, v29
	v_and_b32_e32 v26, 0x10000000, v26
	s_delay_alu instid0(VALU_DEP_1) | instskip(NEXT) | instid1(VALU_DEP_1)
	v_or3_b32 v23, v26, v23, v29
	v_or3_b32 v23, v23, v27, v28
	s_delay_alu instid0(VALU_DEP_1) | instskip(NEXT) | instid1(VALU_DEP_1)
	v_dot4_i32_iu8 v23, v23, v45, 0 neg_lo:[1,1,0]
	v_cvt_f32_i32_e32 v23, v23
	s_delay_alu instid0(VALU_DEP_1) | instskip(NEXT) | instid1(VALU_DEP_1)
	v_fma_f32 v23, v6, v23, -v7
	v_fma_mix_f32 v26, v23, v24, v22 op_sel_hi:[0,1,0]
	v_add_co_u32 v22, vcc_lo, v15, v91
	v_add_co_ci_u32_e32 v23, vcc_lo, 0, v16, vcc_lo
	global_load_b32 v22, v[22:23], off offset:72
	v_ashrrev_i32_e32 v23, v93, v25
	s_delay_alu instid0(VALU_DEP_1) | instskip(SKIP_3) | instid1(VALU_DEP_4)
	v_lshlrev_b32_e32 v25, 4, v23
	v_lshlrev_b32_e32 v27, 11, v23
	;; [unrolled: 1-line block ×4, first 2 shown]
	v_and_b32_e32 v25, 16, v25
	s_delay_alu instid0(VALU_DEP_4) | instskip(NEXT) | instid1(VALU_DEP_4)
	v_and_b32_e32 v27, 0x1000, v27
	v_and_b32_e32 v28, 0x100000, v28
	s_delay_alu instid0(VALU_DEP_4) | instskip(NEXT) | instid1(VALU_DEP_1)
	v_and_b32_e32 v23, 0x10000000, v23
	v_or3_b32 v23, v28, v23, v25
	s_waitcnt vmcnt(0)
	v_lshrrev_b32_e32 v22, 4, v22
	s_delay_alu instid0(VALU_DEP_1) | instskip(NEXT) | instid1(VALU_DEP_1)
	v_and_b32_e32 v22, 0xf0f0f0f, v22
	v_or3_b32 v22, v23, v27, v22
	s_delay_alu instid0(VALU_DEP_1) | instskip(NEXT) | instid1(VALU_DEP_1)
	v_dot4_i32_iu8 v22, v22, v46, 0 neg_lo:[1,1,0]
	v_cvt_f32_i32_e32 v22, v22
	s_delay_alu instid0(VALU_DEP_1) | instskip(NEXT) | instid1(VALU_DEP_1)
	v_fma_f32 v22, v6, v22, -v7
	v_fma_mix_f32 v22, v22, v24, v26 op_sel_hi:[0,1,0]
	s_clause 0x2
	global_load_b32 v23, v[17:18], off offset:94
	global_load_b32 v24, v[15:16], off offset:88
	global_load_u16 v25, v[15:16], off offset:92
	s_waitcnt vmcnt(2)
	v_and_b32_e32 v28, 0xf0f0f0f, v23
	v_lshrrev_b32_e32 v23, 4, v23
	s_waitcnt vmcnt(0)
	v_perm_b32 v25, v24, v25, 0x1000706
	s_delay_alu instid0(VALU_DEP_2) | instskip(NEXT) | instid1(VALU_DEP_2)
	v_and_b32_e32 v23, 0xf0f0f0f, v23
	v_ashrrev_i32_e32 v26, v70, v25
	s_delay_alu instid0(VALU_DEP_1) | instskip(SKIP_3) | instid1(VALU_DEP_4)
	v_lshlrev_b32_e32 v27, 4, v26
	v_lshlrev_b32_e32 v29, 11, v26
	;; [unrolled: 1-line block ×4, first 2 shown]
	v_and_b32_e32 v27, 16, v27
	s_delay_alu instid0(VALU_DEP_4) | instskip(NEXT) | instid1(VALU_DEP_4)
	v_and_b32_e32 v29, 0x1000, v29
	v_and_b32_e32 v30, 0x100000, v30
	s_delay_alu instid0(VALU_DEP_4) | instskip(NEXT) | instid1(VALU_DEP_1)
	v_and_b32_e32 v26, 0x10000000, v26
	v_or3_b32 v26, v26, v28, v30
	s_delay_alu instid0(VALU_DEP_1) | instskip(SKIP_1) | instid1(VALU_DEP_2)
	v_or3_b32 v26, v26, v27, v29
	v_ashrrev_i32_e32 v27, v81, v25
	v_dot4_i32_iu8 v26, v26, v47, 0 neg_lo:[1,1,0]
	s_delay_alu instid0(VALU_DEP_2)
	v_lshlrev_b32_e32 v28, 4, v27
	v_lshlrev_b32_e32 v29, 11, v27
	;; [unrolled: 1-line block ×4, first 2 shown]
	v_cvt_f32_i32_e32 v26, v26
	v_and_b32_e32 v28, 16, v28
	v_and_b32_e32 v29, 0x1000, v29
	;; [unrolled: 1-line block ×4, first 2 shown]
	v_fma_f32 v26, v8, v26, -v9
	s_delay_alu instid0(VALU_DEP_1) | instskip(SKIP_3) | instid1(VALU_DEP_1)
	v_fma_mix_f32 v22, v26, v24, v22 op_sel_hi:[0,1,0]
	global_load_b32 v26, v[17:18], off offset:102
	s_waitcnt vmcnt(0)
	v_and_b32_e32 v26, 0xf0f0f0f, v26
	v_or3_b32 v26, v27, v26, v30
	s_delay_alu instid0(VALU_DEP_1) | instskip(NEXT) | instid1(VALU_DEP_1)
	v_or3_b32 v26, v26, v28, v29
	v_dot4_i32_iu8 v26, v26, v48, 0 neg_lo:[1,1,0]
	s_delay_alu instid0(VALU_DEP_1) | instskip(NEXT) | instid1(VALU_DEP_1)
	v_cvt_f32_i32_e32 v26, v26
	v_fma_f32 v26, v8, v26, -v9
	s_delay_alu instid0(VALU_DEP_1) | instskip(SKIP_1) | instid1(VALU_DEP_1)
	v_fma_mix_f32 v22, v26, v24, v22 op_sel_hi:[0,1,0]
	v_ashrrev_i32_e32 v26, v83, v25
	v_lshlrev_b32_e32 v27, 4, v26
	v_lshlrev_b32_e32 v28, 11, v26
	;; [unrolled: 1-line block ×4, first 2 shown]
	s_delay_alu instid0(VALU_DEP_4) | instskip(NEXT) | instid1(VALU_DEP_4)
	v_and_b32_e32 v27, 16, v27
	v_and_b32_e32 v28, 0x1000, v28
	s_delay_alu instid0(VALU_DEP_4) | instskip(NEXT) | instid1(VALU_DEP_4)
	v_and_b32_e32 v29, 0x100000, v29
	v_and_b32_e32 v26, 0x10000000, v26
	s_delay_alu instid0(VALU_DEP_1) | instskip(NEXT) | instid1(VALU_DEP_1)
	v_or3_b32 v23, v26, v23, v29
	v_or3_b32 v23, v23, v27, v28
	s_delay_alu instid0(VALU_DEP_1) | instskip(NEXT) | instid1(VALU_DEP_1)
	v_dot4_i32_iu8 v23, v23, v49, 0 neg_lo:[1,1,0]
	v_cvt_f32_i32_e32 v23, v23
	s_delay_alu instid0(VALU_DEP_1) | instskip(NEXT) | instid1(VALU_DEP_1)
	v_fma_f32 v23, v8, v23, -v9
	v_fma_mix_f32 v26, v23, v24, v22 op_sel_hi:[0,1,0]
	v_add_co_u32 v22, vcc_lo, v15, v95
	v_add_co_ci_u32_e32 v23, vcc_lo, 0, v16, vcc_lo
	global_load_b32 v22, v[22:23], off offset:94
	v_ashrrev_i32_e32 v23, v96, v25
	s_delay_alu instid0(VALU_DEP_1) | instskip(SKIP_3) | instid1(VALU_DEP_4)
	v_lshlrev_b32_e32 v25, 4, v23
	v_lshlrev_b32_e32 v27, 11, v23
	;; [unrolled: 1-line block ×4, first 2 shown]
	v_and_b32_e32 v25, 16, v25
	s_delay_alu instid0(VALU_DEP_4) | instskip(NEXT) | instid1(VALU_DEP_4)
	v_and_b32_e32 v27, 0x1000, v27
	v_and_b32_e32 v28, 0x100000, v28
	s_delay_alu instid0(VALU_DEP_4) | instskip(NEXT) | instid1(VALU_DEP_1)
	v_and_b32_e32 v23, 0x10000000, v23
	v_or3_b32 v23, v28, v23, v25
	s_waitcnt vmcnt(0)
	v_lshrrev_b32_e32 v22, 4, v22
	s_delay_alu instid0(VALU_DEP_1) | instskip(NEXT) | instid1(VALU_DEP_1)
	v_and_b32_e32 v22, 0xf0f0f0f, v22
	v_or3_b32 v22, v23, v27, v22
	s_delay_alu instid0(VALU_DEP_1) | instskip(NEXT) | instid1(VALU_DEP_1)
	v_dot4_i32_iu8 v22, v22, v50, 0 neg_lo:[1,1,0]
	v_cvt_f32_i32_e32 v22, v22
	s_delay_alu instid0(VALU_DEP_1) | instskip(NEXT) | instid1(VALU_DEP_1)
	v_fma_f32 v22, v8, v22, -v9
	v_fma_mix_f32 v22, v22, v24, v26 op_sel_hi:[0,1,0]
	s_clause 0x2
	global_load_b32 v23, v[17:18], off offset:116
	global_load_b32 v24, v[15:16], off offset:110
	global_load_u16 v25, v[15:16], off offset:114
	s_waitcnt vmcnt(2)
	v_and_b32_e32 v28, 0xf0f0f0f, v23
	v_lshrrev_b32_e32 v23, 4, v23
	s_waitcnt vmcnt(0)
	v_perm_b32 v25, v24, v25, 0x1000706
	s_delay_alu instid0(VALU_DEP_2) | instskip(NEXT) | instid1(VALU_DEP_2)
	v_and_b32_e32 v23, 0xf0f0f0f, v23
	v_ashrrev_i32_e32 v26, v70, v25
	s_delay_alu instid0(VALU_DEP_1) | instskip(SKIP_3) | instid1(VALU_DEP_4)
	v_lshlrev_b32_e32 v27, 4, v26
	v_lshlrev_b32_e32 v29, 11, v26
	;; [unrolled: 1-line block ×4, first 2 shown]
	v_and_b32_e32 v27, 16, v27
	s_delay_alu instid0(VALU_DEP_4) | instskip(NEXT) | instid1(VALU_DEP_4)
	v_and_b32_e32 v29, 0x1000, v29
	v_and_b32_e32 v30, 0x100000, v30
	s_delay_alu instid0(VALU_DEP_4) | instskip(NEXT) | instid1(VALU_DEP_1)
	v_and_b32_e32 v26, 0x10000000, v26
	v_or3_b32 v26, v26, v28, v30
	s_delay_alu instid0(VALU_DEP_1) | instskip(SKIP_1) | instid1(VALU_DEP_2)
	v_or3_b32 v26, v26, v27, v29
	v_ashrrev_i32_e32 v27, v81, v25
	v_dot4_i32_iu8 v26, v26, v51, 0 neg_lo:[1,1,0]
	s_delay_alu instid0(VALU_DEP_2)
	v_lshlrev_b32_e32 v28, 4, v27
	v_lshlrev_b32_e32 v29, 11, v27
	;; [unrolled: 1-line block ×4, first 2 shown]
	v_cvt_f32_i32_e32 v26, v26
	v_and_b32_e32 v28, 16, v28
	v_and_b32_e32 v29, 0x1000, v29
	;; [unrolled: 1-line block ×4, first 2 shown]
	v_fma_f32 v26, v10, v26, -v11
	s_delay_alu instid0(VALU_DEP_1) | instskip(SKIP_3) | instid1(VALU_DEP_1)
	v_fma_mix_f32 v22, v26, v24, v22 op_sel_hi:[0,1,0]
	global_load_b32 v26, v[17:18], off offset:124
	s_waitcnt vmcnt(0)
	v_and_b32_e32 v26, 0xf0f0f0f, v26
	v_or3_b32 v26, v27, v26, v30
	s_delay_alu instid0(VALU_DEP_1) | instskip(NEXT) | instid1(VALU_DEP_1)
	v_or3_b32 v26, v26, v28, v29
	v_dot4_i32_iu8 v26, v26, v52, 0 neg_lo:[1,1,0]
	s_delay_alu instid0(VALU_DEP_1) | instskip(NEXT) | instid1(VALU_DEP_1)
	v_cvt_f32_i32_e32 v26, v26
	v_fma_f32 v26, v10, v26, -v11
	s_delay_alu instid0(VALU_DEP_1) | instskip(SKIP_1) | instid1(VALU_DEP_1)
	v_fma_mix_f32 v22, v26, v24, v22 op_sel_hi:[0,1,0]
	v_ashrrev_i32_e32 v26, v83, v25
	v_lshlrev_b32_e32 v27, 4, v26
	v_lshlrev_b32_e32 v28, 11, v26
	;; [unrolled: 1-line block ×4, first 2 shown]
	s_delay_alu instid0(VALU_DEP_4) | instskip(NEXT) | instid1(VALU_DEP_4)
	v_and_b32_e32 v27, 16, v27
	v_and_b32_e32 v28, 0x1000, v28
	s_delay_alu instid0(VALU_DEP_4) | instskip(NEXT) | instid1(VALU_DEP_4)
	v_and_b32_e32 v29, 0x100000, v29
	v_and_b32_e32 v26, 0x10000000, v26
	s_delay_alu instid0(VALU_DEP_1) | instskip(NEXT) | instid1(VALU_DEP_1)
	v_or3_b32 v23, v26, v23, v29
	v_or3_b32 v23, v23, v27, v28
	s_delay_alu instid0(VALU_DEP_1) | instskip(NEXT) | instid1(VALU_DEP_1)
	v_dot4_i32_iu8 v23, v23, v53, 0 neg_lo:[1,1,0]
	v_cvt_f32_i32_e32 v23, v23
	s_delay_alu instid0(VALU_DEP_1) | instskip(NEXT) | instid1(VALU_DEP_1)
	v_fma_f32 v23, v10, v23, -v11
	v_fma_mix_f32 v26, v23, v24, v22 op_sel_hi:[0,1,0]
	v_add_co_u32 v22, vcc_lo, v15, v97
	v_add_co_ci_u32_e32 v23, vcc_lo, 0, v16, vcc_lo
	global_load_b32 v22, v[22:23], off offset:116
	v_ashrrev_i32_e32 v23, v99, v25
	s_delay_alu instid0(VALU_DEP_1) | instskip(SKIP_3) | instid1(VALU_DEP_4)
	v_lshlrev_b32_e32 v25, 4, v23
	v_lshlrev_b32_e32 v27, 11, v23
	;; [unrolled: 1-line block ×4, first 2 shown]
	v_and_b32_e32 v25, 16, v25
	s_delay_alu instid0(VALU_DEP_4) | instskip(NEXT) | instid1(VALU_DEP_4)
	v_and_b32_e32 v27, 0x1000, v27
	v_and_b32_e32 v28, 0x100000, v28
	s_delay_alu instid0(VALU_DEP_4) | instskip(NEXT) | instid1(VALU_DEP_1)
	v_and_b32_e32 v23, 0x10000000, v23
	v_or3_b32 v23, v28, v23, v25
	s_waitcnt vmcnt(0)
	v_lshrrev_b32_e32 v22, 4, v22
	s_delay_alu instid0(VALU_DEP_1) | instskip(NEXT) | instid1(VALU_DEP_1)
	v_and_b32_e32 v22, 0xf0f0f0f, v22
	v_or3_b32 v22, v23, v27, v22
	s_delay_alu instid0(VALU_DEP_1) | instskip(NEXT) | instid1(VALU_DEP_1)
	v_dot4_i32_iu8 v22, v22, v54, 0 neg_lo:[1,1,0]
	v_cvt_f32_i32_e32 v22, v22
	s_delay_alu instid0(VALU_DEP_1) | instskip(NEXT) | instid1(VALU_DEP_1)
	v_fma_f32 v22, v10, v22, -v11
	v_fma_mix_f32 v22, v22, v24, v26 op_sel_hi:[0,1,0]
	s_clause 0x2
	global_load_b32 v23, v[17:18], off offset:138
	global_load_b32 v24, v[15:16], off offset:132
	global_load_u16 v25, v[15:16], off offset:136
	s_waitcnt vmcnt(2)
	v_and_b32_e32 v28, 0xf0f0f0f, v23
	v_lshrrev_b32_e32 v23, 4, v23
	s_waitcnt vmcnt(0)
	v_perm_b32 v25, v24, v25, 0x1000706
	s_delay_alu instid0(VALU_DEP_2) | instskip(NEXT) | instid1(VALU_DEP_2)
	v_and_b32_e32 v23, 0xf0f0f0f, v23
	v_ashrrev_i32_e32 v26, v70, v25
	s_delay_alu instid0(VALU_DEP_1) | instskip(SKIP_3) | instid1(VALU_DEP_4)
	v_lshlrev_b32_e32 v27, 4, v26
	v_lshlrev_b32_e32 v29, 11, v26
	;; [unrolled: 1-line block ×4, first 2 shown]
	v_and_b32_e32 v27, 16, v27
	s_delay_alu instid0(VALU_DEP_4) | instskip(NEXT) | instid1(VALU_DEP_4)
	v_and_b32_e32 v29, 0x1000, v29
	v_and_b32_e32 v30, 0x100000, v30
	s_delay_alu instid0(VALU_DEP_4) | instskip(NEXT) | instid1(VALU_DEP_1)
	v_and_b32_e32 v26, 0x10000000, v26
	v_or3_b32 v26, v26, v28, v30
	s_delay_alu instid0(VALU_DEP_1) | instskip(SKIP_1) | instid1(VALU_DEP_2)
	v_or3_b32 v26, v26, v27, v29
	v_ashrrev_i32_e32 v27, v81, v25
	v_dot4_i32_iu8 v26, v26, v55, 0 neg_lo:[1,1,0]
	s_delay_alu instid0(VALU_DEP_2)
	v_lshlrev_b32_e32 v28, 4, v27
	v_lshlrev_b32_e32 v29, 11, v27
	v_lshlrev_b32_e32 v30, 18, v27
	v_lshlrev_b32_e32 v27, 25, v27
	v_cvt_f32_i32_e32 v26, v26
	v_and_b32_e32 v28, 16, v28
	v_and_b32_e32 v29, 0x1000, v29
	;; [unrolled: 1-line block ×4, first 2 shown]
	v_fma_f32 v26, v12, v26, -v13
	s_delay_alu instid0(VALU_DEP_1) | instskip(SKIP_3) | instid1(VALU_DEP_1)
	v_fma_mix_f32 v22, v26, v24, v22 op_sel_hi:[0,1,0]
	global_load_b32 v26, v[17:18], off offset:146
	s_waitcnt vmcnt(0)
	v_and_b32_e32 v26, 0xf0f0f0f, v26
	v_or3_b32 v26, v27, v26, v30
	s_delay_alu instid0(VALU_DEP_1) | instskip(NEXT) | instid1(VALU_DEP_1)
	v_or3_b32 v26, v26, v28, v29
	v_dot4_i32_iu8 v26, v26, v56, 0 neg_lo:[1,1,0]
	s_delay_alu instid0(VALU_DEP_1) | instskip(NEXT) | instid1(VALU_DEP_1)
	v_cvt_f32_i32_e32 v26, v26
	v_fma_f32 v26, v12, v26, -v13
	s_delay_alu instid0(VALU_DEP_1) | instskip(SKIP_1) | instid1(VALU_DEP_1)
	v_fma_mix_f32 v22, v26, v24, v22 op_sel_hi:[0,1,0]
	v_ashrrev_i32_e32 v26, v83, v25
	v_lshlrev_b32_e32 v27, 4, v26
	v_lshlrev_b32_e32 v28, 11, v26
	;; [unrolled: 1-line block ×4, first 2 shown]
	s_delay_alu instid0(VALU_DEP_4) | instskip(NEXT) | instid1(VALU_DEP_4)
	v_and_b32_e32 v27, 16, v27
	v_and_b32_e32 v28, 0x1000, v28
	s_delay_alu instid0(VALU_DEP_4) | instskip(NEXT) | instid1(VALU_DEP_4)
	v_and_b32_e32 v29, 0x100000, v29
	v_and_b32_e32 v26, 0x10000000, v26
	s_delay_alu instid0(VALU_DEP_1) | instskip(NEXT) | instid1(VALU_DEP_1)
	v_or3_b32 v23, v26, v23, v29
	v_or3_b32 v23, v23, v27, v28
	s_delay_alu instid0(VALU_DEP_1) | instskip(NEXT) | instid1(VALU_DEP_1)
	v_dot4_i32_iu8 v23, v23, v57, 0 neg_lo:[1,1,0]
	v_cvt_f32_i32_e32 v23, v23
	s_delay_alu instid0(VALU_DEP_1) | instskip(NEXT) | instid1(VALU_DEP_1)
	v_fma_f32 v23, v12, v23, -v13
	v_fma_mix_f32 v26, v23, v24, v22 op_sel_hi:[0,1,0]
	v_add_co_u32 v22, vcc_lo, v15, v101
	v_add_co_ci_u32_e32 v23, vcc_lo, 0, v16, vcc_lo
	global_load_b32 v22, v[22:23], off offset:138
	v_ashrrev_i32_e32 v23, v102, v25
	s_delay_alu instid0(VALU_DEP_1) | instskip(SKIP_3) | instid1(VALU_DEP_4)
	v_lshlrev_b32_e32 v25, 4, v23
	v_lshlrev_b32_e32 v27, 11, v23
	;; [unrolled: 1-line block ×4, first 2 shown]
	v_and_b32_e32 v25, 16, v25
	s_delay_alu instid0(VALU_DEP_4) | instskip(NEXT) | instid1(VALU_DEP_4)
	v_and_b32_e32 v27, 0x1000, v27
	v_and_b32_e32 v28, 0x100000, v28
	s_delay_alu instid0(VALU_DEP_4) | instskip(NEXT) | instid1(VALU_DEP_1)
	v_and_b32_e32 v23, 0x10000000, v23
	v_or3_b32 v23, v28, v23, v25
	s_waitcnt vmcnt(0)
	v_lshrrev_b32_e32 v22, 4, v22
	s_delay_alu instid0(VALU_DEP_1) | instskip(NEXT) | instid1(VALU_DEP_1)
	v_and_b32_e32 v22, 0xf0f0f0f, v22
	v_or3_b32 v22, v23, v27, v22
	s_delay_alu instid0(VALU_DEP_1) | instskip(NEXT) | instid1(VALU_DEP_1)
	v_dot4_i32_iu8 v22, v22, v58, 0 neg_lo:[1,1,0]
	v_cvt_f32_i32_e32 v22, v22
	s_delay_alu instid0(VALU_DEP_1) | instskip(NEXT) | instid1(VALU_DEP_1)
	v_fma_f32 v22, v12, v22, -v13
	v_fma_mix_f32 v24, v22, v24, v26 op_sel_hi:[0,1,0]
	s_clause 0x3
	global_load_b32 v25, v[17:18], off offset:160
	global_load_b32 v22, v[15:16], off offset:154
	global_load_u16 v23, v[15:16], off offset:158
	global_load_b32 v17, v[17:18], off offset:168
	v_add_co_u32 v15, vcc_lo, v15, v106
	v_add_co_ci_u32_e32 v16, vcc_lo, 0, v16, vcc_lo
	s_and_not1_b32 vcc_lo, exec_lo, s19
	global_load_b32 v15, v[15:16], off offset:160
	s_waitcnt vmcnt(4)
	v_and_b32_e32 v28, 0xf0f0f0f, v25
	s_waitcnt vmcnt(2)
	v_perm_b32 v23, v22, v23, 0x1000706
	s_waitcnt vmcnt(1)
	v_and_b32_e32 v17, 0xf0f0f0f, v17
	s_delay_alu instid0(VALU_DEP_2)
	v_ashrrev_i32_e32 v26, v70, v23
	v_ashrrev_i32_e32 v18, v81, v23
	;; [unrolled: 1-line block ×3, first 2 shown]
	s_waitcnt vmcnt(0)
	v_lshrrev_b32_e32 v15, 4, v15
	v_lshlrev_b32_e32 v27, 4, v26
	v_lshlrev_b32_e32 v29, 11, v26
	;; [unrolled: 1-line block ×4, first 2 shown]
	v_and_b32_e32 v15, 0xf0f0f0f, v15
	v_and_b32_e32 v27, 16, v27
	;; [unrolled: 1-line block ×5, first 2 shown]
	s_delay_alu instid0(VALU_DEP_1) | instskip(SKIP_1) | instid1(VALU_DEP_2)
	v_or3_b32 v26, v26, v28, v30
	v_lshlrev_b32_e32 v28, 18, v18
	v_or3_b32 v26, v26, v27, v29
	v_lshlrev_b32_e32 v27, 11, v18
	s_delay_alu instid0(VALU_DEP_3) | instskip(NEXT) | instid1(VALU_DEP_3)
	v_and_b32_e32 v28, 0x100000, v28
	v_dot4_i32_iu8 v26, v26, v59, 0 neg_lo:[1,1,0]
	s_delay_alu instid0(VALU_DEP_3) | instskip(NEXT) | instid1(VALU_DEP_2)
	v_and_b32_e32 v27, 0x1000, v27
	v_cvt_f32_i32_e32 v26, v26
	s_delay_alu instid0(VALU_DEP_1) | instskip(NEXT) | instid1(VALU_DEP_1)
	v_fma_f32 v26, v14, v26, -v104
	v_fma_mix_f32 v24, v26, v22, v24 op_sel_hi:[0,1,0]
	v_lshlrev_b32_e32 v26, 4, v18
	v_lshlrev_b32_e32 v18, 25, v18
	s_delay_alu instid0(VALU_DEP_2) | instskip(NEXT) | instid1(VALU_DEP_2)
	v_and_b32_e32 v26, 16, v26
	v_and_b32_e32 v18, 0x10000000, v18
	s_delay_alu instid0(VALU_DEP_1) | instskip(SKIP_1) | instid1(VALU_DEP_2)
	v_or3_b32 v17, v18, v17, v28
	v_lshrrev_b32_e32 v18, 4, v25
	v_or3_b32 v17, v17, v26, v27
	s_delay_alu instid0(VALU_DEP_2) | instskip(NEXT) | instid1(VALU_DEP_2)
	v_and_b32_e32 v18, 0xf0f0f0f, v18
	v_dot4_i32_iu8 v17, v17, v60, 0 neg_lo:[1,1,0]
	s_delay_alu instid0(VALU_DEP_1) | instskip(NEXT) | instid1(VALU_DEP_1)
	v_cvt_f32_i32_e32 v17, v17
	v_fma_f32 v17, v14, v17, -v104
	s_delay_alu instid0(VALU_DEP_1) | instskip(SKIP_2) | instid1(VALU_DEP_2)
	v_fma_mix_f32 v17, v17, v22, v24 op_sel_hi:[0,1,0]
	v_ashrrev_i32_e32 v24, v83, v23
	v_lshlrev_b32_e32 v23, 11, v16
	v_lshlrev_b32_e32 v25, 4, v24
	;; [unrolled: 1-line block ×5, first 2 shown]
	v_and_b32_e32 v23, 0x1000, v23
	v_and_b32_e32 v25, 16, v25
	;; [unrolled: 1-line block ×5, first 2 shown]
	s_delay_alu instid0(VALU_DEP_1) | instskip(SKIP_1) | instid1(VALU_DEP_2)
	v_or3_b32 v18, v24, v18, v27
	v_lshlrev_b32_e32 v24, 18, v16
	v_or3_b32 v18, v18, v25, v26
	s_delay_alu instid0(VALU_DEP_2) | instskip(NEXT) | instid1(VALU_DEP_2)
	v_and_b32_e32 v24, 0x100000, v24
	v_dot4_i32_iu8 v18, v18, v61, 0 neg_lo:[1,1,0]
	s_delay_alu instid0(VALU_DEP_1) | instskip(NEXT) | instid1(VALU_DEP_1)
	v_cvt_f32_i32_e32 v18, v18
	v_fma_f32 v18, v14, v18, -v104
	s_delay_alu instid0(VALU_DEP_1) | instskip(SKIP_2) | instid1(VALU_DEP_2)
	v_fma_mix_f32 v17, v18, v22, v17 op_sel_hi:[0,1,0]
	v_lshlrev_b32_e32 v18, 4, v16
	v_lshlrev_b32_e32 v16, 25, v16
	v_and_b32_e32 v18, 16, v18
	s_delay_alu instid0(VALU_DEP_2) | instskip(NEXT) | instid1(VALU_DEP_1)
	v_and_b32_e32 v16, 0x10000000, v16
	v_or3_b32 v16, v24, v16, v18
	s_delay_alu instid0(VALU_DEP_1) | instskip(NEXT) | instid1(VALU_DEP_1)
	v_or3_b32 v15, v16, v23, v15
	v_dot4_i32_iu8 v15, v15, v62, 0 neg_lo:[1,1,0]
	s_delay_alu instid0(VALU_DEP_1) | instskip(NEXT) | instid1(VALU_DEP_1)
	v_cvt_f32_i32_e32 v15, v15
	v_fma_f32 v15, v14, v15, -v104
	s_delay_alu instid0(VALU_DEP_1)
	v_fma_mix_f32 v15, v15, v22, v17 op_sel_hi:[0,1,0]
	ds_bpermute_b32 v16, v110, v15
	s_waitcnt lgkmcnt(0)
	v_add_f32_e32 v15, v15, v16
	s_cbranch_vccnz .LBB23_19
; %bb.18:                               ;   in Loop: Header=BB23_15 Depth=1
	global_load_u16 v16, v21, s[4:5] offset:2
	s_waitcnt vmcnt(0)
	v_fma_mix_f32 v15, v66, v16, v15 op_sel_hi:[0,1,0]
.LBB23_19:                              ;   in Loop: Header=BB23_15 Depth=1
	s_delay_alu instid0(VALU_DEP_1)
	v_dual_add_f32 v16, 0x40051340, v20 :: v_dual_add_f32 v17, 0x40051340, v15
	v_cndmask_b32_e64 v15, v15, v20, s3
	v_mul_u32_u24_e32 v180, 20, v127
	v_mul_hi_u32_u24_e32 v178, 20, v127
	s_add_i32 s8, s10, s8
	v_max3_f32 v16, v19, v16, v17
	s_add_u32 s17, s17, s16
	s_addc_u32 s18, s18, 0
	ds_bpermute_b32 v17, v119, v16
	s_waitcnt lgkmcnt(0)
	v_max_f32_e32 v17, v17, v17
	s_delay_alu instid0(VALU_DEP_1) | instskip(SKIP_3) | instid1(VALU_DEP_1)
	v_max_f32_e32 v16, v16, v17
	ds_bpermute_b32 v17, v121, v16
	s_waitcnt lgkmcnt(0)
	v_max_f32_e32 v17, v17, v17
	v_max_f32_e32 v16, v16, v17
	ds_bpermute_b32 v17, v122, v16
	s_waitcnt lgkmcnt(0)
	v_max_f32_e32 v17, v17, v17
	s_delay_alu instid0(VALU_DEP_1) | instskip(SKIP_3) | instid1(VALU_DEP_1)
	v_max_f32_e32 v16, v16, v17
	ds_bpermute_b32 v17, v123, v16
	s_waitcnt lgkmcnt(0)
	v_max_f32_e32 v17, v17, v17
	v_max_f32_e32 v176, v16, v17
	s_delay_alu instid0(VALU_DEP_1) | instskip(NEXT) | instid1(VALU_DEP_1)
	v_sub_f32_e32 v16, v19, v176
	v_mul_f32_e32 v17, 0x3fb8aa3b, v16
	v_cmp_ngt_f32_e32 vcc_lo, 0xc2ce8ed0, v16
	v_sub_f32_e32 v15, v15, v176
	s_delay_alu instid0(VALU_DEP_3) | instskip(SKIP_1) | instid1(VALU_DEP_1)
	v_fma_f32 v18, 0x3fb8aa3b, v16, -v17
	v_rndne_f32_e32 v19, v17
	v_dual_fmac_f32 v18, 0x32a5705f, v16 :: v_dual_sub_f32 v17, v17, v19
	s_delay_alu instid0(VALU_DEP_1) | instskip(SKIP_1) | instid1(VALU_DEP_2)
	v_add_f32_e32 v17, v17, v18
	v_cvt_i32_f32_e32 v18, v19
	v_exp_f32_e32 v17, v17
	s_waitcnt_depctr 0xfff
	v_ldexp_f32 v17, v17, v18
	s_delay_alu instid0(VALU_DEP_1) | instskip(SKIP_2) | instid1(VALU_DEP_3)
	v_cndmask_b32_e32 v17, 0, v17, vcc_lo
	v_cmp_nlt_f32_e32 vcc_lo, 0x42b17218, v16
	v_mul_f32_e32 v16, 0x3fb8aa3b, v15
	v_cndmask_b32_e32 v177, 0x7f800000, v17, vcc_lo
	s_delay_alu instid0(VALU_DEP_2) | instskip(SKIP_2) | instid1(VALU_DEP_2)
	v_fma_f32 v17, 0x3fb8aa3b, v15, -v16
	v_rndne_f32_e32 v18, v16
	v_cmp_ngt_f32_e32 vcc_lo, 0xc2ce8ed0, v15
	v_dual_fmac_f32 v17, 0x32a5705f, v15 :: v_dual_sub_f32 v16, v16, v18
	s_delay_alu instid0(VALU_DEP_1) | instskip(SKIP_1) | instid1(VALU_DEP_2)
	v_add_f32_e32 v16, v16, v17
	v_cvt_i32_f32_e32 v17, v18
	v_exp_f32_e32 v16, v16
	s_waitcnt_depctr 0xfff
	v_ldexp_f32 v16, v16, v17
	s_delay_alu instid0(VALU_DEP_1) | instskip(SKIP_1) | instid1(VALU_DEP_2)
	v_cndmask_b32_e32 v16, 0, v16, vcc_lo
	v_cmp_nlt_f32_e32 vcc_lo, 0x42b17218, v15
	v_cndmask_b32_e32 v175, 0x7f800000, v16, vcc_lo
	v_add_co_u32 v186, vcc_lo, s9, v71
	v_add_co_ci_u32_e32 v187, vcc_lo, s15, v126, vcc_lo
	s_delay_alu instid0(VALU_DEP_3) | instskip(NEXT) | instid1(VALU_DEP_3)
	v_cvt_f16_f32_e64 v15, v175
	v_add_co_u32 v181, vcc_lo, v186, v180
	s_delay_alu instid0(VALU_DEP_3)
	v_add_co_ci_u32_e32 v182, vcc_lo, v187, v178, vcc_lo
	ds_store_b16 v68, v15
	v_add_co_u32 v183, vcc_lo, v181, v128
	v_add_co_ci_u32_e32 v184, vcc_lo, 0, v182, vcc_lo
	ds_load_b128 v[27:30], v124
	ds_load_b128 v[23:26], v124 offset:16
	ds_load_b128 v[19:22], v124 offset:32
	;; [unrolled: 1-line block ×3, first 2 shown]
	s_clause 0x1
	global_load_b32 v181, v[181:182], off
	global_load_b32 v179, v[183:184], off offset:4
	s_waitcnt vmcnt(0)
	v_ashrrev_i32_e32 v179, v111, v179
	s_delay_alu instid0(VALU_DEP_1) | instskip(SKIP_3) | instid1(VALU_DEP_4)
	v_lshrrev_b32_e32 v184, 8, v179
	v_and_b32_e32 v183, 15, v179
	v_lshrrev_b32_e32 v188, 16, v179
	v_bfe_u32 v179, v179, 24, 4
	v_and_b32_e32 v184, 15, v184
	s_delay_alu instid0(VALU_DEP_4) | instskip(NEXT) | instid1(VALU_DEP_4)
	v_cvt_f16_u16_e64 v182, v183
	v_and_b32_e32 v188, 15, v188
	s_delay_alu instid0(VALU_DEP_4) | instskip(SKIP_2) | instid1(VALU_DEP_1)
	v_cvt_f16_u16_e64 v179, v179
	v_cvt_f16_f32_e64 v185, v177
	v_cvt_f16_u16_e64 v183, v184
	v_pack_b32_f16 v182, v182, v183
	v_cvt_f16_u16_e64 v183, v188
	s_delay_alu instid0(VALU_DEP_2) | instskip(NEXT) | instid1(VALU_DEP_2)
	v_pk_fma_f16 v182, v181, v182, v181 op_sel:[0,0,1] op_sel_hi:[0,1,1]
	v_pack_b32_f16 v179, v183, v179
	s_delay_alu instid0(VALU_DEP_1) | instskip(SKIP_1) | instid1(VALU_DEP_3)
	v_pk_fma_f16 v179, v181, v179, v181 op_sel:[0,0,1] op_sel_hi:[0,1,1]
	s_waitcnt lgkmcnt(3)
	v_pk_mul_f16 v181, v27, v182 op_sel_hi:[0,1]
	s_delay_alu instid0(VALU_DEP_1) | instskip(NEXT) | instid1(VALU_DEP_3)
	v_pk_fma_f16 v184, v185, v171, v181 op_sel_hi:[0,1,1]
	v_pk_mul_f16 v171, v27, v179 op_sel_hi:[0,1]
	v_mul_u32_u24_e32 v181, 20, v130
	v_mul_hi_u32_u24_e32 v179, 20, v130
	s_delay_alu instid0(VALU_DEP_3) | instskip(NEXT) | instid1(VALU_DEP_3)
	v_pk_fma_f16 v188, v185, v172, v171 op_sel_hi:[0,1,1]
	v_add_co_u32 v171, vcc_lo, v186, v181
	s_delay_alu instid0(VALU_DEP_3) | instskip(NEXT) | instid1(VALU_DEP_2)
	v_add_co_ci_u32_e32 v172, vcc_lo, v187, v179, vcc_lo
	v_add_co_u32 v182, vcc_lo, v171, v131
	s_delay_alu instid0(VALU_DEP_2)
	v_add_co_ci_u32_e32 v183, vcc_lo, 0, v172, vcc_lo
	s_clause 0x1
	global_load_b32 v171, v[171:172], off
	global_load_b32 v182, v[182:183], off offset:4
	s_waitcnt vmcnt(0)
	v_ashrrev_i32_e32 v182, v111, v182
	s_delay_alu instid0(VALU_DEP_1) | instskip(SKIP_3) | instid1(VALU_DEP_4)
	v_lshrrev_b32_e32 v186, 8, v182
	v_and_b32_e32 v183, 15, v182
	v_lshrrev_b32_e32 v187, 16, v182
	v_bfe_u32 v182, v182, 24, 4
	v_and_b32_e32 v186, 15, v186
	s_delay_alu instid0(VALU_DEP_4) | instskip(NEXT) | instid1(VALU_DEP_4)
	v_cvt_f16_u16_e64 v172, v183
	v_and_b32_e32 v187, 15, v187
	s_delay_alu instid0(VALU_DEP_4) | instskip(SKIP_2) | instid1(VALU_DEP_1)
	v_cvt_f16_u16_e64 v182, v182
	v_fmac_f32_e32 v175, v170, v177
	v_cvt_f16_u16_e64 v183, v186
	v_pack_b32_f16 v172, v172, v183
	v_cvt_f16_u16_e64 v183, v187
	s_delay_alu instid0(VALU_DEP_2) | instskip(NEXT) | instid1(VALU_DEP_2)
	v_pk_fma_f16 v172, v171, v172, v171 op_sel:[0,0,1] op_sel_hi:[0,1,1]
	v_pack_b32_f16 v182, v183, v182
	s_delay_alu instid0(VALU_DEP_2) | instskip(NEXT) | instid1(VALU_DEP_2)
	v_pk_mul_f16 v172, v27, v172 op_sel_hi:[0,1]
	v_pk_fma_f16 v171, v171, v182, v171 op_sel:[0,0,1] op_sel_hi:[0,1,1]
	s_delay_alu instid0(VALU_DEP_2) | instskip(NEXT) | instid1(VALU_DEP_2)
	v_pk_fma_f16 v182, v185, v174, v172 op_sel_hi:[0,1,1]
	v_pk_mul_f16 v171, v27, v171 op_sel_hi:[0,1]
	s_delay_alu instid0(VALU_DEP_1) | instskip(SKIP_2) | instid1(VALU_DEP_2)
	v_pk_fma_f16 v183, v185, v173, v171 op_sel_hi:[0,1,1]
	v_add_co_u32 v185, vcc_lo, s9, v72
	v_add_co_ci_u32_e32 v186, vcc_lo, s15, v132, vcc_lo
	v_add_co_u32 v171, vcc_lo, v185, v180
	s_delay_alu instid0(VALU_DEP_2) | instskip(NEXT) | instid1(VALU_DEP_2)
	v_add_co_ci_u32_e32 v172, vcc_lo, v186, v178, vcc_lo
	v_add_co_u32 v173, vcc_lo, v171, v128
	s_delay_alu instid0(VALU_DEP_2)
	v_add_co_ci_u32_e32 v174, vcc_lo, 0, v172, vcc_lo
	s_clause 0x1
	global_load_b32 v171, v[171:172], off
	global_load_b32 v173, v[173:174], off offset:4
	s_waitcnt vmcnt(0)
	v_ashrrev_i32_e32 v173, v111, v173
	s_delay_alu instid0(VALU_DEP_1) | instskip(SKIP_3) | instid1(VALU_DEP_4)
	v_lshrrev_b32_e32 v187, 8, v173
	v_and_b32_e32 v174, 15, v173
	v_lshrrev_b32_e32 v189, 16, v173
	v_bfe_u32 v173, v173, 24, 4
	v_and_b32_e32 v187, 15, v187
	s_delay_alu instid0(VALU_DEP_4) | instskip(NEXT) | instid1(VALU_DEP_4)
	v_cvt_f16_u16_e64 v172, v174
	v_and_b32_e32 v189, 15, v189
	s_delay_alu instid0(VALU_DEP_4) | instskip(NEXT) | instid1(VALU_DEP_4)
	v_cvt_f16_u16_e64 v173, v173
	v_cvt_f16_u16_e64 v174, v187
	s_delay_alu instid0(VALU_DEP_1) | instskip(NEXT) | instid1(VALU_DEP_4)
	v_pack_b32_f16 v172, v172, v174
	v_cvt_f16_u16_e64 v174, v189
	s_delay_alu instid0(VALU_DEP_2) | instskip(NEXT) | instid1(VALU_DEP_2)
	v_pk_fma_f16 v172, v171, v172, v171 op_sel:[0,0,1] op_sel_hi:[0,1,1]
	v_pack_b32_f16 v173, v174, v173
	s_delay_alu instid0(VALU_DEP_2) | instskip(NEXT) | instid1(VALU_DEP_2)
	v_pk_fma_f16 v184, v27, v172, v184 op_sel:[1,0,0]
	v_pk_fma_f16 v171, v171, v173, v171 op_sel:[0,0,1] op_sel_hi:[0,1,1]
	s_delay_alu instid0(VALU_DEP_1) | instskip(SKIP_2) | instid1(VALU_DEP_2)
	v_pk_fma_f16 v187, v27, v171, v188 op_sel:[1,0,0]
	v_add_co_u32 v171, vcc_lo, v185, v181
	v_add_co_ci_u32_e32 v172, vcc_lo, v186, v179, vcc_lo
	v_add_co_u32 v173, vcc_lo, v171, v131
	s_delay_alu instid0(VALU_DEP_2)
	v_add_co_ci_u32_e32 v174, vcc_lo, 0, v172, vcc_lo
	s_clause 0x1
	global_load_b32 v171, v[171:172], off
	global_load_b32 v173, v[173:174], off offset:4
	s_waitcnt vmcnt(0)
	v_ashrrev_i32_e32 v173, v111, v173
	s_delay_alu instid0(VALU_DEP_1) | instskip(SKIP_3) | instid1(VALU_DEP_4)
	v_lshrrev_b32_e32 v185, 8, v173
	v_and_b32_e32 v174, 15, v173
	v_lshrrev_b32_e32 v186, 16, v173
	v_bfe_u32 v173, v173, 24, 4
	v_and_b32_e32 v185, 15, v185
	s_delay_alu instid0(VALU_DEP_4) | instskip(NEXT) | instid1(VALU_DEP_4)
	v_cvt_f16_u16_e64 v172, v174
	v_and_b32_e32 v186, 15, v186
	s_delay_alu instid0(VALU_DEP_4) | instskip(NEXT) | instid1(VALU_DEP_4)
	v_cvt_f16_u16_e64 v173, v173
	v_cvt_f16_u16_e64 v174, v185
	s_delay_alu instid0(VALU_DEP_1) | instskip(NEXT) | instid1(VALU_DEP_4)
	v_pack_b32_f16 v172, v172, v174
	v_cvt_f16_u16_e64 v174, v186
	s_delay_alu instid0(VALU_DEP_2) | instskip(NEXT) | instid1(VALU_DEP_2)
	v_pk_fma_f16 v172, v171, v172, v171 op_sel:[0,0,1] op_sel_hi:[0,1,1]
	v_pack_b32_f16 v173, v174, v173
	s_delay_alu instid0(VALU_DEP_2) | instskip(NEXT) | instid1(VALU_DEP_2)
	v_pk_fma_f16 v182, v27, v172, v182 op_sel:[1,0,0]
	v_pk_fma_f16 v171, v171, v173, v171 op_sel:[0,0,1] op_sel_hi:[0,1,1]
	s_delay_alu instid0(VALU_DEP_1) | instskip(SKIP_2) | instid1(VALU_DEP_2)
	v_pk_fma_f16 v27, v27, v171, v183 op_sel:[1,0,0]
	v_add_co_u32 v183, vcc_lo, s9, v73
	v_add_co_ci_u32_e32 v185, vcc_lo, s15, v133, vcc_lo
	v_add_co_u32 v171, vcc_lo, v183, v180
	s_delay_alu instid0(VALU_DEP_2) | instskip(NEXT) | instid1(VALU_DEP_2)
	v_add_co_ci_u32_e32 v172, vcc_lo, v185, v178, vcc_lo
	v_add_co_u32 v173, vcc_lo, v171, v128
	s_delay_alu instid0(VALU_DEP_2)
	v_add_co_ci_u32_e32 v174, vcc_lo, 0, v172, vcc_lo
	s_clause 0x1
	global_load_b32 v171, v[171:172], off
	global_load_b32 v173, v[173:174], off offset:4
	s_waitcnt vmcnt(0)
	v_ashrrev_i32_e32 v173, v111, v173
	s_delay_alu instid0(VALU_DEP_1) | instskip(SKIP_3) | instid1(VALU_DEP_4)
	v_lshrrev_b32_e32 v186, 8, v173
	v_and_b32_e32 v174, 15, v173
	v_lshrrev_b32_e32 v188, 16, v173
	v_bfe_u32 v173, v173, 24, 4
	v_and_b32_e32 v186, 15, v186
	s_delay_alu instid0(VALU_DEP_4) | instskip(NEXT) | instid1(VALU_DEP_4)
	v_cvt_f16_u16_e64 v172, v174
	v_and_b32_e32 v188, 15, v188
	s_delay_alu instid0(VALU_DEP_4) | instskip(NEXT) | instid1(VALU_DEP_4)
	v_cvt_f16_u16_e64 v173, v173
	v_cvt_f16_u16_e64 v174, v186
	s_delay_alu instid0(VALU_DEP_1) | instskip(NEXT) | instid1(VALU_DEP_4)
	v_pack_b32_f16 v172, v172, v174
	v_cvt_f16_u16_e64 v174, v188
	s_delay_alu instid0(VALU_DEP_2) | instskip(NEXT) | instid1(VALU_DEP_2)
	v_pk_fma_f16 v172, v171, v172, v171 op_sel:[0,0,1] op_sel_hi:[0,1,1]
	v_pack_b32_f16 v173, v174, v173
	s_delay_alu instid0(VALU_DEP_2) | instskip(NEXT) | instid1(VALU_DEP_2)
	v_pk_fma_f16 v184, v28, v172, v184 op_sel_hi:[0,1,1]
	v_pk_fma_f16 v171, v171, v173, v171 op_sel:[0,0,1] op_sel_hi:[0,1,1]
	s_delay_alu instid0(VALU_DEP_1) | instskip(SKIP_2) | instid1(VALU_DEP_2)
	v_pk_fma_f16 v186, v28, v171, v187 op_sel_hi:[0,1,1]
	v_add_co_u32 v171, vcc_lo, v183, v181
	v_add_co_ci_u32_e32 v172, vcc_lo, v185, v179, vcc_lo
	v_add_co_u32 v173, vcc_lo, v171, v131
	s_delay_alu instid0(VALU_DEP_2)
	v_add_co_ci_u32_e32 v174, vcc_lo, 0, v172, vcc_lo
	s_clause 0x1
	global_load_b32 v171, v[171:172], off
	global_load_b32 v173, v[173:174], off offset:4
	s_waitcnt vmcnt(0)
	v_ashrrev_i32_e32 v173, v111, v173
	s_delay_alu instid0(VALU_DEP_1) | instskip(SKIP_3) | instid1(VALU_DEP_4)
	v_lshrrev_b32_e32 v183, 8, v173
	v_and_b32_e32 v174, 15, v173
	v_lshrrev_b32_e32 v185, 16, v173
	v_bfe_u32 v173, v173, 24, 4
	v_and_b32_e32 v183, 15, v183
	s_delay_alu instid0(VALU_DEP_4) | instskip(NEXT) | instid1(VALU_DEP_4)
	v_cvt_f16_u16_e64 v172, v174
	v_and_b32_e32 v185, 15, v185
	s_delay_alu instid0(VALU_DEP_4) | instskip(NEXT) | instid1(VALU_DEP_4)
	v_cvt_f16_u16_e64 v173, v173
	v_cvt_f16_u16_e64 v174, v183
	v_add_co_u32 v183, vcc_lo, s9, v74
	s_delay_alu instid0(VALU_DEP_2) | instskip(SKIP_2) | instid1(VALU_DEP_3)
	v_pack_b32_f16 v172, v172, v174
	v_cvt_f16_u16_e64 v174, v185
	v_add_co_ci_u32_e32 v185, vcc_lo, s15, v135, vcc_lo
	v_pk_fma_f16 v172, v171, v172, v171 op_sel:[0,0,1] op_sel_hi:[0,1,1]
	s_delay_alu instid0(VALU_DEP_3) | instskip(NEXT) | instid1(VALU_DEP_2)
	v_pack_b32_f16 v173, v174, v173
	v_pk_fma_f16 v182, v28, v172, v182 op_sel_hi:[0,1,1]
	s_delay_alu instid0(VALU_DEP_2) | instskip(NEXT) | instid1(VALU_DEP_1)
	v_pk_fma_f16 v171, v171, v173, v171 op_sel:[0,0,1] op_sel_hi:[0,1,1]
	v_pk_fma_f16 v27, v28, v171, v27 op_sel_hi:[0,1,1]
	v_add_co_u32 v171, vcc_lo, v183, v180
	v_add_co_ci_u32_e32 v172, vcc_lo, v185, v178, vcc_lo
	s_delay_alu instid0(VALU_DEP_2) | instskip(NEXT) | instid1(VALU_DEP_2)
	v_add_co_u32 v173, vcc_lo, v171, v128
	v_add_co_ci_u32_e32 v174, vcc_lo, 0, v172, vcc_lo
	s_clause 0x1
	global_load_b32 v171, v[171:172], off
	global_load_b32 v173, v[173:174], off offset:4
	s_waitcnt vmcnt(0)
	v_ashrrev_i32_e32 v173, v111, v173
	s_delay_alu instid0(VALU_DEP_1) | instskip(SKIP_3) | instid1(VALU_DEP_4)
	v_lshrrev_b32_e32 v187, 8, v173
	v_and_b32_e32 v174, 15, v173
	v_lshrrev_b32_e32 v188, 16, v173
	v_bfe_u32 v173, v173, 24, 4
	v_and_b32_e32 v187, 15, v187
	s_delay_alu instid0(VALU_DEP_4) | instskip(NEXT) | instid1(VALU_DEP_4)
	v_cvt_f16_u16_e64 v172, v174
	v_and_b32_e32 v188, 15, v188
	s_delay_alu instid0(VALU_DEP_4) | instskip(NEXT) | instid1(VALU_DEP_4)
	v_cvt_f16_u16_e64 v173, v173
	v_cvt_f16_u16_e64 v174, v187
	s_delay_alu instid0(VALU_DEP_1) | instskip(NEXT) | instid1(VALU_DEP_4)
	v_pack_b32_f16 v172, v172, v174
	v_cvt_f16_u16_e64 v174, v188
	s_delay_alu instid0(VALU_DEP_2) | instskip(NEXT) | instid1(VALU_DEP_2)
	v_pk_fma_f16 v172, v171, v172, v171 op_sel:[0,0,1] op_sel_hi:[0,1,1]
	v_pack_b32_f16 v173, v174, v173
	s_delay_alu instid0(VALU_DEP_2) | instskip(NEXT) | instid1(VALU_DEP_2)
	v_pk_fma_f16 v184, v28, v172, v184 op_sel:[1,0,0]
	v_pk_fma_f16 v171, v171, v173, v171 op_sel:[0,0,1] op_sel_hi:[0,1,1]
	s_delay_alu instid0(VALU_DEP_1) | instskip(SKIP_2) | instid1(VALU_DEP_2)
	v_pk_fma_f16 v186, v28, v171, v186 op_sel:[1,0,0]
	v_add_co_u32 v171, vcc_lo, v183, v181
	v_add_co_ci_u32_e32 v172, vcc_lo, v185, v179, vcc_lo
	v_add_co_u32 v173, vcc_lo, v171, v131
	s_delay_alu instid0(VALU_DEP_2)
	v_add_co_ci_u32_e32 v174, vcc_lo, 0, v172, vcc_lo
	s_clause 0x1
	global_load_b32 v171, v[171:172], off
	global_load_b32 v173, v[173:174], off offset:4
	s_waitcnt vmcnt(0)
	v_ashrrev_i32_e32 v173, v111, v173
	s_delay_alu instid0(VALU_DEP_1) | instskip(SKIP_3) | instid1(VALU_DEP_4)
	v_lshrrev_b32_e32 v183, 8, v173
	v_and_b32_e32 v174, 15, v173
	v_lshrrev_b32_e32 v185, 16, v173
	v_bfe_u32 v173, v173, 24, 4
	v_and_b32_e32 v183, 15, v183
	s_delay_alu instid0(VALU_DEP_4) | instskip(NEXT) | instid1(VALU_DEP_4)
	v_cvt_f16_u16_e64 v172, v174
	v_and_b32_e32 v185, 15, v185
	s_delay_alu instid0(VALU_DEP_4) | instskip(NEXT) | instid1(VALU_DEP_4)
	v_cvt_f16_u16_e64 v173, v173
	v_cvt_f16_u16_e64 v174, v183
	s_delay_alu instid0(VALU_DEP_1) | instskip(NEXT) | instid1(VALU_DEP_4)
	v_pack_b32_f16 v172, v172, v174
	v_cvt_f16_u16_e64 v174, v185
	s_delay_alu instid0(VALU_DEP_2) | instskip(NEXT) | instid1(VALU_DEP_2)
	v_pk_fma_f16 v172, v171, v172, v171 op_sel:[0,0,1] op_sel_hi:[0,1,1]
	v_pack_b32_f16 v173, v174, v173
	s_delay_alu instid0(VALU_DEP_1) | instskip(NEXT) | instid1(VALU_DEP_3)
	v_pk_fma_f16 v171, v171, v173, v171 op_sel:[0,0,1] op_sel_hi:[0,1,1]
	v_pk_fma_f16 v173, v28, v172, v182 op_sel:[1,0,0]
	v_add_co_u32 v182, vcc_lo, s9, v75
	v_add_co_ci_u32_e32 v183, vcc_lo, s15, v136, vcc_lo
	s_delay_alu instid0(VALU_DEP_4) | instskip(NEXT) | instid1(VALU_DEP_3)
	v_pk_fma_f16 v174, v28, v171, v27 op_sel:[1,0,0]
	v_add_co_u32 v27, vcc_lo, v182, v180
	s_delay_alu instid0(VALU_DEP_3) | instskip(NEXT) | instid1(VALU_DEP_2)
	v_add_co_ci_u32_e32 v28, vcc_lo, v183, v178, vcc_lo
	v_add_co_u32 v171, vcc_lo, v27, v128
	s_delay_alu instid0(VALU_DEP_2)
	v_add_co_ci_u32_e32 v172, vcc_lo, 0, v28, vcc_lo
	s_clause 0x1
	global_load_b32 v27, v[27:28], off
	global_load_b32 v171, v[171:172], off offset:4
	s_waitcnt vmcnt(0)
	v_ashrrev_i32_e32 v171, v111, v171
	s_delay_alu instid0(VALU_DEP_1) | instskip(SKIP_3) | instid1(VALU_DEP_4)
	v_lshrrev_b32_e32 v185, 8, v171
	v_and_b32_e32 v172, 15, v171
	v_lshrrev_b32_e32 v187, 16, v171
	v_bfe_u32 v171, v171, 24, 4
	v_and_b32_e32 v185, 15, v185
	s_delay_alu instid0(VALU_DEP_4) | instskip(NEXT) | instid1(VALU_DEP_4)
	v_cvt_f16_u16_e64 v28, v172
	v_and_b32_e32 v187, 15, v187
	s_delay_alu instid0(VALU_DEP_4) | instskip(NEXT) | instid1(VALU_DEP_4)
	v_cvt_f16_u16_e64 v171, v171
	v_cvt_f16_u16_e64 v172, v185
	s_delay_alu instid0(VALU_DEP_1) | instskip(NEXT) | instid1(VALU_DEP_4)
	v_pack_b32_f16 v28, v28, v172
	v_cvt_f16_u16_e64 v172, v187
	s_delay_alu instid0(VALU_DEP_2) | instskip(NEXT) | instid1(VALU_DEP_2)
	v_pk_fma_f16 v28, v27, v28, v27 op_sel:[0,0,1] op_sel_hi:[0,1,1]
	v_pack_b32_f16 v171, v172, v171
	s_delay_alu instid0(VALU_DEP_2) | instskip(NEXT) | instid1(VALU_DEP_2)
	v_pk_fma_f16 v184, v29, v28, v184 op_sel_hi:[0,1,1]
	v_pk_fma_f16 v27, v27, v171, v27 op_sel:[0,0,1] op_sel_hi:[0,1,1]
	s_delay_alu instid0(VALU_DEP_1) | instskip(SKIP_2) | instid1(VALU_DEP_2)
	v_pk_fma_f16 v185, v29, v27, v186 op_sel_hi:[0,1,1]
	v_add_co_u32 v27, vcc_lo, v182, v181
	v_add_co_ci_u32_e32 v28, vcc_lo, v183, v179, vcc_lo
	v_add_co_u32 v171, vcc_lo, v27, v131
	s_delay_alu instid0(VALU_DEP_2)
	v_add_co_ci_u32_e32 v172, vcc_lo, 0, v28, vcc_lo
	s_clause 0x1
	global_load_b32 v27, v[27:28], off
	global_load_b32 v171, v[171:172], off offset:4
	s_waitcnt vmcnt(0)
	v_ashrrev_i32_e32 v171, v111, v171
	s_delay_alu instid0(VALU_DEP_1) | instskip(SKIP_3) | instid1(VALU_DEP_4)
	v_lshrrev_b32_e32 v182, 8, v171
	v_and_b32_e32 v172, 15, v171
	v_lshrrev_b32_e32 v183, 16, v171
	v_bfe_u32 v171, v171, 24, 4
	v_and_b32_e32 v182, 15, v182
	s_delay_alu instid0(VALU_DEP_4) | instskip(NEXT) | instid1(VALU_DEP_4)
	v_cvt_f16_u16_e64 v28, v172
	v_and_b32_e32 v183, 15, v183
	s_delay_alu instid0(VALU_DEP_4) | instskip(NEXT) | instid1(VALU_DEP_4)
	v_cvt_f16_u16_e64 v171, v171
	v_cvt_f16_u16_e64 v172, v182
	v_add_co_u32 v182, vcc_lo, s9, v76
	s_delay_alu instid0(VALU_DEP_2) | instskip(SKIP_2) | instid1(VALU_DEP_3)
	v_pack_b32_f16 v28, v28, v172
	v_cvt_f16_u16_e64 v172, v183
	v_add_co_ci_u32_e32 v183, vcc_lo, s15, v137, vcc_lo
	v_pk_fma_f16 v28, v27, v28, v27 op_sel:[0,0,1] op_sel_hi:[0,1,1]
	s_delay_alu instid0(VALU_DEP_3) | instskip(NEXT) | instid1(VALU_DEP_2)
	v_pack_b32_f16 v171, v172, v171
	v_pk_fma_f16 v173, v29, v28, v173 op_sel_hi:[0,1,1]
	s_delay_alu instid0(VALU_DEP_2) | instskip(NEXT) | instid1(VALU_DEP_1)
	v_pk_fma_f16 v27, v27, v171, v27 op_sel:[0,0,1] op_sel_hi:[0,1,1]
	v_pk_fma_f16 v174, v29, v27, v174 op_sel_hi:[0,1,1]
	v_add_co_u32 v27, vcc_lo, v182, v180
	v_add_co_ci_u32_e32 v28, vcc_lo, v183, v178, vcc_lo
	s_delay_alu instid0(VALU_DEP_2) | instskip(NEXT) | instid1(VALU_DEP_2)
	v_add_co_u32 v171, vcc_lo, v27, v128
	v_add_co_ci_u32_e32 v172, vcc_lo, 0, v28, vcc_lo
	s_clause 0x1
	global_load_b32 v27, v[27:28], off
	global_load_b32 v171, v[171:172], off offset:4
	s_waitcnt vmcnt(0)
	v_ashrrev_i32_e32 v171, v111, v171
	s_delay_alu instid0(VALU_DEP_1) | instskip(SKIP_3) | instid1(VALU_DEP_4)
	v_lshrrev_b32_e32 v186, 8, v171
	v_and_b32_e32 v172, 15, v171
	v_lshrrev_b32_e32 v187, 16, v171
	v_bfe_u32 v171, v171, 24, 4
	v_and_b32_e32 v186, 15, v186
	s_delay_alu instid0(VALU_DEP_4) | instskip(NEXT) | instid1(VALU_DEP_4)
	v_cvt_f16_u16_e64 v28, v172
	v_and_b32_e32 v187, 15, v187
	s_delay_alu instid0(VALU_DEP_4) | instskip(NEXT) | instid1(VALU_DEP_4)
	v_cvt_f16_u16_e64 v171, v171
	v_cvt_f16_u16_e64 v172, v186
	s_delay_alu instid0(VALU_DEP_1) | instskip(NEXT) | instid1(VALU_DEP_4)
	v_pack_b32_f16 v28, v28, v172
	v_cvt_f16_u16_e64 v172, v187
	s_delay_alu instid0(VALU_DEP_2) | instskip(NEXT) | instid1(VALU_DEP_2)
	v_pk_fma_f16 v28, v27, v28, v27 op_sel:[0,0,1] op_sel_hi:[0,1,1]
	v_pack_b32_f16 v171, v172, v171
	s_delay_alu instid0(VALU_DEP_2) | instskip(NEXT) | instid1(VALU_DEP_2)
	v_pk_fma_f16 v184, v29, v28, v184 op_sel:[1,0,0]
	v_pk_fma_f16 v27, v27, v171, v27 op_sel:[0,0,1] op_sel_hi:[0,1,1]
	s_delay_alu instid0(VALU_DEP_1) | instskip(SKIP_2) | instid1(VALU_DEP_2)
	v_pk_fma_f16 v185, v29, v27, v185 op_sel:[1,0,0]
	v_add_co_u32 v27, vcc_lo, v182, v181
	v_add_co_ci_u32_e32 v28, vcc_lo, v183, v179, vcc_lo
	v_add_co_u32 v171, vcc_lo, v27, v131
	s_delay_alu instid0(VALU_DEP_2)
	v_add_co_ci_u32_e32 v172, vcc_lo, 0, v28, vcc_lo
	s_clause 0x1
	global_load_b32 v27, v[27:28], off
	global_load_b32 v171, v[171:172], off offset:4
	s_waitcnt vmcnt(0)
	v_ashrrev_i32_e32 v171, v111, v171
	s_delay_alu instid0(VALU_DEP_1) | instskip(SKIP_3) | instid1(VALU_DEP_4)
	v_lshrrev_b32_e32 v182, 8, v171
	v_and_b32_e32 v172, 15, v171
	v_lshrrev_b32_e32 v183, 16, v171
	v_bfe_u32 v171, v171, 24, 4
	v_and_b32_e32 v182, 15, v182
	s_delay_alu instid0(VALU_DEP_4) | instskip(NEXT) | instid1(VALU_DEP_4)
	v_cvt_f16_u16_e64 v28, v172
	v_and_b32_e32 v183, 15, v183
	s_delay_alu instid0(VALU_DEP_4) | instskip(NEXT) | instid1(VALU_DEP_4)
	v_cvt_f16_u16_e64 v171, v171
	v_cvt_f16_u16_e64 v172, v182
	s_delay_alu instid0(VALU_DEP_1) | instskip(NEXT) | instid1(VALU_DEP_4)
	v_pack_b32_f16 v28, v28, v172
	v_cvt_f16_u16_e64 v172, v183
	s_delay_alu instid0(VALU_DEP_2) | instskip(NEXT) | instid1(VALU_DEP_2)
	v_pk_fma_f16 v28, v27, v28, v27 op_sel:[0,0,1] op_sel_hi:[0,1,1]
	v_pack_b32_f16 v171, v172, v171
	s_delay_alu instid0(VALU_DEP_2) | instskip(NEXT) | instid1(VALU_DEP_2)
	v_pk_fma_f16 v173, v29, v28, v173 op_sel:[1,0,0]
	v_pk_fma_f16 v27, v27, v171, v27 op_sel:[0,0,1] op_sel_hi:[0,1,1]
	s_delay_alu instid0(VALU_DEP_1) | instskip(SKIP_2) | instid1(VALU_DEP_2)
	v_pk_fma_f16 v29, v29, v27, v174 op_sel:[1,0,0]
	v_add_co_u32 v174, vcc_lo, s9, v77
	v_add_co_ci_u32_e32 v182, vcc_lo, s15, v138, vcc_lo
	v_add_co_u32 v27, vcc_lo, v174, v180
	s_delay_alu instid0(VALU_DEP_2) | instskip(NEXT) | instid1(VALU_DEP_2)
	v_add_co_ci_u32_e32 v28, vcc_lo, v182, v178, vcc_lo
	v_add_co_u32 v171, vcc_lo, v27, v128
	s_delay_alu instid0(VALU_DEP_2)
	v_add_co_ci_u32_e32 v172, vcc_lo, 0, v28, vcc_lo
	s_clause 0x1
	global_load_b32 v27, v[27:28], off
	global_load_b32 v171, v[171:172], off offset:4
	s_waitcnt vmcnt(0)
	v_ashrrev_i32_e32 v171, v111, v171
	s_delay_alu instid0(VALU_DEP_1) | instskip(SKIP_3) | instid1(VALU_DEP_4)
	v_lshrrev_b32_e32 v183, 8, v171
	v_and_b32_e32 v172, 15, v171
	v_lshrrev_b32_e32 v186, 16, v171
	v_bfe_u32 v171, v171, 24, 4
	v_and_b32_e32 v183, 15, v183
	s_delay_alu instid0(VALU_DEP_4) | instskip(NEXT) | instid1(VALU_DEP_4)
	v_cvt_f16_u16_e64 v28, v172
	v_and_b32_e32 v186, 15, v186
	s_delay_alu instid0(VALU_DEP_4) | instskip(NEXT) | instid1(VALU_DEP_4)
	v_cvt_f16_u16_e64 v171, v171
	v_cvt_f16_u16_e64 v172, v183
	s_delay_alu instid0(VALU_DEP_1) | instskip(NEXT) | instid1(VALU_DEP_4)
	v_pack_b32_f16 v28, v28, v172
	v_cvt_f16_u16_e64 v172, v186
	s_delay_alu instid0(VALU_DEP_2) | instskip(NEXT) | instid1(VALU_DEP_2)
	v_pk_fma_f16 v28, v27, v28, v27 op_sel:[0,0,1] op_sel_hi:[0,1,1]
	v_pack_b32_f16 v171, v172, v171
	s_delay_alu instid0(VALU_DEP_2) | instskip(NEXT) | instid1(VALU_DEP_2)
	v_pk_fma_f16 v183, v30, v28, v184 op_sel_hi:[0,1,1]
	v_pk_fma_f16 v27, v27, v171, v27 op_sel:[0,0,1] op_sel_hi:[0,1,1]
	s_delay_alu instid0(VALU_DEP_1) | instskip(SKIP_2) | instid1(VALU_DEP_2)
	v_pk_fma_f16 v184, v30, v27, v185 op_sel_hi:[0,1,1]
	v_add_co_u32 v27, vcc_lo, v174, v181
	v_add_co_ci_u32_e32 v28, vcc_lo, v182, v179, vcc_lo
	v_add_co_u32 v171, vcc_lo, v27, v131
	s_delay_alu instid0(VALU_DEP_2)
	v_add_co_ci_u32_e32 v172, vcc_lo, 0, v28, vcc_lo
	s_clause 0x1
	global_load_b32 v27, v[27:28], off
	global_load_b32 v171, v[171:172], off offset:4
	s_waitcnt vmcnt(0)
	v_ashrrev_i32_e32 v171, v111, v171
	s_delay_alu instid0(VALU_DEP_1) | instskip(SKIP_3) | instid1(VALU_DEP_4)
	v_lshrrev_b32_e32 v174, 8, v171
	v_and_b32_e32 v172, 15, v171
	v_lshrrev_b32_e32 v182, 16, v171
	v_bfe_u32 v171, v171, 24, 4
	v_and_b32_e32 v174, 15, v174
	s_delay_alu instid0(VALU_DEP_4) | instskip(NEXT) | instid1(VALU_DEP_4)
	v_cvt_f16_u16_e64 v28, v172
	v_and_b32_e32 v182, 15, v182
	s_delay_alu instid0(VALU_DEP_4) | instskip(NEXT) | instid1(VALU_DEP_4)
	v_cvt_f16_u16_e64 v171, v171
	v_cvt_f16_u16_e64 v172, v174
	v_add_co_u32 v174, vcc_lo, s9, v79
	s_delay_alu instid0(VALU_DEP_2) | instskip(SKIP_2) | instid1(VALU_DEP_3)
	v_pack_b32_f16 v28, v28, v172
	v_cvt_f16_u16_e64 v172, v182
	v_add_co_ci_u32_e32 v182, vcc_lo, s15, v140, vcc_lo
	v_pk_fma_f16 v28, v27, v28, v27 op_sel:[0,0,1] op_sel_hi:[0,1,1]
	s_delay_alu instid0(VALU_DEP_3) | instskip(NEXT) | instid1(VALU_DEP_2)
	v_pack_b32_f16 v171, v172, v171
	v_pk_fma_f16 v173, v30, v28, v173 op_sel_hi:[0,1,1]
	s_delay_alu instid0(VALU_DEP_2) | instskip(NEXT) | instid1(VALU_DEP_1)
	v_pk_fma_f16 v27, v27, v171, v27 op_sel:[0,0,1] op_sel_hi:[0,1,1]
	v_pk_fma_f16 v29, v30, v27, v29 op_sel_hi:[0,1,1]
	v_add_co_u32 v27, vcc_lo, v174, v180
	v_add_co_ci_u32_e32 v28, vcc_lo, v182, v178, vcc_lo
	s_delay_alu instid0(VALU_DEP_2) | instskip(NEXT) | instid1(VALU_DEP_2)
	v_add_co_u32 v171, vcc_lo, v27, v128
	v_add_co_ci_u32_e32 v172, vcc_lo, 0, v28, vcc_lo
	s_clause 0x1
	global_load_b32 v27, v[27:28], off
	global_load_b32 v171, v[171:172], off offset:4
	s_waitcnt vmcnt(0)
	v_ashrrev_i32_e32 v171, v111, v171
	s_delay_alu instid0(VALU_DEP_1) | instskip(SKIP_3) | instid1(VALU_DEP_4)
	v_lshrrev_b32_e32 v185, 8, v171
	v_and_b32_e32 v172, 15, v171
	v_lshrrev_b32_e32 v186, 16, v171
	v_bfe_u32 v171, v171, 24, 4
	v_and_b32_e32 v185, 15, v185
	s_delay_alu instid0(VALU_DEP_4) | instskip(NEXT) | instid1(VALU_DEP_4)
	v_cvt_f16_u16_e64 v28, v172
	v_and_b32_e32 v186, 15, v186
	s_delay_alu instid0(VALU_DEP_4) | instskip(NEXT) | instid1(VALU_DEP_4)
	v_cvt_f16_u16_e64 v171, v171
	v_cvt_f16_u16_e64 v172, v185
	s_delay_alu instid0(VALU_DEP_1) | instskip(NEXT) | instid1(VALU_DEP_4)
	v_pack_b32_f16 v28, v28, v172
	v_cvt_f16_u16_e64 v172, v186
	s_delay_alu instid0(VALU_DEP_2) | instskip(NEXT) | instid1(VALU_DEP_2)
	v_pk_fma_f16 v28, v27, v28, v27 op_sel:[0,0,1] op_sel_hi:[0,1,1]
	v_pack_b32_f16 v171, v172, v171
	s_delay_alu instid0(VALU_DEP_2) | instskip(NEXT) | instid1(VALU_DEP_2)
	v_pk_fma_f16 v183, v30, v28, v183 op_sel:[1,0,0]
	v_pk_fma_f16 v27, v27, v171, v27 op_sel:[0,0,1] op_sel_hi:[0,1,1]
	s_delay_alu instid0(VALU_DEP_1) | instskip(SKIP_2) | instid1(VALU_DEP_2)
	v_pk_fma_f16 v184, v30, v27, v184 op_sel:[1,0,0]
	v_add_co_u32 v27, vcc_lo, v174, v181
	v_add_co_ci_u32_e32 v28, vcc_lo, v182, v179, vcc_lo
	v_add_co_u32 v171, vcc_lo, v27, v131
	s_delay_alu instid0(VALU_DEP_2)
	v_add_co_ci_u32_e32 v172, vcc_lo, 0, v28, vcc_lo
	s_clause 0x1
	global_load_b32 v27, v[27:28], off
	global_load_b32 v171, v[171:172], off offset:4
	s_waitcnt vmcnt(0)
	v_ashrrev_i32_e32 v171, v111, v171
	s_delay_alu instid0(VALU_DEP_1) | instskip(SKIP_3) | instid1(VALU_DEP_4)
	v_lshrrev_b32_e32 v174, 8, v171
	v_and_b32_e32 v172, 15, v171
	v_lshrrev_b32_e32 v182, 16, v171
	v_bfe_u32 v171, v171, 24, 4
	v_and_b32_e32 v174, 15, v174
	s_delay_alu instid0(VALU_DEP_4) | instskip(NEXT) | instid1(VALU_DEP_4)
	v_cvt_f16_u16_e64 v28, v172
	v_and_b32_e32 v182, 15, v182
	s_delay_alu instid0(VALU_DEP_4) | instskip(NEXT) | instid1(VALU_DEP_4)
	v_cvt_f16_u16_e64 v171, v171
	v_cvt_f16_u16_e64 v172, v174
	s_delay_alu instid0(VALU_DEP_1) | instskip(NEXT) | instid1(VALU_DEP_4)
	v_pack_b32_f16 v28, v28, v172
	v_cvt_f16_u16_e64 v172, v182
	s_delay_alu instid0(VALU_DEP_2) | instskip(NEXT) | instid1(VALU_DEP_2)
	v_pk_fma_f16 v28, v27, v28, v27 op_sel:[0,0,1] op_sel_hi:[0,1,1]
	v_pack_b32_f16 v171, v172, v171
	s_delay_alu instid0(VALU_DEP_1) | instskip(NEXT) | instid1(VALU_DEP_3)
	v_pk_fma_f16 v27, v27, v171, v27 op_sel:[0,0,1] op_sel_hi:[0,1,1]
	v_pk_fma_f16 v171, v30, v28, v173 op_sel:[1,0,0]
	v_add_co_u32 v173, vcc_lo, s9, v82
	v_add_co_ci_u32_e32 v174, vcc_lo, s15, v141, vcc_lo
	s_delay_alu instid0(VALU_DEP_4) | instskip(NEXT) | instid1(VALU_DEP_3)
	v_pk_fma_f16 v172, v30, v27, v29 op_sel:[1,0,0]
	v_add_co_u32 v27, vcc_lo, v173, v180
	s_delay_alu instid0(VALU_DEP_3) | instskip(NEXT) | instid1(VALU_DEP_2)
	v_add_co_ci_u32_e32 v28, vcc_lo, v174, v178, vcc_lo
	v_add_co_u32 v29, vcc_lo, v27, v128
	s_delay_alu instid0(VALU_DEP_2)
	v_add_co_ci_u32_e32 v30, vcc_lo, 0, v28, vcc_lo
	s_clause 0x1
	global_load_b32 v27, v[27:28], off
	global_load_b32 v29, v[29:30], off offset:4
	s_waitcnt vmcnt(0)
	v_ashrrev_i32_e32 v29, v111, v29
	s_delay_alu instid0(VALU_DEP_1) | instskip(SKIP_3) | instid1(VALU_DEP_4)
	v_lshrrev_b32_e32 v182, 8, v29
	v_and_b32_e32 v30, 15, v29
	v_lshrrev_b32_e32 v185, 16, v29
	v_bfe_u32 v29, v29, 24, 4
	v_and_b32_e32 v182, 15, v182
	s_delay_alu instid0(VALU_DEP_4) | instskip(NEXT) | instid1(VALU_DEP_4)
	v_cvt_f16_u16_e32 v28, v30
	v_and_b32_e32 v185, 15, v185
	s_delay_alu instid0(VALU_DEP_4) | instskip(NEXT) | instid1(VALU_DEP_4)
	v_cvt_f16_u16_e32 v29, v29
	v_cvt_f16_u16_e64 v30, v182
	s_delay_alu instid0(VALU_DEP_1) | instskip(NEXT) | instid1(VALU_DEP_4)
	v_pack_b32_f16 v28, v28, v30
	v_cvt_f16_u16_e64 v30, v185
	s_delay_alu instid0(VALU_DEP_2) | instskip(NEXT) | instid1(VALU_DEP_2)
	v_pk_fma_f16 v28, v27, v28, v27 op_sel:[0,0,1] op_sel_hi:[0,1,1]
	v_pack_b32_f16 v29, v30, v29
	s_waitcnt lgkmcnt(2)
	s_delay_alu instid0(VALU_DEP_2) | instskip(NEXT) | instid1(VALU_DEP_2)
	v_pk_fma_f16 v182, v23, v28, v183 op_sel_hi:[0,1,1]
	v_pk_fma_f16 v27, v27, v29, v27 op_sel:[0,0,1] op_sel_hi:[0,1,1]
	s_delay_alu instid0(VALU_DEP_1) | instskip(SKIP_2) | instid1(VALU_DEP_2)
	v_pk_fma_f16 v183, v23, v27, v184 op_sel_hi:[0,1,1]
	v_add_co_u32 v27, vcc_lo, v173, v181
	v_add_co_ci_u32_e32 v28, vcc_lo, v174, v179, vcc_lo
	v_add_co_u32 v29, vcc_lo, v27, v131
	s_delay_alu instid0(VALU_DEP_2)
	v_add_co_ci_u32_e32 v30, vcc_lo, 0, v28, vcc_lo
	s_clause 0x1
	global_load_b32 v27, v[27:28], off
	global_load_b32 v29, v[29:30], off offset:4
	s_waitcnt vmcnt(0)
	v_ashrrev_i32_e32 v29, v111, v29
	s_delay_alu instid0(VALU_DEP_1) | instskip(SKIP_3) | instid1(VALU_DEP_4)
	v_lshrrev_b32_e32 v173, 8, v29
	v_and_b32_e32 v30, 15, v29
	v_lshrrev_b32_e32 v174, 16, v29
	v_bfe_u32 v29, v29, 24, 4
	v_and_b32_e32 v173, 15, v173
	s_delay_alu instid0(VALU_DEP_4) | instskip(NEXT) | instid1(VALU_DEP_4)
	v_cvt_f16_u16_e32 v28, v30
	v_and_b32_e32 v174, 15, v174
	s_delay_alu instid0(VALU_DEP_4) | instskip(NEXT) | instid1(VALU_DEP_4)
	v_cvt_f16_u16_e32 v29, v29
	v_cvt_f16_u16_e64 v30, v173
	v_add_co_u32 v173, vcc_lo, s9, v86
	s_delay_alu instid0(VALU_DEP_2) | instskip(SKIP_2) | instid1(VALU_DEP_3)
	v_pack_b32_f16 v28, v28, v30
	v_cvt_f16_u16_e64 v30, v174
	v_add_co_ci_u32_e32 v174, vcc_lo, s15, v142, vcc_lo
	v_pk_fma_f16 v28, v27, v28, v27 op_sel:[0,0,1] op_sel_hi:[0,1,1]
	s_delay_alu instid0(VALU_DEP_3) | instskip(NEXT) | instid1(VALU_DEP_2)
	v_pack_b32_f16 v29, v30, v29
	v_pk_fma_f16 v171, v23, v28, v171 op_sel_hi:[0,1,1]
	s_delay_alu instid0(VALU_DEP_2) | instskip(NEXT) | instid1(VALU_DEP_1)
	v_pk_fma_f16 v27, v27, v29, v27 op_sel:[0,0,1] op_sel_hi:[0,1,1]
	v_pk_fma_f16 v172, v23, v27, v172 op_sel_hi:[0,1,1]
	v_add_co_u32 v27, vcc_lo, v173, v180
	v_add_co_ci_u32_e32 v28, vcc_lo, v174, v178, vcc_lo
	s_delay_alu instid0(VALU_DEP_2) | instskip(NEXT) | instid1(VALU_DEP_2)
	v_add_co_u32 v29, vcc_lo, v27, v128
	v_add_co_ci_u32_e32 v30, vcc_lo, 0, v28, vcc_lo
	s_clause 0x1
	global_load_b32 v27, v[27:28], off
	global_load_b32 v29, v[29:30], off offset:4
	s_waitcnt vmcnt(0)
	v_ashrrev_i32_e32 v29, v111, v29
	s_delay_alu instid0(VALU_DEP_1) | instskip(SKIP_3) | instid1(VALU_DEP_4)
	v_lshrrev_b32_e32 v184, 8, v29
	v_and_b32_e32 v30, 15, v29
	v_lshrrev_b32_e32 v185, 16, v29
	v_bfe_u32 v29, v29, 24, 4
	v_and_b32_e32 v184, 15, v184
	s_delay_alu instid0(VALU_DEP_4) | instskip(NEXT) | instid1(VALU_DEP_4)
	v_cvt_f16_u16_e32 v28, v30
	v_and_b32_e32 v185, 15, v185
	s_delay_alu instid0(VALU_DEP_4) | instskip(NEXT) | instid1(VALU_DEP_4)
	v_cvt_f16_u16_e32 v29, v29
	v_cvt_f16_u16_e64 v30, v184
	s_delay_alu instid0(VALU_DEP_1) | instskip(NEXT) | instid1(VALU_DEP_4)
	v_pack_b32_f16 v28, v28, v30
	v_cvt_f16_u16_e64 v30, v185
	s_delay_alu instid0(VALU_DEP_2) | instskip(NEXT) | instid1(VALU_DEP_2)
	v_pk_fma_f16 v28, v27, v28, v27 op_sel:[0,0,1] op_sel_hi:[0,1,1]
	v_pack_b32_f16 v29, v30, v29
	s_delay_alu instid0(VALU_DEP_2) | instskip(NEXT) | instid1(VALU_DEP_2)
	v_pk_fma_f16 v182, v23, v28, v182 op_sel:[1,0,0]
	v_pk_fma_f16 v27, v27, v29, v27 op_sel:[0,0,1] op_sel_hi:[0,1,1]
	s_delay_alu instid0(VALU_DEP_1) | instskip(SKIP_2) | instid1(VALU_DEP_2)
	v_pk_fma_f16 v183, v23, v27, v183 op_sel:[1,0,0]
	v_add_co_u32 v27, vcc_lo, v173, v181
	v_add_co_ci_u32_e32 v28, vcc_lo, v174, v179, vcc_lo
	v_add_co_u32 v29, vcc_lo, v27, v131
	s_delay_alu instid0(VALU_DEP_2)
	v_add_co_ci_u32_e32 v30, vcc_lo, 0, v28, vcc_lo
	s_clause 0x1
	global_load_b32 v27, v[27:28], off
	global_load_b32 v29, v[29:30], off offset:4
	s_waitcnt vmcnt(0)
	v_ashrrev_i32_e32 v29, v111, v29
	s_delay_alu instid0(VALU_DEP_1) | instskip(SKIP_3) | instid1(VALU_DEP_4)
	v_lshrrev_b32_e32 v173, 8, v29
	v_and_b32_e32 v30, 15, v29
	v_lshrrev_b32_e32 v174, 16, v29
	v_bfe_u32 v29, v29, 24, 4
	v_and_b32_e32 v173, 15, v173
	s_delay_alu instid0(VALU_DEP_4) | instskip(NEXT) | instid1(VALU_DEP_4)
	v_cvt_f16_u16_e32 v28, v30
	v_and_b32_e32 v174, 15, v174
	s_delay_alu instid0(VALU_DEP_4) | instskip(NEXT) | instid1(VALU_DEP_4)
	v_cvt_f16_u16_e32 v29, v29
	v_cvt_f16_u16_e64 v30, v173
	s_delay_alu instid0(VALU_DEP_1) | instskip(NEXT) | instid1(VALU_DEP_4)
	v_pack_b32_f16 v28, v28, v30
	v_cvt_f16_u16_e64 v30, v174
	s_delay_alu instid0(VALU_DEP_2) | instskip(NEXT) | instid1(VALU_DEP_2)
	v_pk_fma_f16 v28, v27, v28, v27 op_sel:[0,0,1] op_sel_hi:[0,1,1]
	v_pack_b32_f16 v29, v30, v29
	s_delay_alu instid0(VALU_DEP_2) | instskip(NEXT) | instid1(VALU_DEP_2)
	v_pk_fma_f16 v171, v23, v28, v171 op_sel:[1,0,0]
	v_pk_fma_f16 v27, v27, v29, v27 op_sel:[0,0,1] op_sel_hi:[0,1,1]
	s_delay_alu instid0(VALU_DEP_1) | instskip(SKIP_2) | instid1(VALU_DEP_2)
	v_pk_fma_f16 v23, v23, v27, v172 op_sel:[1,0,0]
	v_add_co_u32 v172, vcc_lo, s9, v88
	v_add_co_ci_u32_e32 v173, vcc_lo, s15, v143, vcc_lo
	v_add_co_u32 v27, vcc_lo, v172, v180
	s_delay_alu instid0(VALU_DEP_2) | instskip(NEXT) | instid1(VALU_DEP_2)
	v_add_co_ci_u32_e32 v28, vcc_lo, v173, v178, vcc_lo
	v_add_co_u32 v29, vcc_lo, v27, v128
	s_delay_alu instid0(VALU_DEP_2)
	v_add_co_ci_u32_e32 v30, vcc_lo, 0, v28, vcc_lo
	s_clause 0x1
	global_load_b32 v27, v[27:28], off
	global_load_b32 v29, v[29:30], off offset:4
	s_waitcnt vmcnt(0)
	v_ashrrev_i32_e32 v29, v111, v29
	s_delay_alu instid0(VALU_DEP_1) | instskip(SKIP_3) | instid1(VALU_DEP_4)
	v_lshrrev_b32_e32 v174, 8, v29
	v_and_b32_e32 v30, 15, v29
	v_lshrrev_b32_e32 v184, 16, v29
	v_bfe_u32 v29, v29, 24, 4
	v_and_b32_e32 v174, 15, v174
	s_delay_alu instid0(VALU_DEP_4) | instskip(NEXT) | instid1(VALU_DEP_4)
	v_cvt_f16_u16_e32 v28, v30
	v_and_b32_e32 v184, 15, v184
	s_delay_alu instid0(VALU_DEP_4) | instskip(NEXT) | instid1(VALU_DEP_4)
	v_cvt_f16_u16_e32 v29, v29
	v_cvt_f16_u16_e64 v30, v174
	s_delay_alu instid0(VALU_DEP_1) | instskip(NEXT) | instid1(VALU_DEP_4)
	v_pack_b32_f16 v28, v28, v30
	v_cvt_f16_u16_e64 v30, v184
	s_delay_alu instid0(VALU_DEP_2) | instskip(NEXT) | instid1(VALU_DEP_2)
	v_pk_fma_f16 v28, v27, v28, v27 op_sel:[0,0,1] op_sel_hi:[0,1,1]
	v_pack_b32_f16 v29, v30, v29
	s_delay_alu instid0(VALU_DEP_2) | instskip(NEXT) | instid1(VALU_DEP_2)
	v_pk_fma_f16 v174, v24, v28, v182 op_sel_hi:[0,1,1]
	v_pk_fma_f16 v27, v27, v29, v27 op_sel:[0,0,1] op_sel_hi:[0,1,1]
	s_delay_alu instid0(VALU_DEP_1) | instskip(SKIP_2) | instid1(VALU_DEP_2)
	v_pk_fma_f16 v182, v24, v27, v183 op_sel_hi:[0,1,1]
	v_add_co_u32 v27, vcc_lo, v172, v181
	v_add_co_ci_u32_e32 v28, vcc_lo, v173, v179, vcc_lo
	v_add_co_u32 v29, vcc_lo, v27, v131
	s_delay_alu instid0(VALU_DEP_2)
	v_add_co_ci_u32_e32 v30, vcc_lo, 0, v28, vcc_lo
	s_clause 0x1
	global_load_b32 v27, v[27:28], off
	global_load_b32 v29, v[29:30], off offset:4
	s_waitcnt vmcnt(0)
	v_ashrrev_i32_e32 v29, v111, v29
	s_delay_alu instid0(VALU_DEP_1) | instskip(SKIP_3) | instid1(VALU_DEP_4)
	v_lshrrev_b32_e32 v172, 8, v29
	v_and_b32_e32 v30, 15, v29
	v_lshrrev_b32_e32 v173, 16, v29
	v_bfe_u32 v29, v29, 24, 4
	v_and_b32_e32 v172, 15, v172
	s_delay_alu instid0(VALU_DEP_4) | instskip(NEXT) | instid1(VALU_DEP_4)
	v_cvt_f16_u16_e32 v28, v30
	v_and_b32_e32 v173, 15, v173
	s_delay_alu instid0(VALU_DEP_4) | instskip(NEXT) | instid1(VALU_DEP_4)
	v_cvt_f16_u16_e32 v29, v29
	v_cvt_f16_u16_e64 v30, v172
	v_add_co_u32 v172, vcc_lo, s9, v92
	s_delay_alu instid0(VALU_DEP_2) | instskip(SKIP_2) | instid1(VALU_DEP_3)
	v_pack_b32_f16 v28, v28, v30
	v_cvt_f16_u16_e64 v30, v173
	v_add_co_ci_u32_e32 v173, vcc_lo, s15, v145, vcc_lo
	v_pk_fma_f16 v28, v27, v28, v27 op_sel:[0,0,1] op_sel_hi:[0,1,1]
	s_delay_alu instid0(VALU_DEP_3) | instskip(NEXT) | instid1(VALU_DEP_2)
	v_pack_b32_f16 v29, v30, v29
	v_pk_fma_f16 v171, v24, v28, v171 op_sel_hi:[0,1,1]
	s_delay_alu instid0(VALU_DEP_2) | instskip(NEXT) | instid1(VALU_DEP_1)
	v_pk_fma_f16 v27, v27, v29, v27 op_sel:[0,0,1] op_sel_hi:[0,1,1]
	v_pk_fma_f16 v23, v24, v27, v23 op_sel_hi:[0,1,1]
	v_add_co_u32 v27, vcc_lo, v172, v180
	v_add_co_ci_u32_e32 v28, vcc_lo, v173, v178, vcc_lo
	s_delay_alu instid0(VALU_DEP_2) | instskip(NEXT) | instid1(VALU_DEP_2)
	v_add_co_u32 v29, vcc_lo, v27, v128
	v_add_co_ci_u32_e32 v30, vcc_lo, 0, v28, vcc_lo
	s_clause 0x1
	global_load_b32 v27, v[27:28], off
	global_load_b32 v29, v[29:30], off offset:4
	s_waitcnt vmcnt(0)
	v_ashrrev_i32_e32 v29, v111, v29
	s_delay_alu instid0(VALU_DEP_1) | instskip(SKIP_3) | instid1(VALU_DEP_4)
	v_lshrrev_b32_e32 v183, 8, v29
	v_and_b32_e32 v30, 15, v29
	v_lshrrev_b32_e32 v184, 16, v29
	v_bfe_u32 v29, v29, 24, 4
	v_and_b32_e32 v183, 15, v183
	s_delay_alu instid0(VALU_DEP_4) | instskip(NEXT) | instid1(VALU_DEP_4)
	v_cvt_f16_u16_e32 v28, v30
	v_and_b32_e32 v184, 15, v184
	s_delay_alu instid0(VALU_DEP_4) | instskip(NEXT) | instid1(VALU_DEP_4)
	v_cvt_f16_u16_e32 v29, v29
	v_cvt_f16_u16_e64 v30, v183
	s_delay_alu instid0(VALU_DEP_1) | instskip(NEXT) | instid1(VALU_DEP_4)
	v_pack_b32_f16 v28, v28, v30
	v_cvt_f16_u16_e64 v30, v184
	s_delay_alu instid0(VALU_DEP_2) | instskip(NEXT) | instid1(VALU_DEP_2)
	v_pk_fma_f16 v28, v27, v28, v27 op_sel:[0,0,1] op_sel_hi:[0,1,1]
	v_pack_b32_f16 v29, v30, v29
	s_delay_alu instid0(VALU_DEP_2) | instskip(NEXT) | instid1(VALU_DEP_2)
	v_pk_fma_f16 v174, v24, v28, v174 op_sel:[1,0,0]
	v_pk_fma_f16 v27, v27, v29, v27 op_sel:[0,0,1] op_sel_hi:[0,1,1]
	s_delay_alu instid0(VALU_DEP_1) | instskip(SKIP_2) | instid1(VALU_DEP_2)
	v_pk_fma_f16 v182, v24, v27, v182 op_sel:[1,0,0]
	v_add_co_u32 v27, vcc_lo, v172, v181
	v_add_co_ci_u32_e32 v28, vcc_lo, v173, v179, vcc_lo
	v_add_co_u32 v29, vcc_lo, v27, v131
	s_delay_alu instid0(VALU_DEP_2)
	v_add_co_ci_u32_e32 v30, vcc_lo, 0, v28, vcc_lo
	s_clause 0x1
	global_load_b32 v27, v[27:28], off
	global_load_b32 v29, v[29:30], off offset:4
	s_waitcnt vmcnt(0)
	v_ashrrev_i32_e32 v29, v111, v29
	s_delay_alu instid0(VALU_DEP_1) | instskip(SKIP_3) | instid1(VALU_DEP_4)
	v_lshrrev_b32_e32 v172, 8, v29
	v_and_b32_e32 v30, 15, v29
	v_lshrrev_b32_e32 v173, 16, v29
	v_bfe_u32 v29, v29, 24, 4
	v_and_b32_e32 v172, 15, v172
	s_delay_alu instid0(VALU_DEP_4) | instskip(NEXT) | instid1(VALU_DEP_4)
	v_cvt_f16_u16_e32 v28, v30
	v_and_b32_e32 v173, 15, v173
	s_delay_alu instid0(VALU_DEP_4) | instskip(NEXT) | instid1(VALU_DEP_4)
	v_cvt_f16_u16_e32 v29, v29
	v_cvt_f16_u16_e64 v30, v172
	s_delay_alu instid0(VALU_DEP_1) | instskip(NEXT) | instid1(VALU_DEP_4)
	v_pack_b32_f16 v28, v28, v30
	v_cvt_f16_u16_e64 v30, v173
	s_delay_alu instid0(VALU_DEP_2) | instskip(NEXT) | instid1(VALU_DEP_2)
	v_pk_fma_f16 v28, v27, v28, v27 op_sel:[0,0,1] op_sel_hi:[0,1,1]
	v_pack_b32_f16 v29, v30, v29
	s_delay_alu instid0(VALU_DEP_1) | instskip(NEXT) | instid1(VALU_DEP_3)
	v_pk_fma_f16 v27, v27, v29, v27 op_sel:[0,0,1] op_sel_hi:[0,1,1]
	v_pk_fma_f16 v29, v24, v28, v171 op_sel:[1,0,0]
	v_add_co_u32 v171, vcc_lo, s9, v94
	v_add_co_ci_u32_e32 v172, vcc_lo, s15, v146, vcc_lo
	s_delay_alu instid0(VALU_DEP_4) | instskip(NEXT) | instid1(VALU_DEP_3)
	v_pk_fma_f16 v30, v24, v27, v23 op_sel:[1,0,0]
	v_add_co_u32 v23, vcc_lo, v171, v180
	s_delay_alu instid0(VALU_DEP_3) | instskip(NEXT) | instid1(VALU_DEP_2)
	v_add_co_ci_u32_e32 v24, vcc_lo, v172, v178, vcc_lo
	v_add_co_u32 v27, vcc_lo, v23, v128
	s_delay_alu instid0(VALU_DEP_2)
	v_add_co_ci_u32_e32 v28, vcc_lo, 0, v24, vcc_lo
	s_clause 0x1
	global_load_b32 v23, v[23:24], off
	global_load_b32 v27, v[27:28], off offset:4
	s_waitcnt vmcnt(0)
	v_ashrrev_i32_e32 v27, v111, v27
	s_delay_alu instid0(VALU_DEP_1) | instskip(SKIP_3) | instid1(VALU_DEP_4)
	v_lshrrev_b32_e32 v173, 8, v27
	v_and_b32_e32 v28, 15, v27
	v_lshrrev_b32_e32 v183, 16, v27
	v_bfe_u32 v27, v27, 24, 4
	v_and_b32_e32 v173, 15, v173
	s_delay_alu instid0(VALU_DEP_4) | instskip(NEXT) | instid1(VALU_DEP_4)
	v_cvt_f16_u16_e32 v24, v28
	v_and_b32_e32 v183, 15, v183
	s_delay_alu instid0(VALU_DEP_4) | instskip(NEXT) | instid1(VALU_DEP_4)
	v_cvt_f16_u16_e32 v27, v27
	v_cvt_f16_u16_e64 v28, v173
	s_delay_alu instid0(VALU_DEP_1) | instskip(NEXT) | instid1(VALU_DEP_4)
	v_pack_b32_f16 v24, v24, v28
	v_cvt_f16_u16_e64 v28, v183
	s_delay_alu instid0(VALU_DEP_2) | instskip(NEXT) | instid1(VALU_DEP_2)
	v_pk_fma_f16 v24, v23, v24, v23 op_sel:[0,0,1] op_sel_hi:[0,1,1]
	v_pack_b32_f16 v27, v28, v27
	s_delay_alu instid0(VALU_DEP_2) | instskip(NEXT) | instid1(VALU_DEP_2)
	v_pk_fma_f16 v173, v25, v24, v174 op_sel_hi:[0,1,1]
	v_pk_fma_f16 v23, v23, v27, v23 op_sel:[0,0,1] op_sel_hi:[0,1,1]
	s_delay_alu instid0(VALU_DEP_1) | instskip(SKIP_2) | instid1(VALU_DEP_2)
	v_pk_fma_f16 v174, v25, v23, v182 op_sel_hi:[0,1,1]
	v_add_co_u32 v23, vcc_lo, v171, v181
	v_add_co_ci_u32_e32 v24, vcc_lo, v172, v179, vcc_lo
	v_add_co_u32 v27, vcc_lo, v23, v131
	s_delay_alu instid0(VALU_DEP_2)
	v_add_co_ci_u32_e32 v28, vcc_lo, 0, v24, vcc_lo
	s_clause 0x1
	global_load_b32 v23, v[23:24], off
	global_load_b32 v27, v[27:28], off offset:4
	s_waitcnt vmcnt(0)
	v_ashrrev_i32_e32 v27, v111, v27
	s_delay_alu instid0(VALU_DEP_1) | instskip(SKIP_3) | instid1(VALU_DEP_4)
	v_lshrrev_b32_e32 v171, 8, v27
	v_and_b32_e32 v28, 15, v27
	v_lshrrev_b32_e32 v172, 16, v27
	v_bfe_u32 v27, v27, 24, 4
	v_and_b32_e32 v171, 15, v171
	s_delay_alu instid0(VALU_DEP_4) | instskip(NEXT) | instid1(VALU_DEP_4)
	v_cvt_f16_u16_e32 v24, v28
	v_and_b32_e32 v172, 15, v172
	s_delay_alu instid0(VALU_DEP_4) | instskip(NEXT) | instid1(VALU_DEP_4)
	v_cvt_f16_u16_e32 v27, v27
	v_cvt_f16_u16_e64 v28, v171
	v_add_co_u32 v171, vcc_lo, s9, v98
	s_delay_alu instid0(VALU_DEP_2) | instskip(SKIP_2) | instid1(VALU_DEP_3)
	v_pack_b32_f16 v24, v24, v28
	v_cvt_f16_u16_e64 v28, v172
	v_add_co_ci_u32_e32 v172, vcc_lo, s15, v147, vcc_lo
	v_pk_fma_f16 v24, v23, v24, v23 op_sel:[0,0,1] op_sel_hi:[0,1,1]
	s_delay_alu instid0(VALU_DEP_3) | instskip(NEXT) | instid1(VALU_DEP_2)
	v_pack_b32_f16 v27, v28, v27
	v_pk_fma_f16 v29, v25, v24, v29 op_sel_hi:[0,1,1]
	s_delay_alu instid0(VALU_DEP_2) | instskip(NEXT) | instid1(VALU_DEP_1)
	v_pk_fma_f16 v23, v23, v27, v23 op_sel:[0,0,1] op_sel_hi:[0,1,1]
	v_pk_fma_f16 v30, v25, v23, v30 op_sel_hi:[0,1,1]
	v_add_co_u32 v23, vcc_lo, v171, v180
	v_add_co_ci_u32_e32 v24, vcc_lo, v172, v178, vcc_lo
	s_delay_alu instid0(VALU_DEP_2) | instskip(NEXT) | instid1(VALU_DEP_2)
	v_add_co_u32 v27, vcc_lo, v23, v128
	v_add_co_ci_u32_e32 v28, vcc_lo, 0, v24, vcc_lo
	s_clause 0x1
	global_load_b32 v23, v[23:24], off
	global_load_b32 v27, v[27:28], off offset:4
	s_waitcnt vmcnt(0)
	v_ashrrev_i32_e32 v27, v111, v27
	s_delay_alu instid0(VALU_DEP_1) | instskip(SKIP_3) | instid1(VALU_DEP_4)
	v_lshrrev_b32_e32 v182, 8, v27
	v_and_b32_e32 v28, 15, v27
	v_lshrrev_b32_e32 v183, 16, v27
	v_bfe_u32 v27, v27, 24, 4
	v_and_b32_e32 v182, 15, v182
	s_delay_alu instid0(VALU_DEP_4) | instskip(NEXT) | instid1(VALU_DEP_4)
	v_cvt_f16_u16_e32 v24, v28
	v_and_b32_e32 v183, 15, v183
	s_delay_alu instid0(VALU_DEP_4) | instskip(NEXT) | instid1(VALU_DEP_4)
	v_cvt_f16_u16_e32 v27, v27
	v_cvt_f16_u16_e64 v28, v182
	s_delay_alu instid0(VALU_DEP_1) | instskip(NEXT) | instid1(VALU_DEP_4)
	v_pack_b32_f16 v24, v24, v28
	v_cvt_f16_u16_e64 v28, v183
	s_delay_alu instid0(VALU_DEP_2) | instskip(NEXT) | instid1(VALU_DEP_2)
	v_pk_fma_f16 v24, v23, v24, v23 op_sel:[0,0,1] op_sel_hi:[0,1,1]
	v_pack_b32_f16 v27, v28, v27
	s_delay_alu instid0(VALU_DEP_2) | instskip(NEXT) | instid1(VALU_DEP_2)
	v_pk_fma_f16 v173, v25, v24, v173 op_sel:[1,0,0]
	v_pk_fma_f16 v23, v23, v27, v23 op_sel:[0,0,1] op_sel_hi:[0,1,1]
	s_delay_alu instid0(VALU_DEP_1) | instskip(SKIP_2) | instid1(VALU_DEP_2)
	v_pk_fma_f16 v174, v25, v23, v174 op_sel:[1,0,0]
	v_add_co_u32 v23, vcc_lo, v171, v181
	v_add_co_ci_u32_e32 v24, vcc_lo, v172, v179, vcc_lo
	v_add_co_u32 v27, vcc_lo, v23, v131
	s_delay_alu instid0(VALU_DEP_2)
	v_add_co_ci_u32_e32 v28, vcc_lo, 0, v24, vcc_lo
	s_clause 0x1
	global_load_b32 v23, v[23:24], off
	global_load_b32 v27, v[27:28], off offset:4
	s_waitcnt vmcnt(0)
	v_ashrrev_i32_e32 v27, v111, v27
	s_delay_alu instid0(VALU_DEP_1) | instskip(SKIP_3) | instid1(VALU_DEP_4)
	v_lshrrev_b32_e32 v171, 8, v27
	v_and_b32_e32 v28, 15, v27
	v_lshrrev_b32_e32 v172, 16, v27
	v_bfe_u32 v27, v27, 24, 4
	v_and_b32_e32 v171, 15, v171
	s_delay_alu instid0(VALU_DEP_4) | instskip(NEXT) | instid1(VALU_DEP_4)
	v_cvt_f16_u16_e32 v24, v28
	v_and_b32_e32 v172, 15, v172
	s_delay_alu instid0(VALU_DEP_4) | instskip(NEXT) | instid1(VALU_DEP_4)
	v_cvt_f16_u16_e32 v27, v27
	v_cvt_f16_u16_e64 v28, v171
	s_delay_alu instid0(VALU_DEP_1) | instskip(NEXT) | instid1(VALU_DEP_4)
	v_pack_b32_f16 v24, v24, v28
	v_cvt_f16_u16_e64 v28, v172
	s_delay_alu instid0(VALU_DEP_2) | instskip(NEXT) | instid1(VALU_DEP_2)
	v_pk_fma_f16 v24, v23, v24, v23 op_sel:[0,0,1] op_sel_hi:[0,1,1]
	v_pack_b32_f16 v27, v28, v27
	s_delay_alu instid0(VALU_DEP_2) | instskip(NEXT) | instid1(VALU_DEP_2)
	v_pk_fma_f16 v29, v25, v24, v29 op_sel:[1,0,0]
	v_pk_fma_f16 v23, v23, v27, v23 op_sel:[0,0,1] op_sel_hi:[0,1,1]
	s_delay_alu instid0(VALU_DEP_1) | instskip(SKIP_2) | instid1(VALU_DEP_2)
	v_pk_fma_f16 v25, v25, v23, v30 op_sel:[1,0,0]
	v_add_co_u32 v30, vcc_lo, s9, v100
	v_add_co_ci_u32_e32 v171, vcc_lo, s15, v148, vcc_lo
	v_add_co_u32 v23, vcc_lo, v30, v180
	s_delay_alu instid0(VALU_DEP_2) | instskip(NEXT) | instid1(VALU_DEP_2)
	v_add_co_ci_u32_e32 v24, vcc_lo, v171, v178, vcc_lo
	v_add_co_u32 v27, vcc_lo, v23, v128
	s_delay_alu instid0(VALU_DEP_2)
	v_add_co_ci_u32_e32 v28, vcc_lo, 0, v24, vcc_lo
	s_clause 0x1
	global_load_b32 v23, v[23:24], off
	global_load_b32 v27, v[27:28], off offset:4
	s_waitcnt vmcnt(0)
	v_ashrrev_i32_e32 v27, v111, v27
	s_delay_alu instid0(VALU_DEP_1) | instskip(SKIP_3) | instid1(VALU_DEP_4)
	v_lshrrev_b32_e32 v172, 8, v27
	v_and_b32_e32 v28, 15, v27
	v_lshrrev_b32_e32 v182, 16, v27
	v_bfe_u32 v27, v27, 24, 4
	v_and_b32_e32 v172, 15, v172
	s_delay_alu instid0(VALU_DEP_4) | instskip(NEXT) | instid1(VALU_DEP_4)
	v_cvt_f16_u16_e32 v24, v28
	v_and_b32_e32 v182, 15, v182
	s_delay_alu instid0(VALU_DEP_4) | instskip(NEXT) | instid1(VALU_DEP_4)
	v_cvt_f16_u16_e32 v27, v27
	v_cvt_f16_u16_e64 v28, v172
	s_delay_alu instid0(VALU_DEP_1) | instskip(NEXT) | instid1(VALU_DEP_4)
	v_pack_b32_f16 v24, v24, v28
	v_cvt_f16_u16_e64 v28, v182
	s_delay_alu instid0(VALU_DEP_2) | instskip(NEXT) | instid1(VALU_DEP_2)
	v_pk_fma_f16 v24, v23, v24, v23 op_sel:[0,0,1] op_sel_hi:[0,1,1]
	v_pack_b32_f16 v27, v28, v27
	s_delay_alu instid0(VALU_DEP_2) | instskip(NEXT) | instid1(VALU_DEP_2)
	v_pk_fma_f16 v172, v26, v24, v173 op_sel_hi:[0,1,1]
	v_pk_fma_f16 v23, v23, v27, v23 op_sel:[0,0,1] op_sel_hi:[0,1,1]
	s_delay_alu instid0(VALU_DEP_1) | instskip(SKIP_2) | instid1(VALU_DEP_2)
	v_pk_fma_f16 v173, v26, v23, v174 op_sel_hi:[0,1,1]
	v_add_co_u32 v23, vcc_lo, v30, v181
	v_add_co_ci_u32_e32 v24, vcc_lo, v171, v179, vcc_lo
	v_add_co_u32 v27, vcc_lo, v23, v131
	s_delay_alu instid0(VALU_DEP_2)
	v_add_co_ci_u32_e32 v28, vcc_lo, 0, v24, vcc_lo
	s_clause 0x1
	global_load_b32 v23, v[23:24], off
	global_load_b32 v27, v[27:28], off offset:4
	s_waitcnt vmcnt(0)
	v_ashrrev_i32_e32 v27, v111, v27
	s_delay_alu instid0(VALU_DEP_1) | instskip(SKIP_3) | instid1(VALU_DEP_4)
	v_lshrrev_b32_e32 v30, 8, v27
	v_and_b32_e32 v28, 15, v27
	v_lshrrev_b32_e32 v171, 16, v27
	v_bfe_u32 v27, v27, 24, 4
	v_and_b32_e32 v30, 15, v30
	s_delay_alu instid0(VALU_DEP_4) | instskip(NEXT) | instid1(VALU_DEP_4)
	v_cvt_f16_u16_e32 v24, v28
	v_and_b32_e32 v171, 15, v171
	s_delay_alu instid0(VALU_DEP_4) | instskip(NEXT) | instid1(VALU_DEP_4)
	v_cvt_f16_u16_e32 v27, v27
	v_cvt_f16_u16_e32 v28, v30
	v_add_co_u32 v30, vcc_lo, s9, v103
	s_delay_alu instid0(VALU_DEP_2) | instskip(SKIP_2) | instid1(VALU_DEP_3)
	v_pack_b32_f16 v24, v24, v28
	v_cvt_f16_u16_e64 v28, v171
	v_add_co_ci_u32_e32 v171, vcc_lo, s15, v150, vcc_lo
	v_pk_fma_f16 v24, v23, v24, v23 op_sel:[0,0,1] op_sel_hi:[0,1,1]
	s_delay_alu instid0(VALU_DEP_3) | instskip(NEXT) | instid1(VALU_DEP_2)
	v_pack_b32_f16 v27, v28, v27
	v_pk_fma_f16 v29, v26, v24, v29 op_sel_hi:[0,1,1]
	s_delay_alu instid0(VALU_DEP_2) | instskip(NEXT) | instid1(VALU_DEP_1)
	v_pk_fma_f16 v23, v23, v27, v23 op_sel:[0,0,1] op_sel_hi:[0,1,1]
	v_pk_fma_f16 v25, v26, v23, v25 op_sel_hi:[0,1,1]
	v_add_co_u32 v23, vcc_lo, v30, v180
	v_add_co_ci_u32_e32 v24, vcc_lo, v171, v178, vcc_lo
	s_delay_alu instid0(VALU_DEP_2) | instskip(NEXT) | instid1(VALU_DEP_2)
	v_add_co_u32 v27, vcc_lo, v23, v128
	v_add_co_ci_u32_e32 v28, vcc_lo, 0, v24, vcc_lo
	s_clause 0x1
	global_load_b32 v23, v[23:24], off
	global_load_b32 v27, v[27:28], off offset:4
	s_waitcnt vmcnt(0)
	v_ashrrev_i32_e32 v27, v111, v27
	s_delay_alu instid0(VALU_DEP_1) | instskip(SKIP_3) | instid1(VALU_DEP_4)
	v_lshrrev_b32_e32 v174, 8, v27
	v_and_b32_e32 v28, 15, v27
	v_lshrrev_b32_e32 v182, 16, v27
	v_bfe_u32 v27, v27, 24, 4
	v_and_b32_e32 v174, 15, v174
	s_delay_alu instid0(VALU_DEP_4) | instskip(NEXT) | instid1(VALU_DEP_4)
	v_cvt_f16_u16_e32 v24, v28
	v_and_b32_e32 v182, 15, v182
	s_delay_alu instid0(VALU_DEP_4) | instskip(NEXT) | instid1(VALU_DEP_4)
	v_cvt_f16_u16_e32 v27, v27
	v_cvt_f16_u16_e64 v28, v174
	s_delay_alu instid0(VALU_DEP_1) | instskip(NEXT) | instid1(VALU_DEP_4)
	v_pack_b32_f16 v24, v24, v28
	v_cvt_f16_u16_e64 v28, v182
	s_delay_alu instid0(VALU_DEP_2) | instskip(NEXT) | instid1(VALU_DEP_2)
	v_pk_fma_f16 v24, v23, v24, v23 op_sel:[0,0,1] op_sel_hi:[0,1,1]
	v_pack_b32_f16 v27, v28, v27
	s_delay_alu instid0(VALU_DEP_2) | instskip(NEXT) | instid1(VALU_DEP_2)
	v_pk_fma_f16 v172, v26, v24, v172 op_sel:[1,0,0]
	v_pk_fma_f16 v23, v23, v27, v23 op_sel:[0,0,1] op_sel_hi:[0,1,1]
	s_delay_alu instid0(VALU_DEP_1) | instskip(SKIP_2) | instid1(VALU_DEP_2)
	v_pk_fma_f16 v173, v26, v23, v173 op_sel:[1,0,0]
	v_add_co_u32 v23, vcc_lo, v30, v181
	v_add_co_ci_u32_e32 v24, vcc_lo, v171, v179, vcc_lo
	v_add_co_u32 v27, vcc_lo, v23, v131
	s_delay_alu instid0(VALU_DEP_2)
	v_add_co_ci_u32_e32 v28, vcc_lo, 0, v24, vcc_lo
	s_clause 0x1
	global_load_b32 v23, v[23:24], off
	global_load_b32 v27, v[27:28], off offset:4
	s_waitcnt vmcnt(0)
	v_ashrrev_i32_e32 v27, v111, v27
	s_delay_alu instid0(VALU_DEP_1) | instskip(SKIP_3) | instid1(VALU_DEP_4)
	v_lshrrev_b32_e32 v30, 8, v27
	v_and_b32_e32 v28, 15, v27
	v_lshrrev_b32_e32 v171, 16, v27
	v_bfe_u32 v27, v27, 24, 4
	v_and_b32_e32 v30, 15, v30
	s_delay_alu instid0(VALU_DEP_4) | instskip(NEXT) | instid1(VALU_DEP_4)
	v_cvt_f16_u16_e32 v24, v28
	v_and_b32_e32 v171, 15, v171
	s_delay_alu instid0(VALU_DEP_4) | instskip(NEXT) | instid1(VALU_DEP_4)
	v_cvt_f16_u16_e32 v27, v27
	v_cvt_f16_u16_e32 v28, v30
	s_delay_alu instid0(VALU_DEP_1) | instskip(NEXT) | instid1(VALU_DEP_4)
	v_pack_b32_f16 v24, v24, v28
	v_cvt_f16_u16_e64 v28, v171
	s_delay_alu instid0(VALU_DEP_2) | instskip(NEXT) | instid1(VALU_DEP_2)
	v_pk_fma_f16 v24, v23, v24, v23 op_sel:[0,0,1] op_sel_hi:[0,1,1]
	v_pack_b32_f16 v27, v28, v27
	s_delay_alu instid0(VALU_DEP_1) | instskip(NEXT) | instid1(VALU_DEP_3)
	v_pk_fma_f16 v23, v23, v27, v23 op_sel:[0,0,1] op_sel_hi:[0,1,1]
	v_pk_fma_f16 v27, v26, v24, v29 op_sel:[1,0,0]
	v_add_co_u32 v29, vcc_lo, s9, v105
	v_add_co_ci_u32_e32 v30, vcc_lo, s15, v151, vcc_lo
	s_delay_alu instid0(VALU_DEP_4) | instskip(NEXT) | instid1(VALU_DEP_3)
	v_pk_fma_f16 v28, v26, v23, v25 op_sel:[1,0,0]
	v_add_co_u32 v23, vcc_lo, v29, v180
	s_delay_alu instid0(VALU_DEP_3) | instskip(NEXT) | instid1(VALU_DEP_2)
	v_add_co_ci_u32_e32 v24, vcc_lo, v30, v178, vcc_lo
	v_add_co_u32 v25, vcc_lo, v23, v128
	s_delay_alu instid0(VALU_DEP_2)
	v_add_co_ci_u32_e32 v26, vcc_lo, 0, v24, vcc_lo
	s_clause 0x1
	global_load_b32 v23, v[23:24], off
	global_load_b32 v25, v[25:26], off offset:4
	s_waitcnt vmcnt(0)
	v_ashrrev_i32_e32 v25, v111, v25
	s_delay_alu instid0(VALU_DEP_1) | instskip(SKIP_3) | instid1(VALU_DEP_4)
	v_lshrrev_b32_e32 v171, 8, v25
	v_and_b32_e32 v26, 15, v25
	v_lshrrev_b32_e32 v174, 16, v25
	v_bfe_u32 v25, v25, 24, 4
	v_and_b32_e32 v171, 15, v171
	s_delay_alu instid0(VALU_DEP_4) | instskip(NEXT) | instid1(VALU_DEP_4)
	v_cvt_f16_u16_e32 v24, v26
	v_and_b32_e32 v174, 15, v174
	s_delay_alu instid0(VALU_DEP_4) | instskip(NEXT) | instid1(VALU_DEP_4)
	v_cvt_f16_u16_e32 v25, v25
	v_cvt_f16_u16_e64 v26, v171
	s_delay_alu instid0(VALU_DEP_1) | instskip(NEXT) | instid1(VALU_DEP_4)
	v_pack_b32_f16 v24, v24, v26
	v_cvt_f16_u16_e64 v26, v174
	s_delay_alu instid0(VALU_DEP_2) | instskip(NEXT) | instid1(VALU_DEP_2)
	v_pk_fma_f16 v24, v23, v24, v23 op_sel:[0,0,1] op_sel_hi:[0,1,1]
	v_pack_b32_f16 v25, v26, v25
	s_waitcnt lgkmcnt(1)
	s_delay_alu instid0(VALU_DEP_2) | instskip(NEXT) | instid1(VALU_DEP_2)
	v_pk_fma_f16 v171, v19, v24, v172 op_sel_hi:[0,1,1]
	v_pk_fma_f16 v23, v23, v25, v23 op_sel:[0,0,1] op_sel_hi:[0,1,1]
	s_delay_alu instid0(VALU_DEP_1) | instskip(SKIP_2) | instid1(VALU_DEP_2)
	v_pk_fma_f16 v172, v19, v23, v173 op_sel_hi:[0,1,1]
	v_add_co_u32 v23, vcc_lo, v29, v181
	v_add_co_ci_u32_e32 v24, vcc_lo, v30, v179, vcc_lo
	v_add_co_u32 v25, vcc_lo, v23, v131
	s_delay_alu instid0(VALU_DEP_2)
	v_add_co_ci_u32_e32 v26, vcc_lo, 0, v24, vcc_lo
	s_clause 0x1
	global_load_b32 v23, v[23:24], off
	global_load_b32 v25, v[25:26], off offset:4
	s_waitcnt vmcnt(0)
	v_ashrrev_i32_e32 v25, v111, v25
	s_delay_alu instid0(VALU_DEP_1) | instskip(SKIP_3) | instid1(VALU_DEP_4)
	v_lshrrev_b32_e32 v29, 8, v25
	v_and_b32_e32 v26, 15, v25
	v_lshrrev_b32_e32 v30, 16, v25
	v_bfe_u32 v25, v25, 24, 4
	v_and_b32_e32 v29, 15, v29
	s_delay_alu instid0(VALU_DEP_4) | instskip(NEXT) | instid1(VALU_DEP_4)
	v_cvt_f16_u16_e32 v24, v26
	v_and_b32_e32 v30, 15, v30
	s_delay_alu instid0(VALU_DEP_4) | instskip(NEXT) | instid1(VALU_DEP_4)
	v_cvt_f16_u16_e32 v25, v25
	v_cvt_f16_u16_e32 v26, v29
	v_add_co_u32 v29, vcc_lo, s9, v109
	s_delay_alu instid0(VALU_DEP_2) | instskip(SKIP_2) | instid1(VALU_DEP_3)
	v_pack_b32_f16 v24, v24, v26
	v_cvt_f16_u16_e32 v26, v30
	v_add_co_ci_u32_e32 v30, vcc_lo, s15, v152, vcc_lo
	v_pk_fma_f16 v24, v23, v24, v23 op_sel:[0,0,1] op_sel_hi:[0,1,1]
	s_delay_alu instid0(VALU_DEP_3) | instskip(NEXT) | instid1(VALU_DEP_2)
	v_pack_b32_f16 v25, v26, v25
	v_pk_fma_f16 v27, v19, v24, v27 op_sel_hi:[0,1,1]
	s_delay_alu instid0(VALU_DEP_2) | instskip(NEXT) | instid1(VALU_DEP_1)
	v_pk_fma_f16 v23, v23, v25, v23 op_sel:[0,0,1] op_sel_hi:[0,1,1]
	v_pk_fma_f16 v28, v19, v23, v28 op_sel_hi:[0,1,1]
	v_add_co_u32 v23, vcc_lo, v29, v180
	v_add_co_ci_u32_e32 v24, vcc_lo, v30, v178, vcc_lo
	s_delay_alu instid0(VALU_DEP_2) | instskip(NEXT) | instid1(VALU_DEP_2)
	v_add_co_u32 v25, vcc_lo, v23, v128
	v_add_co_ci_u32_e32 v26, vcc_lo, 0, v24, vcc_lo
	s_clause 0x1
	global_load_b32 v23, v[23:24], off
	global_load_b32 v25, v[25:26], off offset:4
	s_waitcnt vmcnt(0)
	v_ashrrev_i32_e32 v25, v111, v25
	s_delay_alu instid0(VALU_DEP_1) | instskip(SKIP_3) | instid1(VALU_DEP_4)
	v_lshrrev_b32_e32 v173, 8, v25
	v_and_b32_e32 v26, 15, v25
	v_lshrrev_b32_e32 v174, 16, v25
	v_bfe_u32 v25, v25, 24, 4
	v_and_b32_e32 v173, 15, v173
	s_delay_alu instid0(VALU_DEP_4) | instskip(NEXT) | instid1(VALU_DEP_4)
	v_cvt_f16_u16_e32 v24, v26
	v_and_b32_e32 v174, 15, v174
	s_delay_alu instid0(VALU_DEP_4) | instskip(NEXT) | instid1(VALU_DEP_4)
	v_cvt_f16_u16_e32 v25, v25
	v_cvt_f16_u16_e64 v26, v173
	s_delay_alu instid0(VALU_DEP_1) | instskip(NEXT) | instid1(VALU_DEP_4)
	v_pack_b32_f16 v24, v24, v26
	v_cvt_f16_u16_e64 v26, v174
	s_delay_alu instid0(VALU_DEP_2) | instskip(NEXT) | instid1(VALU_DEP_2)
	v_pk_fma_f16 v24, v23, v24, v23 op_sel:[0,0,1] op_sel_hi:[0,1,1]
	v_pack_b32_f16 v25, v26, v25
	s_delay_alu instid0(VALU_DEP_2) | instskip(NEXT) | instid1(VALU_DEP_2)
	v_pk_fma_f16 v171, v19, v24, v171 op_sel:[1,0,0]
	v_pk_fma_f16 v23, v23, v25, v23 op_sel:[0,0,1] op_sel_hi:[0,1,1]
	s_delay_alu instid0(VALU_DEP_1) | instskip(SKIP_2) | instid1(VALU_DEP_2)
	v_pk_fma_f16 v172, v19, v23, v172 op_sel:[1,0,0]
	v_add_co_u32 v23, vcc_lo, v29, v181
	v_add_co_ci_u32_e32 v24, vcc_lo, v30, v179, vcc_lo
	v_add_co_u32 v25, vcc_lo, v23, v131
	s_delay_alu instid0(VALU_DEP_2)
	v_add_co_ci_u32_e32 v26, vcc_lo, 0, v24, vcc_lo
	s_clause 0x1
	global_load_b32 v23, v[23:24], off
	global_load_b32 v25, v[25:26], off offset:4
	s_waitcnt vmcnt(0)
	v_ashrrev_i32_e32 v25, v111, v25
	s_delay_alu instid0(VALU_DEP_1) | instskip(SKIP_3) | instid1(VALU_DEP_4)
	v_lshrrev_b32_e32 v29, 8, v25
	v_and_b32_e32 v26, 15, v25
	v_lshrrev_b32_e32 v30, 16, v25
	v_bfe_u32 v25, v25, 24, 4
	v_and_b32_e32 v29, 15, v29
	s_delay_alu instid0(VALU_DEP_4) | instskip(NEXT) | instid1(VALU_DEP_4)
	v_cvt_f16_u16_e32 v24, v26
	v_and_b32_e32 v30, 15, v30
	s_delay_alu instid0(VALU_DEP_4) | instskip(NEXT) | instid1(VALU_DEP_4)
	v_cvt_f16_u16_e32 v25, v25
	v_cvt_f16_u16_e32 v26, v29
	s_delay_alu instid0(VALU_DEP_1) | instskip(NEXT) | instid1(VALU_DEP_4)
	v_pack_b32_f16 v24, v24, v26
	v_cvt_f16_u16_e32 v26, v30
	s_delay_alu instid0(VALU_DEP_2) | instskip(NEXT) | instid1(VALU_DEP_2)
	v_pk_fma_f16 v24, v23, v24, v23 op_sel:[0,0,1] op_sel_hi:[0,1,1]
	v_pack_b32_f16 v25, v26, v25
	s_delay_alu instid0(VALU_DEP_2) | instskip(NEXT) | instid1(VALU_DEP_2)
	v_pk_fma_f16 v27, v19, v24, v27 op_sel:[1,0,0]
	v_pk_fma_f16 v23, v23, v25, v23 op_sel:[0,0,1] op_sel_hi:[0,1,1]
	s_delay_alu instid0(VALU_DEP_1) | instskip(SKIP_2) | instid1(VALU_DEP_2)
	v_pk_fma_f16 v19, v19, v23, v28 op_sel:[1,0,0]
	v_add_co_u32 v28, vcc_lo, s9, v112
	v_add_co_ci_u32_e32 v29, vcc_lo, s15, v153, vcc_lo
	v_add_co_u32 v23, vcc_lo, v28, v180
	s_delay_alu instid0(VALU_DEP_2) | instskip(NEXT) | instid1(VALU_DEP_2)
	v_add_co_ci_u32_e32 v24, vcc_lo, v29, v178, vcc_lo
	v_add_co_u32 v25, vcc_lo, v23, v128
	s_delay_alu instid0(VALU_DEP_2)
	v_add_co_ci_u32_e32 v26, vcc_lo, 0, v24, vcc_lo
	s_clause 0x1
	global_load_b32 v23, v[23:24], off
	global_load_b32 v25, v[25:26], off offset:4
	s_waitcnt vmcnt(0)
	v_ashrrev_i32_e32 v25, v111, v25
	s_delay_alu instid0(VALU_DEP_1) | instskip(SKIP_3) | instid1(VALU_DEP_4)
	v_lshrrev_b32_e32 v30, 8, v25
	v_and_b32_e32 v26, 15, v25
	v_lshrrev_b32_e32 v173, 16, v25
	v_bfe_u32 v25, v25, 24, 4
	v_and_b32_e32 v30, 15, v30
	s_delay_alu instid0(VALU_DEP_4) | instskip(NEXT) | instid1(VALU_DEP_4)
	v_cvt_f16_u16_e32 v24, v26
	v_and_b32_e32 v173, 15, v173
	s_delay_alu instid0(VALU_DEP_4) | instskip(NEXT) | instid1(VALU_DEP_4)
	v_cvt_f16_u16_e32 v25, v25
	v_cvt_f16_u16_e32 v26, v30
	s_delay_alu instid0(VALU_DEP_1) | instskip(NEXT) | instid1(VALU_DEP_4)
	v_pack_b32_f16 v24, v24, v26
	v_cvt_f16_u16_e64 v26, v173
	s_delay_alu instid0(VALU_DEP_2) | instskip(NEXT) | instid1(VALU_DEP_2)
	v_pk_fma_f16 v24, v23, v24, v23 op_sel:[0,0,1] op_sel_hi:[0,1,1]
	v_pack_b32_f16 v25, v26, v25
	s_delay_alu instid0(VALU_DEP_2) | instskip(NEXT) | instid1(VALU_DEP_2)
	v_pk_fma_f16 v30, v20, v24, v171 op_sel_hi:[0,1,1]
	v_pk_fma_f16 v23, v23, v25, v23 op_sel:[0,0,1] op_sel_hi:[0,1,1]
	s_delay_alu instid0(VALU_DEP_1) | instskip(SKIP_2) | instid1(VALU_DEP_2)
	v_pk_fma_f16 v171, v20, v23, v172 op_sel_hi:[0,1,1]
	v_add_co_u32 v23, vcc_lo, v28, v181
	v_add_co_ci_u32_e32 v24, vcc_lo, v29, v179, vcc_lo
	v_add_co_u32 v25, vcc_lo, v23, v131
	s_delay_alu instid0(VALU_DEP_2)
	v_add_co_ci_u32_e32 v26, vcc_lo, 0, v24, vcc_lo
	s_clause 0x1
	global_load_b32 v23, v[23:24], off
	global_load_b32 v25, v[25:26], off offset:4
	s_waitcnt vmcnt(0)
	v_ashrrev_i32_e32 v25, v111, v25
	s_delay_alu instid0(VALU_DEP_1) | instskip(SKIP_3) | instid1(VALU_DEP_4)
	v_lshrrev_b32_e32 v28, 8, v25
	v_and_b32_e32 v26, 15, v25
	v_lshrrev_b32_e32 v29, 16, v25
	v_bfe_u32 v25, v25, 24, 4
	v_and_b32_e32 v28, 15, v28
	s_delay_alu instid0(VALU_DEP_4) | instskip(NEXT) | instid1(VALU_DEP_4)
	v_cvt_f16_u16_e32 v24, v26
	v_and_b32_e32 v29, 15, v29
	s_delay_alu instid0(VALU_DEP_4) | instskip(NEXT) | instid1(VALU_DEP_4)
	v_cvt_f16_u16_e32 v25, v25
	v_cvt_f16_u16_e32 v26, v28
	v_add_co_u32 v28, vcc_lo, s9, v115
	s_delay_alu instid0(VALU_DEP_2) | instskip(SKIP_2) | instid1(VALU_DEP_3)
	v_pack_b32_f16 v24, v24, v26
	v_cvt_f16_u16_e32 v26, v29
	v_add_co_ci_u32_e32 v29, vcc_lo, s15, v155, vcc_lo
	v_pk_fma_f16 v24, v23, v24, v23 op_sel:[0,0,1] op_sel_hi:[0,1,1]
	s_delay_alu instid0(VALU_DEP_3) | instskip(NEXT) | instid1(VALU_DEP_2)
	v_pack_b32_f16 v25, v26, v25
	v_pk_fma_f16 v27, v20, v24, v27 op_sel_hi:[0,1,1]
	s_delay_alu instid0(VALU_DEP_2) | instskip(NEXT) | instid1(VALU_DEP_1)
	v_pk_fma_f16 v23, v23, v25, v23 op_sel:[0,0,1] op_sel_hi:[0,1,1]
	v_pk_fma_f16 v19, v20, v23, v19 op_sel_hi:[0,1,1]
	v_add_co_u32 v23, vcc_lo, v28, v180
	v_add_co_ci_u32_e32 v24, vcc_lo, v29, v178, vcc_lo
	s_delay_alu instid0(VALU_DEP_2) | instskip(NEXT) | instid1(VALU_DEP_2)
	v_add_co_u32 v25, vcc_lo, v23, v128
	v_add_co_ci_u32_e32 v26, vcc_lo, 0, v24, vcc_lo
	s_clause 0x1
	global_load_b32 v23, v[23:24], off
	global_load_b32 v25, v[25:26], off offset:4
	s_waitcnt vmcnt(0)
	v_ashrrev_i32_e32 v25, v111, v25
	s_delay_alu instid0(VALU_DEP_1) | instskip(SKIP_3) | instid1(VALU_DEP_4)
	v_lshrrev_b32_e32 v172, 8, v25
	v_and_b32_e32 v26, 15, v25
	v_lshrrev_b32_e32 v173, 16, v25
	v_bfe_u32 v25, v25, 24, 4
	v_and_b32_e32 v172, 15, v172
	s_delay_alu instid0(VALU_DEP_4) | instskip(NEXT) | instid1(VALU_DEP_4)
	v_cvt_f16_u16_e32 v24, v26
	v_and_b32_e32 v173, 15, v173
	s_delay_alu instid0(VALU_DEP_4) | instskip(NEXT) | instid1(VALU_DEP_4)
	v_cvt_f16_u16_e32 v25, v25
	v_cvt_f16_u16_e64 v26, v172
	s_delay_alu instid0(VALU_DEP_1) | instskip(NEXT) | instid1(VALU_DEP_4)
	v_pack_b32_f16 v24, v24, v26
	v_cvt_f16_u16_e64 v26, v173
	s_delay_alu instid0(VALU_DEP_2) | instskip(NEXT) | instid1(VALU_DEP_2)
	v_pk_fma_f16 v24, v23, v24, v23 op_sel:[0,0,1] op_sel_hi:[0,1,1]
	v_pack_b32_f16 v25, v26, v25
	s_delay_alu instid0(VALU_DEP_2) | instskip(NEXT) | instid1(VALU_DEP_2)
	v_pk_fma_f16 v30, v20, v24, v30 op_sel:[1,0,0]
	v_pk_fma_f16 v23, v23, v25, v23 op_sel:[0,0,1] op_sel_hi:[0,1,1]
	s_delay_alu instid0(VALU_DEP_1) | instskip(SKIP_2) | instid1(VALU_DEP_2)
	v_pk_fma_f16 v171, v20, v23, v171 op_sel:[1,0,0]
	v_add_co_u32 v23, vcc_lo, v28, v181
	v_add_co_ci_u32_e32 v24, vcc_lo, v29, v179, vcc_lo
	v_add_co_u32 v25, vcc_lo, v23, v131
	s_delay_alu instid0(VALU_DEP_2)
	v_add_co_ci_u32_e32 v26, vcc_lo, 0, v24, vcc_lo
	s_clause 0x1
	global_load_b32 v23, v[23:24], off
	global_load_b32 v25, v[25:26], off offset:4
	s_waitcnt vmcnt(0)
	v_ashrrev_i32_e32 v25, v111, v25
	s_delay_alu instid0(VALU_DEP_1) | instskip(SKIP_3) | instid1(VALU_DEP_4)
	v_lshrrev_b32_e32 v28, 8, v25
	v_and_b32_e32 v26, 15, v25
	v_lshrrev_b32_e32 v29, 16, v25
	v_bfe_u32 v25, v25, 24, 4
	v_and_b32_e32 v28, 15, v28
	s_delay_alu instid0(VALU_DEP_4) | instskip(NEXT) | instid1(VALU_DEP_4)
	v_cvt_f16_u16_e32 v24, v26
	v_and_b32_e32 v29, 15, v29
	s_delay_alu instid0(VALU_DEP_4) | instskip(NEXT) | instid1(VALU_DEP_4)
	v_cvt_f16_u16_e32 v25, v25
	v_cvt_f16_u16_e32 v26, v28
	s_delay_alu instid0(VALU_DEP_1) | instskip(NEXT) | instid1(VALU_DEP_4)
	v_pack_b32_f16 v24, v24, v26
	v_cvt_f16_u16_e32 v26, v29
	s_delay_alu instid0(VALU_DEP_2) | instskip(NEXT) | instid1(VALU_DEP_2)
	v_pk_fma_f16 v24, v23, v24, v23 op_sel:[0,0,1] op_sel_hi:[0,1,1]
	v_pack_b32_f16 v25, v26, v25
	s_delay_alu instid0(VALU_DEP_1) | instskip(NEXT) | instid1(VALU_DEP_3)
	v_pk_fma_f16 v23, v23, v25, v23 op_sel:[0,0,1] op_sel_hi:[0,1,1]
	v_pk_fma_f16 v25, v20, v24, v27 op_sel:[1,0,0]
	v_add_co_u32 v27, vcc_lo, s9, v117
	v_add_co_ci_u32_e32 v28, vcc_lo, s15, v156, vcc_lo
	s_delay_alu instid0(VALU_DEP_4) | instskip(NEXT) | instid1(VALU_DEP_3)
	v_pk_fma_f16 v26, v20, v23, v19 op_sel:[1,0,0]
	v_add_co_u32 v19, vcc_lo, v27, v180
	s_delay_alu instid0(VALU_DEP_3) | instskip(NEXT) | instid1(VALU_DEP_2)
	v_add_co_ci_u32_e32 v20, vcc_lo, v28, v178, vcc_lo
	v_add_co_u32 v23, vcc_lo, v19, v128
	s_delay_alu instid0(VALU_DEP_2)
	v_add_co_ci_u32_e32 v24, vcc_lo, 0, v20, vcc_lo
	s_clause 0x1
	global_load_b32 v19, v[19:20], off
	global_load_b32 v23, v[23:24], off offset:4
	s_waitcnt vmcnt(0)
	v_ashrrev_i32_e32 v23, v111, v23
	s_delay_alu instid0(VALU_DEP_1) | instskip(SKIP_3) | instid1(VALU_DEP_4)
	v_lshrrev_b32_e32 v29, 8, v23
	v_and_b32_e32 v24, 15, v23
	v_lshrrev_b32_e32 v172, 16, v23
	v_bfe_u32 v23, v23, 24, 4
	v_and_b32_e32 v29, 15, v29
	s_delay_alu instid0(VALU_DEP_4) | instskip(NEXT) | instid1(VALU_DEP_4)
	v_cvt_f16_u16_e32 v20, v24
	v_and_b32_e32 v172, 15, v172
	s_delay_alu instid0(VALU_DEP_4) | instskip(NEXT) | instid1(VALU_DEP_4)
	v_cvt_f16_u16_e32 v23, v23
	v_cvt_f16_u16_e32 v24, v29
	s_delay_alu instid0(VALU_DEP_1) | instskip(NEXT) | instid1(VALU_DEP_4)
	v_pack_b32_f16 v20, v20, v24
	v_cvt_f16_u16_e64 v24, v172
	s_delay_alu instid0(VALU_DEP_2) | instskip(NEXT) | instid1(VALU_DEP_2)
	v_pk_fma_f16 v20, v19, v20, v19 op_sel:[0,0,1] op_sel_hi:[0,1,1]
	v_pack_b32_f16 v23, v24, v23
	s_delay_alu instid0(VALU_DEP_2) | instskip(NEXT) | instid1(VALU_DEP_2)
	v_pk_fma_f16 v29, v21, v20, v30 op_sel_hi:[0,1,1]
	v_pk_fma_f16 v19, v19, v23, v19 op_sel:[0,0,1] op_sel_hi:[0,1,1]
	s_delay_alu instid0(VALU_DEP_1) | instskip(SKIP_2) | instid1(VALU_DEP_2)
	v_pk_fma_f16 v30, v21, v19, v171 op_sel_hi:[0,1,1]
	v_add_co_u32 v19, vcc_lo, v27, v181
	v_add_co_ci_u32_e32 v20, vcc_lo, v28, v179, vcc_lo
	v_add_co_u32 v23, vcc_lo, v19, v131
	s_delay_alu instid0(VALU_DEP_2)
	v_add_co_ci_u32_e32 v24, vcc_lo, 0, v20, vcc_lo
	s_clause 0x1
	global_load_b32 v19, v[19:20], off
	global_load_b32 v23, v[23:24], off offset:4
	s_waitcnt vmcnt(0)
	v_ashrrev_i32_e32 v23, v111, v23
	s_delay_alu instid0(VALU_DEP_1) | instskip(SKIP_3) | instid1(VALU_DEP_4)
	v_lshrrev_b32_e32 v27, 8, v23
	v_and_b32_e32 v24, 15, v23
	v_lshrrev_b32_e32 v28, 16, v23
	v_bfe_u32 v23, v23, 24, 4
	v_and_b32_e32 v27, 15, v27
	s_delay_alu instid0(VALU_DEP_4) | instskip(NEXT) | instid1(VALU_DEP_4)
	v_cvt_f16_u16_e32 v20, v24
	v_and_b32_e32 v28, 15, v28
	s_delay_alu instid0(VALU_DEP_4) | instskip(NEXT) | instid1(VALU_DEP_4)
	v_cvt_f16_u16_e32 v23, v23
	v_cvt_f16_u16_e32 v24, v27
	v_add_co_u32 v27, vcc_lo, s9, v118
	s_delay_alu instid0(VALU_DEP_2) | instskip(SKIP_2) | instid1(VALU_DEP_3)
	v_pack_b32_f16 v20, v20, v24
	v_cvt_f16_u16_e32 v24, v28
	v_add_co_ci_u32_e32 v28, vcc_lo, s15, v157, vcc_lo
	v_pk_fma_f16 v20, v19, v20, v19 op_sel:[0,0,1] op_sel_hi:[0,1,1]
	s_delay_alu instid0(VALU_DEP_3) | instskip(NEXT) | instid1(VALU_DEP_2)
	v_pack_b32_f16 v23, v24, v23
	v_pk_fma_f16 v25, v21, v20, v25 op_sel_hi:[0,1,1]
	s_delay_alu instid0(VALU_DEP_2) | instskip(NEXT) | instid1(VALU_DEP_1)
	v_pk_fma_f16 v19, v19, v23, v19 op_sel:[0,0,1] op_sel_hi:[0,1,1]
	v_pk_fma_f16 v26, v21, v19, v26 op_sel_hi:[0,1,1]
	v_add_co_u32 v19, vcc_lo, v27, v180
	v_add_co_ci_u32_e32 v20, vcc_lo, v28, v178, vcc_lo
	s_delay_alu instid0(VALU_DEP_2) | instskip(NEXT) | instid1(VALU_DEP_2)
	v_add_co_u32 v23, vcc_lo, v19, v128
	v_add_co_ci_u32_e32 v24, vcc_lo, 0, v20, vcc_lo
	s_clause 0x1
	global_load_b32 v19, v[19:20], off
	global_load_b32 v23, v[23:24], off offset:4
	s_waitcnt vmcnt(0)
	v_ashrrev_i32_e32 v23, v111, v23
	s_delay_alu instid0(VALU_DEP_1) | instskip(SKIP_3) | instid1(VALU_DEP_4)
	v_lshrrev_b32_e32 v171, 8, v23
	v_and_b32_e32 v24, 15, v23
	v_lshrrev_b32_e32 v172, 16, v23
	v_bfe_u32 v23, v23, 24, 4
	v_and_b32_e32 v171, 15, v171
	s_delay_alu instid0(VALU_DEP_4) | instskip(NEXT) | instid1(VALU_DEP_4)
	v_cvt_f16_u16_e32 v20, v24
	v_and_b32_e32 v172, 15, v172
	s_delay_alu instid0(VALU_DEP_4) | instskip(NEXT) | instid1(VALU_DEP_4)
	v_cvt_f16_u16_e32 v23, v23
	v_cvt_f16_u16_e64 v24, v171
	s_delay_alu instid0(VALU_DEP_1) | instskip(NEXT) | instid1(VALU_DEP_4)
	v_pack_b32_f16 v20, v20, v24
	v_cvt_f16_u16_e64 v24, v172
	s_delay_alu instid0(VALU_DEP_2) | instskip(NEXT) | instid1(VALU_DEP_2)
	v_pk_fma_f16 v20, v19, v20, v19 op_sel:[0,0,1] op_sel_hi:[0,1,1]
	v_pack_b32_f16 v23, v24, v23
	s_delay_alu instid0(VALU_DEP_2) | instskip(NEXT) | instid1(VALU_DEP_2)
	v_pk_fma_f16 v29, v21, v20, v29 op_sel:[1,0,0]
	v_pk_fma_f16 v19, v19, v23, v19 op_sel:[0,0,1] op_sel_hi:[0,1,1]
	s_delay_alu instid0(VALU_DEP_1) | instskip(SKIP_2) | instid1(VALU_DEP_2)
	v_pk_fma_f16 v30, v21, v19, v30 op_sel:[1,0,0]
	v_add_co_u32 v19, vcc_lo, v27, v181
	v_add_co_ci_u32_e32 v20, vcc_lo, v28, v179, vcc_lo
	v_add_co_u32 v23, vcc_lo, v19, v131
	s_delay_alu instid0(VALU_DEP_2)
	v_add_co_ci_u32_e32 v24, vcc_lo, 0, v20, vcc_lo
	s_clause 0x1
	global_load_b32 v19, v[19:20], off
	global_load_b32 v23, v[23:24], off offset:4
	s_waitcnt vmcnt(0)
	v_ashrrev_i32_e32 v23, v111, v23
	s_delay_alu instid0(VALU_DEP_1) | instskip(SKIP_3) | instid1(VALU_DEP_4)
	v_lshrrev_b32_e32 v27, 8, v23
	v_and_b32_e32 v24, 15, v23
	v_lshrrev_b32_e32 v28, 16, v23
	v_bfe_u32 v23, v23, 24, 4
	v_and_b32_e32 v27, 15, v27
	s_delay_alu instid0(VALU_DEP_4) | instskip(NEXT) | instid1(VALU_DEP_4)
	v_cvt_f16_u16_e32 v20, v24
	v_and_b32_e32 v28, 15, v28
	s_delay_alu instid0(VALU_DEP_4) | instskip(NEXT) | instid1(VALU_DEP_4)
	v_cvt_f16_u16_e32 v23, v23
	v_cvt_f16_u16_e32 v24, v27
	s_delay_alu instid0(VALU_DEP_1) | instskip(NEXT) | instid1(VALU_DEP_4)
	v_pack_b32_f16 v20, v20, v24
	v_cvt_f16_u16_e32 v24, v28
	s_delay_alu instid0(VALU_DEP_2) | instskip(NEXT) | instid1(VALU_DEP_2)
	v_pk_fma_f16 v20, v19, v20, v19 op_sel:[0,0,1] op_sel_hi:[0,1,1]
	v_pack_b32_f16 v23, v24, v23
	s_delay_alu instid0(VALU_DEP_2) | instskip(NEXT) | instid1(VALU_DEP_2)
	v_pk_fma_f16 v25, v21, v20, v25 op_sel:[1,0,0]
	v_pk_fma_f16 v19, v19, v23, v19 op_sel:[0,0,1] op_sel_hi:[0,1,1]
	s_delay_alu instid0(VALU_DEP_1) | instskip(SKIP_2) | instid1(VALU_DEP_2)
	v_pk_fma_f16 v21, v21, v19, v26 op_sel:[1,0,0]
	v_add_co_u32 v26, vcc_lo, s9, v120
	v_add_co_ci_u32_e32 v27, vcc_lo, s15, v158, vcc_lo
	v_add_co_u32 v19, vcc_lo, v26, v180
	s_delay_alu instid0(VALU_DEP_2) | instskip(NEXT) | instid1(VALU_DEP_2)
	v_add_co_ci_u32_e32 v20, vcc_lo, v27, v178, vcc_lo
	v_add_co_u32 v23, vcc_lo, v19, v128
	s_delay_alu instid0(VALU_DEP_2)
	v_add_co_ci_u32_e32 v24, vcc_lo, 0, v20, vcc_lo
	s_clause 0x1
	global_load_b32 v19, v[19:20], off
	global_load_b32 v23, v[23:24], off offset:4
	s_waitcnt vmcnt(0)
	v_ashrrev_i32_e32 v23, v111, v23
	s_delay_alu instid0(VALU_DEP_1) | instskip(SKIP_3) | instid1(VALU_DEP_4)
	v_lshrrev_b32_e32 v28, 8, v23
	v_and_b32_e32 v24, 15, v23
	v_lshrrev_b32_e32 v171, 16, v23
	v_bfe_u32 v23, v23, 24, 4
	v_and_b32_e32 v28, 15, v28
	s_delay_alu instid0(VALU_DEP_4) | instskip(NEXT) | instid1(VALU_DEP_4)
	v_cvt_f16_u16_e32 v20, v24
	v_and_b32_e32 v171, 15, v171
	s_delay_alu instid0(VALU_DEP_4) | instskip(NEXT) | instid1(VALU_DEP_4)
	v_cvt_f16_u16_e32 v23, v23
	v_cvt_f16_u16_e32 v24, v28
	s_delay_alu instid0(VALU_DEP_1) | instskip(NEXT) | instid1(VALU_DEP_4)
	v_pack_b32_f16 v20, v20, v24
	v_cvt_f16_u16_e64 v24, v171
	s_delay_alu instid0(VALU_DEP_2) | instskip(NEXT) | instid1(VALU_DEP_2)
	v_pk_fma_f16 v20, v19, v20, v19 op_sel:[0,0,1] op_sel_hi:[0,1,1]
	v_pack_b32_f16 v23, v24, v23
	s_delay_alu instid0(VALU_DEP_2) | instskip(NEXT) | instid1(VALU_DEP_2)
	v_pk_fma_f16 v28, v22, v20, v29 op_sel_hi:[0,1,1]
	v_pk_fma_f16 v19, v19, v23, v19 op_sel:[0,0,1] op_sel_hi:[0,1,1]
	s_delay_alu instid0(VALU_DEP_1) | instskip(SKIP_2) | instid1(VALU_DEP_2)
	v_pk_fma_f16 v29, v22, v19, v30 op_sel_hi:[0,1,1]
	v_add_co_u32 v19, vcc_lo, v26, v181
	v_add_co_ci_u32_e32 v20, vcc_lo, v27, v179, vcc_lo
	v_add_co_u32 v23, vcc_lo, v19, v131
	s_delay_alu instid0(VALU_DEP_2)
	v_add_co_ci_u32_e32 v24, vcc_lo, 0, v20, vcc_lo
	s_clause 0x1
	global_load_b32 v19, v[19:20], off
	global_load_b32 v23, v[23:24], off offset:4
	s_waitcnt vmcnt(0)
	v_ashrrev_i32_e32 v23, v111, v23
	s_delay_alu instid0(VALU_DEP_1) | instskip(SKIP_3) | instid1(VALU_DEP_4)
	v_lshrrev_b32_e32 v26, 8, v23
	v_and_b32_e32 v24, 15, v23
	v_lshrrev_b32_e32 v27, 16, v23
	v_bfe_u32 v23, v23, 24, 4
	v_and_b32_e32 v26, 15, v26
	s_delay_alu instid0(VALU_DEP_4) | instskip(NEXT) | instid1(VALU_DEP_4)
	v_cvt_f16_u16_e32 v20, v24
	v_and_b32_e32 v27, 15, v27
	s_delay_alu instid0(VALU_DEP_4) | instskip(NEXT) | instid1(VALU_DEP_4)
	v_cvt_f16_u16_e32 v23, v23
	v_cvt_f16_u16_e32 v24, v26
	v_add_co_u32 v26, vcc_lo, s9, v125
	s_delay_alu instid0(VALU_DEP_2) | instskip(SKIP_2) | instid1(VALU_DEP_3)
	v_pack_b32_f16 v20, v20, v24
	v_cvt_f16_u16_e32 v24, v27
	v_add_co_ci_u32_e32 v27, vcc_lo, s15, v160, vcc_lo
	v_pk_fma_f16 v20, v19, v20, v19 op_sel:[0,0,1] op_sel_hi:[0,1,1]
	s_delay_alu instid0(VALU_DEP_3) | instskip(NEXT) | instid1(VALU_DEP_2)
	v_pack_b32_f16 v23, v24, v23
	v_pk_fma_f16 v25, v22, v20, v25 op_sel_hi:[0,1,1]
	s_delay_alu instid0(VALU_DEP_2) | instskip(NEXT) | instid1(VALU_DEP_1)
	v_pk_fma_f16 v19, v19, v23, v19 op_sel:[0,0,1] op_sel_hi:[0,1,1]
	v_pk_fma_f16 v21, v22, v19, v21 op_sel_hi:[0,1,1]
	v_add_co_u32 v19, vcc_lo, v26, v180
	v_add_co_ci_u32_e32 v20, vcc_lo, v27, v178, vcc_lo
	s_delay_alu instid0(VALU_DEP_2) | instskip(NEXT) | instid1(VALU_DEP_2)
	v_add_co_u32 v23, vcc_lo, v19, v128
	v_add_co_ci_u32_e32 v24, vcc_lo, 0, v20, vcc_lo
	s_clause 0x1
	global_load_b32 v19, v[19:20], off
	global_load_b32 v23, v[23:24], off offset:4
	s_waitcnt vmcnt(0)
	v_ashrrev_i32_e32 v23, v111, v23
	s_delay_alu instid0(VALU_DEP_1) | instskip(SKIP_3) | instid1(VALU_DEP_4)
	v_lshrrev_b32_e32 v30, 8, v23
	v_and_b32_e32 v24, 15, v23
	v_lshrrev_b32_e32 v171, 16, v23
	v_bfe_u32 v23, v23, 24, 4
	v_and_b32_e32 v30, 15, v30
	s_delay_alu instid0(VALU_DEP_4) | instskip(NEXT) | instid1(VALU_DEP_4)
	v_cvt_f16_u16_e32 v20, v24
	v_and_b32_e32 v171, 15, v171
	s_delay_alu instid0(VALU_DEP_4) | instskip(NEXT) | instid1(VALU_DEP_4)
	v_cvt_f16_u16_e32 v23, v23
	v_cvt_f16_u16_e32 v24, v30
	s_delay_alu instid0(VALU_DEP_1) | instskip(NEXT) | instid1(VALU_DEP_4)
	v_pack_b32_f16 v20, v20, v24
	v_cvt_f16_u16_e64 v24, v171
	s_delay_alu instid0(VALU_DEP_2) | instskip(NEXT) | instid1(VALU_DEP_2)
	v_pk_fma_f16 v20, v19, v20, v19 op_sel:[0,0,1] op_sel_hi:[0,1,1]
	v_pack_b32_f16 v23, v24, v23
	s_delay_alu instid0(VALU_DEP_2) | instskip(NEXT) | instid1(VALU_DEP_2)
	v_pk_fma_f16 v28, v22, v20, v28 op_sel:[1,0,0]
	v_pk_fma_f16 v19, v19, v23, v19 op_sel:[0,0,1] op_sel_hi:[0,1,1]
	s_delay_alu instid0(VALU_DEP_1) | instskip(SKIP_2) | instid1(VALU_DEP_2)
	v_pk_fma_f16 v29, v22, v19, v29 op_sel:[1,0,0]
	v_add_co_u32 v19, vcc_lo, v26, v181
	v_add_co_ci_u32_e32 v20, vcc_lo, v27, v179, vcc_lo
	v_add_co_u32 v23, vcc_lo, v19, v131
	s_delay_alu instid0(VALU_DEP_2)
	v_add_co_ci_u32_e32 v24, vcc_lo, 0, v20, vcc_lo
	s_clause 0x1
	global_load_b32 v19, v[19:20], off
	global_load_b32 v23, v[23:24], off offset:4
	s_waitcnt vmcnt(0)
	v_ashrrev_i32_e32 v23, v111, v23
	s_delay_alu instid0(VALU_DEP_1) | instskip(SKIP_3) | instid1(VALU_DEP_4)
	v_lshrrev_b32_e32 v26, 8, v23
	v_and_b32_e32 v24, 15, v23
	v_lshrrev_b32_e32 v27, 16, v23
	v_bfe_u32 v23, v23, 24, 4
	v_and_b32_e32 v26, 15, v26
	s_delay_alu instid0(VALU_DEP_4) | instskip(NEXT) | instid1(VALU_DEP_4)
	v_cvt_f16_u16_e32 v20, v24
	v_and_b32_e32 v27, 15, v27
	s_delay_alu instid0(VALU_DEP_4) | instskip(NEXT) | instid1(VALU_DEP_4)
	v_cvt_f16_u16_e32 v23, v23
	v_cvt_f16_u16_e32 v24, v26
	s_delay_alu instid0(VALU_DEP_1) | instskip(NEXT) | instid1(VALU_DEP_4)
	v_pack_b32_f16 v20, v20, v24
	v_cvt_f16_u16_e32 v24, v27
	s_delay_alu instid0(VALU_DEP_2) | instskip(NEXT) | instid1(VALU_DEP_2)
	v_pk_fma_f16 v20, v19, v20, v19 op_sel:[0,0,1] op_sel_hi:[0,1,1]
	v_pack_b32_f16 v23, v24, v23
	s_delay_alu instid0(VALU_DEP_1) | instskip(NEXT) | instid1(VALU_DEP_3)
	v_pk_fma_f16 v19, v19, v23, v19 op_sel:[0,0,1] op_sel_hi:[0,1,1]
	v_pk_fma_f16 v23, v22, v20, v25 op_sel:[1,0,0]
	v_add_co_u32 v25, vcc_lo, s9, v129
	v_add_co_ci_u32_e32 v26, vcc_lo, s15, v161, vcc_lo
	s_delay_alu instid0(VALU_DEP_4) | instskip(NEXT) | instid1(VALU_DEP_3)
	v_pk_fma_f16 v24, v22, v19, v21 op_sel:[1,0,0]
	v_add_co_u32 v19, vcc_lo, v25, v180
	s_delay_alu instid0(VALU_DEP_3) | instskip(NEXT) | instid1(VALU_DEP_2)
	v_add_co_ci_u32_e32 v20, vcc_lo, v26, v178, vcc_lo
	v_add_co_u32 v21, vcc_lo, v19, v128
	s_delay_alu instid0(VALU_DEP_2)
	v_add_co_ci_u32_e32 v22, vcc_lo, 0, v20, vcc_lo
	s_clause 0x1
	global_load_b32 v19, v[19:20], off
	global_load_b32 v21, v[21:22], off offset:4
	s_waitcnt vmcnt(0)
	v_ashrrev_i32_e32 v21, v111, v21
	s_delay_alu instid0(VALU_DEP_1) | instskip(SKIP_3) | instid1(VALU_DEP_4)
	v_lshrrev_b32_e32 v27, 8, v21
	v_and_b32_e32 v22, 15, v21
	v_lshrrev_b32_e32 v30, 16, v21
	v_bfe_u32 v21, v21, 24, 4
	v_and_b32_e32 v27, 15, v27
	s_delay_alu instid0(VALU_DEP_4) | instskip(NEXT) | instid1(VALU_DEP_4)
	v_cvt_f16_u16_e32 v20, v22
	v_and_b32_e32 v30, 15, v30
	s_delay_alu instid0(VALU_DEP_4) | instskip(NEXT) | instid1(VALU_DEP_4)
	v_cvt_f16_u16_e32 v21, v21
	v_cvt_f16_u16_e32 v22, v27
	s_delay_alu instid0(VALU_DEP_1) | instskip(NEXT) | instid1(VALU_DEP_4)
	v_pack_b32_f16 v20, v20, v22
	v_cvt_f16_u16_e32 v22, v30
	s_delay_alu instid0(VALU_DEP_2) | instskip(NEXT) | instid1(VALU_DEP_2)
	v_pk_fma_f16 v20, v19, v20, v19 op_sel:[0,0,1] op_sel_hi:[0,1,1]
	v_pack_b32_f16 v21, v22, v21
	s_waitcnt lgkmcnt(0)
	s_delay_alu instid0(VALU_DEP_2) | instskip(NEXT) | instid1(VALU_DEP_2)
	v_pk_fma_f16 v27, v15, v20, v28 op_sel_hi:[0,1,1]
	v_pk_fma_f16 v19, v19, v21, v19 op_sel:[0,0,1] op_sel_hi:[0,1,1]
	s_delay_alu instid0(VALU_DEP_1) | instskip(SKIP_2) | instid1(VALU_DEP_2)
	v_pk_fma_f16 v28, v15, v19, v29 op_sel_hi:[0,1,1]
	v_add_co_u32 v19, vcc_lo, v25, v181
	v_add_co_ci_u32_e32 v20, vcc_lo, v26, v179, vcc_lo
	v_add_co_u32 v21, vcc_lo, v19, v131
	s_delay_alu instid0(VALU_DEP_2)
	v_add_co_ci_u32_e32 v22, vcc_lo, 0, v20, vcc_lo
	s_clause 0x1
	global_load_b32 v19, v[19:20], off
	global_load_b32 v21, v[21:22], off offset:4
	s_waitcnt vmcnt(0)
	v_ashrrev_i32_e32 v21, v111, v21
	s_delay_alu instid0(VALU_DEP_1) | instskip(SKIP_3) | instid1(VALU_DEP_4)
	v_lshrrev_b32_e32 v25, 8, v21
	v_and_b32_e32 v22, 15, v21
	v_lshrrev_b32_e32 v26, 16, v21
	v_bfe_u32 v21, v21, 24, 4
	v_and_b32_e32 v25, 15, v25
	s_delay_alu instid0(VALU_DEP_4) | instskip(NEXT) | instid1(VALU_DEP_4)
	v_cvt_f16_u16_e32 v20, v22
	v_and_b32_e32 v26, 15, v26
	s_delay_alu instid0(VALU_DEP_4) | instskip(NEXT) | instid1(VALU_DEP_4)
	v_cvt_f16_u16_e32 v21, v21
	v_cvt_f16_u16_e32 v22, v25
	v_add_co_u32 v25, vcc_lo, s9, v134
	s_delay_alu instid0(VALU_DEP_2) | instskip(SKIP_2) | instid1(VALU_DEP_3)
	v_pack_b32_f16 v20, v20, v22
	v_cvt_f16_u16_e32 v22, v26
	v_add_co_ci_u32_e32 v26, vcc_lo, s15, v162, vcc_lo
	v_pk_fma_f16 v20, v19, v20, v19 op_sel:[0,0,1] op_sel_hi:[0,1,1]
	s_delay_alu instid0(VALU_DEP_3) | instskip(NEXT) | instid1(VALU_DEP_2)
	v_pack_b32_f16 v21, v22, v21
	v_pk_fma_f16 v23, v15, v20, v23 op_sel_hi:[0,1,1]
	s_delay_alu instid0(VALU_DEP_2) | instskip(NEXT) | instid1(VALU_DEP_1)
	v_pk_fma_f16 v19, v19, v21, v19 op_sel:[0,0,1] op_sel_hi:[0,1,1]
	v_pk_fma_f16 v24, v15, v19, v24 op_sel_hi:[0,1,1]
	v_add_co_u32 v19, vcc_lo, v25, v180
	v_add_co_ci_u32_e32 v20, vcc_lo, v26, v178, vcc_lo
	s_delay_alu instid0(VALU_DEP_2) | instskip(NEXT) | instid1(VALU_DEP_2)
	v_add_co_u32 v21, vcc_lo, v19, v128
	v_add_co_ci_u32_e32 v22, vcc_lo, 0, v20, vcc_lo
	s_clause 0x1
	global_load_b32 v19, v[19:20], off
	global_load_b32 v21, v[21:22], off offset:4
	s_waitcnt vmcnt(0)
	v_ashrrev_i32_e32 v21, v111, v21
	s_delay_alu instid0(VALU_DEP_1) | instskip(SKIP_3) | instid1(VALU_DEP_4)
	v_lshrrev_b32_e32 v29, 8, v21
	v_and_b32_e32 v22, 15, v21
	v_lshrrev_b32_e32 v30, 16, v21
	v_bfe_u32 v21, v21, 24, 4
	v_and_b32_e32 v29, 15, v29
	s_delay_alu instid0(VALU_DEP_4) | instskip(NEXT) | instid1(VALU_DEP_4)
	v_cvt_f16_u16_e32 v20, v22
	v_and_b32_e32 v30, 15, v30
	s_delay_alu instid0(VALU_DEP_4) | instskip(NEXT) | instid1(VALU_DEP_4)
	v_cvt_f16_u16_e32 v21, v21
	v_cvt_f16_u16_e32 v22, v29
	s_delay_alu instid0(VALU_DEP_1) | instskip(NEXT) | instid1(VALU_DEP_4)
	v_pack_b32_f16 v20, v20, v22
	v_cvt_f16_u16_e32 v22, v30
	s_delay_alu instid0(VALU_DEP_2) | instskip(NEXT) | instid1(VALU_DEP_2)
	v_pk_fma_f16 v20, v19, v20, v19 op_sel:[0,0,1] op_sel_hi:[0,1,1]
	v_pack_b32_f16 v21, v22, v21
	s_delay_alu instid0(VALU_DEP_2) | instskip(NEXT) | instid1(VALU_DEP_2)
	v_pk_fma_f16 v27, v15, v20, v27 op_sel:[1,0,0]
	v_pk_fma_f16 v19, v19, v21, v19 op_sel:[0,0,1] op_sel_hi:[0,1,1]
	s_delay_alu instid0(VALU_DEP_1) | instskip(SKIP_2) | instid1(VALU_DEP_2)
	v_pk_fma_f16 v28, v15, v19, v28 op_sel:[1,0,0]
	v_add_co_u32 v19, vcc_lo, v25, v181
	v_add_co_ci_u32_e32 v20, vcc_lo, v26, v179, vcc_lo
	v_add_co_u32 v21, vcc_lo, v19, v131
	s_delay_alu instid0(VALU_DEP_2)
	v_add_co_ci_u32_e32 v22, vcc_lo, 0, v20, vcc_lo
	s_clause 0x1
	global_load_b32 v19, v[19:20], off
	global_load_b32 v21, v[21:22], off offset:4
	s_waitcnt vmcnt(0)
	v_ashrrev_i32_e32 v21, v111, v21
	s_delay_alu instid0(VALU_DEP_1) | instskip(SKIP_3) | instid1(VALU_DEP_4)
	v_lshrrev_b32_e32 v25, 8, v21
	v_and_b32_e32 v22, 15, v21
	v_lshrrev_b32_e32 v26, 16, v21
	v_bfe_u32 v21, v21, 24, 4
	v_and_b32_e32 v25, 15, v25
	s_delay_alu instid0(VALU_DEP_4) | instskip(NEXT) | instid1(VALU_DEP_4)
	v_cvt_f16_u16_e32 v20, v22
	v_and_b32_e32 v26, 15, v26
	s_delay_alu instid0(VALU_DEP_4) | instskip(NEXT) | instid1(VALU_DEP_4)
	v_cvt_f16_u16_e32 v21, v21
	v_cvt_f16_u16_e32 v22, v25
	s_delay_alu instid0(VALU_DEP_1) | instskip(NEXT) | instid1(VALU_DEP_4)
	v_pack_b32_f16 v20, v20, v22
	v_cvt_f16_u16_e32 v22, v26
	s_delay_alu instid0(VALU_DEP_2) | instskip(NEXT) | instid1(VALU_DEP_2)
	v_pk_fma_f16 v20, v19, v20, v19 op_sel:[0,0,1] op_sel_hi:[0,1,1]
	v_pack_b32_f16 v21, v22, v21
	s_delay_alu instid0(VALU_DEP_2) | instskip(NEXT) | instid1(VALU_DEP_2)
	v_pk_fma_f16 v23, v15, v20, v23 op_sel:[1,0,0]
	v_pk_fma_f16 v19, v19, v21, v19 op_sel:[0,0,1] op_sel_hi:[0,1,1]
	s_delay_alu instid0(VALU_DEP_1) | instskip(SKIP_2) | instid1(VALU_DEP_2)
	v_pk_fma_f16 v15, v15, v19, v24 op_sel:[1,0,0]
	v_add_co_u32 v24, vcc_lo, s9, v139
	v_add_co_ci_u32_e32 v25, vcc_lo, s15, v163, vcc_lo
	v_add_co_u32 v19, vcc_lo, v24, v180
	s_delay_alu instid0(VALU_DEP_2) | instskip(NEXT) | instid1(VALU_DEP_2)
	v_add_co_ci_u32_e32 v20, vcc_lo, v25, v178, vcc_lo
	v_add_co_u32 v21, vcc_lo, v19, v128
	s_delay_alu instid0(VALU_DEP_2)
	v_add_co_ci_u32_e32 v22, vcc_lo, 0, v20, vcc_lo
	s_clause 0x1
	global_load_b32 v19, v[19:20], off
	global_load_b32 v21, v[21:22], off offset:4
	s_waitcnt vmcnt(0)
	v_ashrrev_i32_e32 v21, v111, v21
	s_delay_alu instid0(VALU_DEP_1) | instskip(SKIP_3) | instid1(VALU_DEP_4)
	v_lshrrev_b32_e32 v26, 8, v21
	v_and_b32_e32 v22, 15, v21
	v_lshrrev_b32_e32 v29, 16, v21
	v_bfe_u32 v21, v21, 24, 4
	v_and_b32_e32 v26, 15, v26
	s_delay_alu instid0(VALU_DEP_4) | instskip(NEXT) | instid1(VALU_DEP_4)
	v_cvt_f16_u16_e32 v20, v22
	v_and_b32_e32 v29, 15, v29
	s_delay_alu instid0(VALU_DEP_4) | instskip(NEXT) | instid1(VALU_DEP_4)
	v_cvt_f16_u16_e32 v21, v21
	v_cvt_f16_u16_e32 v22, v26
	s_delay_alu instid0(VALU_DEP_1) | instskip(NEXT) | instid1(VALU_DEP_4)
	v_pack_b32_f16 v20, v20, v22
	v_cvt_f16_u16_e32 v22, v29
	s_delay_alu instid0(VALU_DEP_2) | instskip(NEXT) | instid1(VALU_DEP_2)
	v_pk_fma_f16 v20, v19, v20, v19 op_sel:[0,0,1] op_sel_hi:[0,1,1]
	v_pack_b32_f16 v21, v22, v21
	s_delay_alu instid0(VALU_DEP_2) | instskip(NEXT) | instid1(VALU_DEP_2)
	v_pk_fma_f16 v26, v16, v20, v27 op_sel_hi:[0,1,1]
	v_pk_fma_f16 v19, v19, v21, v19 op_sel:[0,0,1] op_sel_hi:[0,1,1]
	s_delay_alu instid0(VALU_DEP_1) | instskip(SKIP_2) | instid1(VALU_DEP_2)
	v_pk_fma_f16 v27, v16, v19, v28 op_sel_hi:[0,1,1]
	v_add_co_u32 v19, vcc_lo, v24, v181
	v_add_co_ci_u32_e32 v20, vcc_lo, v25, v179, vcc_lo
	v_add_co_u32 v21, vcc_lo, v19, v131
	s_delay_alu instid0(VALU_DEP_2)
	v_add_co_ci_u32_e32 v22, vcc_lo, 0, v20, vcc_lo
	s_clause 0x1
	global_load_b32 v19, v[19:20], off
	global_load_b32 v21, v[21:22], off offset:4
	s_waitcnt vmcnt(0)
	v_ashrrev_i32_e32 v21, v111, v21
	s_delay_alu instid0(VALU_DEP_1) | instskip(SKIP_3) | instid1(VALU_DEP_4)
	v_lshrrev_b32_e32 v24, 8, v21
	v_and_b32_e32 v22, 15, v21
	v_lshrrev_b32_e32 v25, 16, v21
	v_bfe_u32 v21, v21, 24, 4
	v_and_b32_e32 v24, 15, v24
	s_delay_alu instid0(VALU_DEP_4) | instskip(NEXT) | instid1(VALU_DEP_4)
	v_cvt_f16_u16_e32 v20, v22
	v_and_b32_e32 v25, 15, v25
	s_delay_alu instid0(VALU_DEP_4) | instskip(NEXT) | instid1(VALU_DEP_4)
	v_cvt_f16_u16_e32 v21, v21
	v_cvt_f16_u16_e32 v22, v24
	v_add_co_u32 v24, vcc_lo, s9, v144
	s_delay_alu instid0(VALU_DEP_2) | instskip(SKIP_2) | instid1(VALU_DEP_3)
	v_pack_b32_f16 v20, v20, v22
	v_cvt_f16_u16_e32 v22, v25
	v_add_co_ci_u32_e32 v25, vcc_lo, s15, v165, vcc_lo
	v_pk_fma_f16 v20, v19, v20, v19 op_sel:[0,0,1] op_sel_hi:[0,1,1]
	s_delay_alu instid0(VALU_DEP_3) | instskip(NEXT) | instid1(VALU_DEP_2)
	v_pack_b32_f16 v21, v22, v21
	v_pk_fma_f16 v23, v16, v20, v23 op_sel_hi:[0,1,1]
	s_delay_alu instid0(VALU_DEP_2) | instskip(NEXT) | instid1(VALU_DEP_1)
	v_pk_fma_f16 v19, v19, v21, v19 op_sel:[0,0,1] op_sel_hi:[0,1,1]
	v_pk_fma_f16 v15, v16, v19, v15 op_sel_hi:[0,1,1]
	v_add_co_u32 v19, vcc_lo, v24, v180
	v_add_co_ci_u32_e32 v20, vcc_lo, v25, v178, vcc_lo
	s_delay_alu instid0(VALU_DEP_2) | instskip(NEXT) | instid1(VALU_DEP_2)
	v_add_co_u32 v21, vcc_lo, v19, v128
	v_add_co_ci_u32_e32 v22, vcc_lo, 0, v20, vcc_lo
	s_clause 0x1
	global_load_b32 v19, v[19:20], off
	global_load_b32 v21, v[21:22], off offset:4
	s_waitcnt vmcnt(0)
	v_ashrrev_i32_e32 v21, v111, v21
	s_delay_alu instid0(VALU_DEP_1) | instskip(SKIP_3) | instid1(VALU_DEP_4)
	v_lshrrev_b32_e32 v28, 8, v21
	v_and_b32_e32 v22, 15, v21
	v_lshrrev_b32_e32 v29, 16, v21
	v_bfe_u32 v21, v21, 24, 4
	v_and_b32_e32 v28, 15, v28
	s_delay_alu instid0(VALU_DEP_4) | instskip(NEXT) | instid1(VALU_DEP_4)
	v_cvt_f16_u16_e32 v20, v22
	v_and_b32_e32 v29, 15, v29
	s_delay_alu instid0(VALU_DEP_4) | instskip(NEXT) | instid1(VALU_DEP_4)
	v_cvt_f16_u16_e32 v21, v21
	v_cvt_f16_u16_e32 v22, v28
	s_delay_alu instid0(VALU_DEP_1) | instskip(NEXT) | instid1(VALU_DEP_4)
	v_pack_b32_f16 v20, v20, v22
	v_cvt_f16_u16_e32 v22, v29
	s_delay_alu instid0(VALU_DEP_2) | instskip(NEXT) | instid1(VALU_DEP_2)
	v_pk_fma_f16 v20, v19, v20, v19 op_sel:[0,0,1] op_sel_hi:[0,1,1]
	v_pack_b32_f16 v21, v22, v21
	s_delay_alu instid0(VALU_DEP_2) | instskip(NEXT) | instid1(VALU_DEP_2)
	v_pk_fma_f16 v26, v16, v20, v26 op_sel:[1,0,0]
	v_pk_fma_f16 v19, v19, v21, v19 op_sel:[0,0,1] op_sel_hi:[0,1,1]
	s_delay_alu instid0(VALU_DEP_1) | instskip(SKIP_2) | instid1(VALU_DEP_2)
	v_pk_fma_f16 v27, v16, v19, v27 op_sel:[1,0,0]
	v_add_co_u32 v19, vcc_lo, v24, v181
	v_add_co_ci_u32_e32 v20, vcc_lo, v25, v179, vcc_lo
	v_add_co_u32 v21, vcc_lo, v19, v131
	s_delay_alu instid0(VALU_DEP_2)
	v_add_co_ci_u32_e32 v22, vcc_lo, 0, v20, vcc_lo
	s_clause 0x1
	global_load_b32 v19, v[19:20], off
	global_load_b32 v21, v[21:22], off offset:4
	s_waitcnt vmcnt(0)
	v_ashrrev_i32_e32 v21, v111, v21
	s_delay_alu instid0(VALU_DEP_1) | instskip(SKIP_3) | instid1(VALU_DEP_4)
	v_lshrrev_b32_e32 v24, 8, v21
	v_and_b32_e32 v22, 15, v21
	v_lshrrev_b32_e32 v25, 16, v21
	v_bfe_u32 v21, v21, 24, 4
	v_and_b32_e32 v24, 15, v24
	s_delay_alu instid0(VALU_DEP_4) | instskip(NEXT) | instid1(VALU_DEP_4)
	v_cvt_f16_u16_e32 v20, v22
	v_and_b32_e32 v25, 15, v25
	s_delay_alu instid0(VALU_DEP_4) | instskip(NEXT) | instid1(VALU_DEP_4)
	v_cvt_f16_u16_e32 v21, v21
	v_cvt_f16_u16_e32 v22, v24
	s_delay_alu instid0(VALU_DEP_1) | instskip(NEXT) | instid1(VALU_DEP_4)
	v_pack_b32_f16 v20, v20, v22
	v_cvt_f16_u16_e32 v22, v25
	s_delay_alu instid0(VALU_DEP_2) | instskip(NEXT) | instid1(VALU_DEP_2)
	v_pk_fma_f16 v20, v19, v20, v19 op_sel:[0,0,1] op_sel_hi:[0,1,1]
	v_pack_b32_f16 v21, v22, v21
	s_delay_alu instid0(VALU_DEP_1) | instskip(NEXT) | instid1(VALU_DEP_3)
	v_pk_fma_f16 v19, v19, v21, v19 op_sel:[0,0,1] op_sel_hi:[0,1,1]
	v_pk_fma_f16 v21, v16, v20, v23 op_sel:[1,0,0]
	v_add_co_u32 v23, vcc_lo, s9, v149
	v_add_co_ci_u32_e32 v24, vcc_lo, s15, v166, vcc_lo
	s_delay_alu instid0(VALU_DEP_4) | instskip(NEXT) | instid1(VALU_DEP_3)
	v_pk_fma_f16 v22, v16, v19, v15 op_sel:[1,0,0]
	v_add_co_u32 v15, vcc_lo, v23, v180
	s_delay_alu instid0(VALU_DEP_3) | instskip(NEXT) | instid1(VALU_DEP_2)
	v_add_co_ci_u32_e32 v16, vcc_lo, v24, v178, vcc_lo
	v_add_co_u32 v19, vcc_lo, v15, v128
	s_delay_alu instid0(VALU_DEP_2)
	v_add_co_ci_u32_e32 v20, vcc_lo, 0, v16, vcc_lo
	s_clause 0x1
	global_load_b32 v15, v[15:16], off
	global_load_b32 v19, v[19:20], off offset:4
	s_waitcnt vmcnt(0)
	v_ashrrev_i32_e32 v19, v111, v19
	s_delay_alu instid0(VALU_DEP_1) | instskip(SKIP_3) | instid1(VALU_DEP_4)
	v_lshrrev_b32_e32 v25, 8, v19
	v_and_b32_e32 v20, 15, v19
	v_lshrrev_b32_e32 v28, 16, v19
	v_bfe_u32 v19, v19, 24, 4
	v_and_b32_e32 v25, 15, v25
	s_delay_alu instid0(VALU_DEP_4) | instskip(NEXT) | instid1(VALU_DEP_4)
	v_cvt_f16_u16_e32 v16, v20
	v_and_b32_e32 v28, 15, v28
	s_delay_alu instid0(VALU_DEP_4) | instskip(NEXT) | instid1(VALU_DEP_4)
	v_cvt_f16_u16_e32 v19, v19
	v_cvt_f16_u16_e32 v20, v25
	s_delay_alu instid0(VALU_DEP_1) | instskip(NEXT) | instid1(VALU_DEP_4)
	v_pack_b32_f16 v16, v16, v20
	v_cvt_f16_u16_e32 v20, v28
	s_delay_alu instid0(VALU_DEP_2) | instskip(NEXT) | instid1(VALU_DEP_2)
	v_pk_fma_f16 v16, v15, v16, v15 op_sel:[0,0,1] op_sel_hi:[0,1,1]
	v_pack_b32_f16 v19, v20, v19
	s_delay_alu instid0(VALU_DEP_2) | instskip(NEXT) | instid1(VALU_DEP_2)
	v_pk_fma_f16 v25, v17, v16, v26 op_sel_hi:[0,1,1]
	v_pk_fma_f16 v15, v15, v19, v15 op_sel:[0,0,1] op_sel_hi:[0,1,1]
	s_delay_alu instid0(VALU_DEP_1) | instskip(SKIP_2) | instid1(VALU_DEP_2)
	v_pk_fma_f16 v26, v17, v15, v27 op_sel_hi:[0,1,1]
	v_add_co_u32 v15, vcc_lo, v23, v181
	v_add_co_ci_u32_e32 v16, vcc_lo, v24, v179, vcc_lo
	v_add_co_u32 v19, vcc_lo, v15, v131
	s_delay_alu instid0(VALU_DEP_2)
	v_add_co_ci_u32_e32 v20, vcc_lo, 0, v16, vcc_lo
	s_clause 0x1
	global_load_b32 v15, v[15:16], off
	global_load_b32 v19, v[19:20], off offset:4
	s_waitcnt vmcnt(0)
	v_ashrrev_i32_e32 v19, v111, v19
	s_delay_alu instid0(VALU_DEP_1) | instskip(SKIP_3) | instid1(VALU_DEP_4)
	v_lshrrev_b32_e32 v23, 8, v19
	v_and_b32_e32 v20, 15, v19
	v_lshrrev_b32_e32 v24, 16, v19
	v_bfe_u32 v19, v19, 24, 4
	v_and_b32_e32 v23, 15, v23
	s_delay_alu instid0(VALU_DEP_4) | instskip(NEXT) | instid1(VALU_DEP_4)
	v_cvt_f16_u16_e32 v16, v20
	v_and_b32_e32 v24, 15, v24
	s_delay_alu instid0(VALU_DEP_4) | instskip(NEXT) | instid1(VALU_DEP_4)
	v_cvt_f16_u16_e32 v19, v19
	v_cvt_f16_u16_e32 v20, v23
	v_add_co_u32 v23, vcc_lo, s9, v154
	s_delay_alu instid0(VALU_DEP_2) | instskip(SKIP_2) | instid1(VALU_DEP_3)
	v_pack_b32_f16 v16, v16, v20
	v_cvt_f16_u16_e32 v20, v24
	v_add_co_ci_u32_e32 v24, vcc_lo, s15, v167, vcc_lo
	v_pk_fma_f16 v16, v15, v16, v15 op_sel:[0,0,1] op_sel_hi:[0,1,1]
	s_delay_alu instid0(VALU_DEP_3) | instskip(NEXT) | instid1(VALU_DEP_2)
	v_pack_b32_f16 v19, v20, v19
	v_pk_fma_f16 v21, v17, v16, v21 op_sel_hi:[0,1,1]
	s_delay_alu instid0(VALU_DEP_2) | instskip(NEXT) | instid1(VALU_DEP_1)
	v_pk_fma_f16 v15, v15, v19, v15 op_sel:[0,0,1] op_sel_hi:[0,1,1]
	v_pk_fma_f16 v22, v17, v15, v22 op_sel_hi:[0,1,1]
	v_add_co_u32 v15, vcc_lo, v23, v180
	v_add_co_ci_u32_e32 v16, vcc_lo, v24, v178, vcc_lo
	s_delay_alu instid0(VALU_DEP_2) | instskip(NEXT) | instid1(VALU_DEP_2)
	v_add_co_u32 v19, vcc_lo, v15, v128
	v_add_co_ci_u32_e32 v20, vcc_lo, 0, v16, vcc_lo
	s_clause 0x1
	global_load_b32 v15, v[15:16], off
	global_load_b32 v19, v[19:20], off offset:4
	s_waitcnt vmcnt(0)
	v_ashrrev_i32_e32 v19, v111, v19
	s_delay_alu instid0(VALU_DEP_1) | instskip(SKIP_3) | instid1(VALU_DEP_4)
	v_lshrrev_b32_e32 v27, 8, v19
	v_and_b32_e32 v20, 15, v19
	v_lshrrev_b32_e32 v28, 16, v19
	v_bfe_u32 v19, v19, 24, 4
	v_and_b32_e32 v27, 15, v27
	s_delay_alu instid0(VALU_DEP_4) | instskip(NEXT) | instid1(VALU_DEP_4)
	v_cvt_f16_u16_e32 v16, v20
	v_and_b32_e32 v28, 15, v28
	s_delay_alu instid0(VALU_DEP_4) | instskip(NEXT) | instid1(VALU_DEP_4)
	v_cvt_f16_u16_e32 v19, v19
	v_cvt_f16_u16_e32 v20, v27
	s_delay_alu instid0(VALU_DEP_1) | instskip(NEXT) | instid1(VALU_DEP_4)
	v_pack_b32_f16 v16, v16, v20
	v_cvt_f16_u16_e32 v20, v28
	s_delay_alu instid0(VALU_DEP_2) | instskip(NEXT) | instid1(VALU_DEP_2)
	v_pk_fma_f16 v16, v15, v16, v15 op_sel:[0,0,1] op_sel_hi:[0,1,1]
	v_pack_b32_f16 v19, v20, v19
	s_delay_alu instid0(VALU_DEP_2) | instskip(NEXT) | instid1(VALU_DEP_2)
	v_pk_fma_f16 v25, v17, v16, v25 op_sel:[1,0,0]
	v_pk_fma_f16 v15, v15, v19, v15 op_sel:[0,0,1] op_sel_hi:[0,1,1]
	s_delay_alu instid0(VALU_DEP_1) | instskip(SKIP_2) | instid1(VALU_DEP_2)
	v_pk_fma_f16 v26, v17, v15, v26 op_sel:[1,0,0]
	v_add_co_u32 v15, vcc_lo, v23, v181
	v_add_co_ci_u32_e32 v16, vcc_lo, v24, v179, vcc_lo
	v_add_co_u32 v19, vcc_lo, v15, v131
	s_delay_alu instid0(VALU_DEP_2)
	v_add_co_ci_u32_e32 v20, vcc_lo, 0, v16, vcc_lo
	s_clause 0x1
	global_load_b32 v15, v[15:16], off
	global_load_b32 v19, v[19:20], off offset:4
	s_waitcnt vmcnt(0)
	v_ashrrev_i32_e32 v19, v111, v19
	s_delay_alu instid0(VALU_DEP_1) | instskip(SKIP_3) | instid1(VALU_DEP_4)
	v_lshrrev_b32_e32 v23, 8, v19
	v_and_b32_e32 v20, 15, v19
	v_lshrrev_b32_e32 v24, 16, v19
	v_bfe_u32 v19, v19, 24, 4
	v_and_b32_e32 v23, 15, v23
	s_delay_alu instid0(VALU_DEP_4) | instskip(NEXT) | instid1(VALU_DEP_4)
	v_cvt_f16_u16_e32 v16, v20
	v_and_b32_e32 v24, 15, v24
	s_delay_alu instid0(VALU_DEP_4) | instskip(NEXT) | instid1(VALU_DEP_4)
	v_cvt_f16_u16_e32 v19, v19
	v_cvt_f16_u16_e32 v20, v23
	s_delay_alu instid0(VALU_DEP_1) | instskip(NEXT) | instid1(VALU_DEP_4)
	v_pack_b32_f16 v16, v16, v20
	v_cvt_f16_u16_e32 v20, v24
	s_delay_alu instid0(VALU_DEP_2) | instskip(NEXT) | instid1(VALU_DEP_2)
	v_pk_fma_f16 v16, v15, v16, v15 op_sel:[0,0,1] op_sel_hi:[0,1,1]
	v_pack_b32_f16 v19, v20, v19
	s_delay_alu instid0(VALU_DEP_2) | instskip(NEXT) | instid1(VALU_DEP_2)
	v_pk_fma_f16 v21, v17, v16, v21 op_sel:[1,0,0]
	v_pk_fma_f16 v15, v15, v19, v15 op_sel:[0,0,1] op_sel_hi:[0,1,1]
	s_delay_alu instid0(VALU_DEP_1) | instskip(SKIP_2) | instid1(VALU_DEP_2)
	v_pk_fma_f16 v17, v17, v15, v22 op_sel:[1,0,0]
	v_add_co_u32 v22, vcc_lo, s9, v159
	v_add_co_ci_u32_e32 v23, vcc_lo, s15, v168, vcc_lo
	v_add_co_u32 v15, vcc_lo, v22, v180
	s_delay_alu instid0(VALU_DEP_2) | instskip(NEXT) | instid1(VALU_DEP_2)
	v_add_co_ci_u32_e32 v16, vcc_lo, v23, v178, vcc_lo
	v_add_co_u32 v19, vcc_lo, v15, v128
	s_delay_alu instid0(VALU_DEP_2)
	v_add_co_ci_u32_e32 v20, vcc_lo, 0, v16, vcc_lo
	s_clause 0x1
	global_load_b32 v15, v[15:16], off
	global_load_b32 v19, v[19:20], off offset:4
	s_waitcnt vmcnt(0)
	v_ashrrev_i32_e32 v19, v111, v19
	s_delay_alu instid0(VALU_DEP_1) | instskip(SKIP_3) | instid1(VALU_DEP_4)
	v_lshrrev_b32_e32 v24, 8, v19
	v_and_b32_e32 v20, 15, v19
	v_lshrrev_b32_e32 v27, 16, v19
	v_bfe_u32 v19, v19, 24, 4
	v_and_b32_e32 v24, 15, v24
	s_delay_alu instid0(VALU_DEP_4) | instskip(NEXT) | instid1(VALU_DEP_4)
	v_cvt_f16_u16_e32 v16, v20
	v_and_b32_e32 v27, 15, v27
	s_delay_alu instid0(VALU_DEP_4) | instskip(NEXT) | instid1(VALU_DEP_4)
	v_cvt_f16_u16_e32 v19, v19
	v_cvt_f16_u16_e32 v20, v24
	s_delay_alu instid0(VALU_DEP_1) | instskip(NEXT) | instid1(VALU_DEP_4)
	v_pack_b32_f16 v16, v16, v20
	v_cvt_f16_u16_e32 v20, v27
	s_delay_alu instid0(VALU_DEP_2) | instskip(NEXT) | instid1(VALU_DEP_2)
	v_pk_fma_f16 v16, v15, v16, v15 op_sel:[0,0,1] op_sel_hi:[0,1,1]
	v_pack_b32_f16 v19, v20, v19
	s_delay_alu instid0(VALU_DEP_2) | instskip(NEXT) | instid1(VALU_DEP_2)
	v_pk_fma_f16 v24, v18, v16, v25 op_sel_hi:[0,1,1]
	v_pk_fma_f16 v15, v15, v19, v15 op_sel:[0,0,1] op_sel_hi:[0,1,1]
	s_delay_alu instid0(VALU_DEP_1) | instskip(SKIP_2) | instid1(VALU_DEP_2)
	v_pk_fma_f16 v25, v18, v15, v26 op_sel_hi:[0,1,1]
	v_add_co_u32 v15, vcc_lo, v22, v181
	v_add_co_ci_u32_e32 v16, vcc_lo, v23, v179, vcc_lo
	v_add_co_u32 v19, vcc_lo, v15, v131
	s_delay_alu instid0(VALU_DEP_2)
	v_add_co_ci_u32_e32 v20, vcc_lo, 0, v16, vcc_lo
	s_clause 0x1
	global_load_b32 v15, v[15:16], off
	global_load_b32 v19, v[19:20], off offset:4
	s_waitcnt vmcnt(0)
	v_ashrrev_i32_e32 v19, v111, v19
	s_delay_alu instid0(VALU_DEP_1) | instskip(SKIP_3) | instid1(VALU_DEP_4)
	v_lshrrev_b32_e32 v22, 8, v19
	v_and_b32_e32 v20, 15, v19
	v_lshrrev_b32_e32 v23, 16, v19
	v_bfe_u32 v19, v19, 24, 4
	v_and_b32_e32 v22, 15, v22
	s_delay_alu instid0(VALU_DEP_4) | instskip(NEXT) | instid1(VALU_DEP_4)
	v_cvt_f16_u16_e32 v16, v20
	v_and_b32_e32 v23, 15, v23
	s_delay_alu instid0(VALU_DEP_4) | instskip(NEXT) | instid1(VALU_DEP_4)
	v_cvt_f16_u16_e32 v19, v19
	v_cvt_f16_u16_e32 v20, v22
	v_add_co_u32 v22, vcc_lo, s9, v164
	s_add_u32 s9, s9, s20
	s_delay_alu instid0(VALU_DEP_2) | instskip(SKIP_3) | instid1(VALU_DEP_3)
	v_pack_b32_f16 v16, v16, v20
	v_cvt_f16_u16_e32 v20, v23
	v_add_co_ci_u32_e32 v23, vcc_lo, s15, v169, vcc_lo
	s_addc_u32 s15, s15, 0
	v_pk_fma_f16 v16, v15, v16, v15 op_sel:[0,0,1] op_sel_hi:[0,1,1]
	s_delay_alu instid0(VALU_DEP_3)
	v_pack_b32_f16 v19, v20, v19
	s_add_u32 s4, s4, s6
	s_addc_u32 s5, s5, s7
	s_cmp_ge_i32 s8, s38
	v_pk_fma_f16 v21, v18, v16, v21 op_sel_hi:[0,1,1]
	v_pk_fma_f16 v15, v15, v19, v15 op_sel:[0,0,1] op_sel_hi:[0,1,1]
	s_delay_alu instid0(VALU_DEP_1) | instskip(SKIP_2) | instid1(VALU_DEP_2)
	v_pk_fma_f16 v17, v18, v15, v17 op_sel_hi:[0,1,1]
	v_add_co_u32 v15, vcc_lo, v22, v180
	v_add_co_ci_u32_e32 v16, vcc_lo, v23, v178, vcc_lo
	v_add_co_u32 v19, vcc_lo, v15, v128
	s_delay_alu instid0(VALU_DEP_2)
	v_add_co_ci_u32_e32 v20, vcc_lo, 0, v16, vcc_lo
	s_clause 0x1
	global_load_b32 v15, v[15:16], off
	global_load_b32 v19, v[19:20], off offset:4
	s_waitcnt vmcnt(0)
	v_ashrrev_i32_e32 v19, v111, v19
	s_delay_alu instid0(VALU_DEP_1) | instskip(SKIP_3) | instid1(VALU_DEP_4)
	v_lshrrev_b32_e32 v26, 8, v19
	v_and_b32_e32 v20, 15, v19
	v_lshrrev_b32_e32 v27, 16, v19
	v_bfe_u32 v19, v19, 24, 4
	v_and_b32_e32 v26, 15, v26
	s_delay_alu instid0(VALU_DEP_4) | instskip(NEXT) | instid1(VALU_DEP_4)
	v_cvt_f16_u16_e32 v16, v20
	v_and_b32_e32 v27, 15, v27
	s_delay_alu instid0(VALU_DEP_4) | instskip(NEXT) | instid1(VALU_DEP_4)
	v_cvt_f16_u16_e32 v19, v19
	v_cvt_f16_u16_e32 v20, v26
	s_delay_alu instid0(VALU_DEP_1) | instskip(NEXT) | instid1(VALU_DEP_4)
	v_pack_b32_f16 v16, v16, v20
	v_cvt_f16_u16_e32 v20, v27
	s_delay_alu instid0(VALU_DEP_2) | instskip(NEXT) | instid1(VALU_DEP_2)
	v_pk_fma_f16 v16, v15, v16, v15 op_sel:[0,0,1] op_sel_hi:[0,1,1]
	v_pack_b32_f16 v19, v20, v19
	s_delay_alu instid0(VALU_DEP_2) | instskip(NEXT) | instid1(VALU_DEP_2)
	v_pk_fma_f16 v171, v18, v16, v24 op_sel:[1,0,0]
	v_pk_fma_f16 v15, v15, v19, v15 op_sel:[0,0,1] op_sel_hi:[0,1,1]
	s_delay_alu instid0(VALU_DEP_1) | instskip(SKIP_2) | instid1(VALU_DEP_2)
	v_pk_fma_f16 v172, v18, v15, v25 op_sel:[1,0,0]
	v_add_co_u32 v15, vcc_lo, v22, v181
	v_add_co_ci_u32_e32 v16, vcc_lo, v23, v179, vcc_lo
	v_add_co_u32 v19, vcc_lo, v15, v131
	s_delay_alu instid0(VALU_DEP_2)
	v_add_co_ci_u32_e32 v20, vcc_lo, 0, v16, vcc_lo
	s_clause 0x1
	global_load_b32 v15, v[15:16], off
	global_load_b32 v19, v[19:20], off offset:4
	s_waitcnt vmcnt(0)
	v_ashrrev_i32_e32 v19, v111, v19
	s_delay_alu instid0(VALU_DEP_1) | instskip(SKIP_3) | instid1(VALU_DEP_4)
	v_lshrrev_b32_e32 v22, 8, v19
	v_and_b32_e32 v20, 15, v19
	v_lshrrev_b32_e32 v23, 16, v19
	v_bfe_u32 v19, v19, 24, 4
	v_and_b32_e32 v22, 15, v22
	s_delay_alu instid0(VALU_DEP_4) | instskip(NEXT) | instid1(VALU_DEP_4)
	v_cvt_f16_u16_e32 v16, v20
	v_and_b32_e32 v23, 15, v23
	s_delay_alu instid0(VALU_DEP_4) | instskip(NEXT) | instid1(VALU_DEP_4)
	v_cvt_f16_u16_e32 v19, v19
	v_cvt_f16_u16_e32 v20, v22
	s_delay_alu instid0(VALU_DEP_1) | instskip(NEXT) | instid1(VALU_DEP_4)
	v_pack_b32_f16 v16, v16, v20
	v_cvt_f16_u16_e32 v20, v23
	s_delay_alu instid0(VALU_DEP_2) | instskip(NEXT) | instid1(VALU_DEP_2)
	v_pk_fma_f16 v16, v15, v16, v15 op_sel:[0,0,1] op_sel_hi:[0,1,1]
	v_pack_b32_f16 v19, v20, v19
	s_delay_alu instid0(VALU_DEP_2) | instskip(NEXT) | instid1(VALU_DEP_2)
	v_pk_fma_f16 v174, v18, v16, v21 op_sel:[1,0,0]
	v_pk_fma_f16 v15, v15, v19, v15 op_sel:[0,0,1] op_sel_hi:[0,1,1]
	s_delay_alu instid0(VALU_DEP_1)
	v_pk_fma_f16 v173, v18, v15, v17 op_sel:[1,0,0]
	s_cbranch_scc1 .LBB23_21
; %bb.20:                               ;   in Loop: Header=BB23_15 Depth=1
	v_dual_mov_b32 v19, v176 :: v_dual_mov_b32 v170, v175
	s_branch .LBB23_15
.LBB23_21:
	v_or_b32_e32 v0, s14, v63
	s_cmp_lg_u64 s[24:25], 0
	s_cselect_b32 s3, -1, 0
	s_delay_alu instid0(VALU_DEP_1) | instskip(SKIP_1) | instid1(SALU_CYCLE_1)
	v_cmp_eq_u32_e32 vcc_lo, 0, v0
	s_and_b32 s4, vcc_lo, s3
	s_and_saveexec_b32 s3, s4
	s_cbranch_execz .LBB23_23
; %bb.22:
	s_lshl_b64 s[4:5], s[36:37], 2
	v_max_f32_e32 v0, v176, v176
	s_add_u32 s4, s24, s4
	s_addc_u32 s5, s25, s5
	s_load_b32 s4, s[4:5], 0x0
	s_waitcnt lgkmcnt(0)
	v_max_f32_e64 v1, s4, s4
	s_delay_alu instid0(VALU_DEP_1) | instskip(NEXT) | instid1(VALU_DEP_1)
	v_max_f32_e32 v0, v1, v0
	v_sub_f32_e32 v1, s4, v0
	s_delay_alu instid0(VALU_DEP_1) | instskip(NEXT) | instid1(VALU_DEP_1)
	v_mul_f32_e32 v3, 0x3fb8aa3b, v1
	v_fma_f32 v5, 0x3fb8aa3b, v1, -v3
	v_rndne_f32_e32 v6, v3
	s_delay_alu instid0(VALU_DEP_2) | instskip(NEXT) | instid1(VALU_DEP_2)
	v_dual_fmac_f32 v5, 0x32a5705f, v1 :: v_dual_sub_f32 v2, v176, v0
	v_dual_sub_f32 v3, v3, v6 :: v_dual_mov_b32 v176, v0
	s_delay_alu instid0(VALU_DEP_2) | instskip(SKIP_1) | instid1(VALU_DEP_2)
	v_mul_f32_e32 v4, 0x3fb8aa3b, v2
	v_cmp_ngt_f32_e32 vcc_lo, 0xc2ce8ed0, v1
	v_fma_f32 v7, 0x3fb8aa3b, v2, -v4
	v_rndne_f32_e32 v8, v4
	s_delay_alu instid0(VALU_DEP_1) | instskip(SKIP_3) | instid1(VALU_DEP_4)
	v_dual_fmac_f32 v7, 0x32a5705f, v2 :: v_dual_sub_f32 v4, v4, v8
	v_add_f32_e32 v3, v3, v5
	v_cvt_i32_f32_e32 v5, v6
	v_cvt_i32_f32_e32 v6, v8
	v_add_f32_e32 v4, v4, v7
	s_delay_alu instid0(VALU_DEP_4) | instskip(NEXT) | instid1(VALU_DEP_1)
	v_exp_f32_e32 v3, v3
	v_exp_f32_e32 v4, v4
	s_waitcnt_depctr 0xfff
	v_ldexp_f32 v3, v3, v5
	v_ldexp_f32 v4, v4, v6
	s_delay_alu instid0(VALU_DEP_2) | instskip(SKIP_1) | instid1(VALU_DEP_3)
	v_cndmask_b32_e32 v3, 0, v3, vcc_lo
	v_cmp_ngt_f32_e32 vcc_lo, 0xc2ce8ed0, v2
	v_cndmask_b32_e32 v4, 0, v4, vcc_lo
	v_cmp_nlt_f32_e32 vcc_lo, 0x42b17218, v1
	s_delay_alu instid0(VALU_DEP_4) | instskip(SKIP_1) | instid1(VALU_DEP_4)
	v_cndmask_b32_e32 v1, 0x7f800000, v3, vcc_lo
	v_cmp_nlt_f32_e32 vcc_lo, 0x42b17218, v2
	v_cndmask_b32_e32 v2, 0x7f800000, v4, vcc_lo
	v_cmp_eq_u32_e32 vcc_lo, 0, v64
	s_delay_alu instid0(VALU_DEP_4) | instskip(NEXT) | instid1(VALU_DEP_1)
	v_cndmask_b32_e32 v1, 0, v1, vcc_lo
	v_fmac_f32_e32 v1, v175, v2
	s_delay_alu instid0(VALU_DEP_1) | instskip(SKIP_1) | instid1(VALU_DEP_1)
	v_mov_b32_e32 v175, v1
	v_cvt_f16_f32_e32 v3, v2
	v_pk_mul_f16 v171, v3, v171 op_sel_hi:[0,1]
	v_pk_mul_f16 v172, v3, v172 op_sel_hi:[0,1]
	;; [unrolled: 1-line block ×4, first 2 shown]
.LBB23_23:
	s_or_b32 exec_lo, exec_lo, s3
	s_and_saveexec_b32 s3, s2
	s_cbranch_execz .LBB23_25
; %bb.24:
	v_dual_mov_b32 v0, 0xfeffffff :: v_dual_mov_b32 v1, 0
	v_add_nc_u32_e32 v2, 0x800, v69
	ds_store_2addr_b32 v2, v0, v1 offset1:32
.LBB23_25:
	s_or_b32 exec_lo, exec_lo, s3
	v_cmp_eq_u32_e32 vcc_lo, 0, v64
	v_lshlrev_b32_e32 v2, 2, v63
	s_waitcnt lgkmcnt(0)
	s_barrier
	buffer_gl0_inv
	s_and_saveexec_b32 s2, vcc_lo
	s_cbranch_execz .LBB23_27
; %bb.26:
	ds_store_b32 v2, v176 offset:2048
.LBB23_27:
	s_or_b32 exec_lo, exec_lo, s2
	s_waitcnt lgkmcnt(0)
	s_barrier
	buffer_gl0_inv
	ds_load_b32 v0, v69 offset:2048
	v_xor_b32_e32 v1, 16, v65
	v_xor_b32_e32 v4, 8, v65
	;; [unrolled: 1-line block ×5, first 2 shown]
	v_cmp_gt_i32_e64 s2, 32, v1
	v_lshlrev_b32_e32 v13, 3, v64
	s_delay_alu instid0(VALU_DEP_2) | instskip(SKIP_1) | instid1(VALU_DEP_3)
	v_cndmask_b32_e64 v1, v65, v1, s2
	v_cmp_gt_i32_e64 s2, 32, v4
	v_lshl_add_u32 v13, v63, 9, v13
	s_delay_alu instid0(VALU_DEP_3) | instskip(NEXT) | instid1(VALU_DEP_3)
	v_lshlrev_b32_e32 v3, 2, v1
	v_cndmask_b32_e64 v4, v65, v4, s2
	v_cmp_gt_i32_e64 s2, 32, v5
	s_waitcnt lgkmcnt(0)
	ds_bpermute_b32 v1, v3, v0
	v_max_f32_e32 v0, v0, v0
	v_cndmask_b32_e64 v5, v65, v5, s2
	v_cmp_gt_i32_e64 s2, 32, v6
	v_lshlrev_b32_e32 v4, 2, v4
	s_delay_alu instid0(VALU_DEP_3) | instskip(NEXT) | instid1(VALU_DEP_3)
	v_lshlrev_b32_e32 v5, 2, v5
	v_cndmask_b32_e64 v6, v65, v6, s2
	v_cmp_gt_i32_e64 s2, 32, v7
	s_delay_alu instid0(VALU_DEP_2) | instskip(NEXT) | instid1(VALU_DEP_2)
	v_lshlrev_b32_e32 v6, 2, v6
	v_cndmask_b32_e64 v7, v65, v7, s2
	s_waitcnt lgkmcnt(0)
	v_max_f32_e32 v1, v1, v1
	s_delay_alu instid0(VALU_DEP_1) | instskip(SKIP_3) | instid1(VALU_DEP_1)
	v_max_f32_e32 v0, v0, v1
	ds_bpermute_b32 v1, v4, v0
	s_waitcnt lgkmcnt(0)
	v_max_f32_e32 v1, v1, v1
	v_max_f32_e32 v0, v0, v1
	ds_bpermute_b32 v1, v5, v0
	s_waitcnt lgkmcnt(0)
	v_max_f32_e32 v1, v1, v1
	s_delay_alu instid0(VALU_DEP_1) | instskip(SKIP_3) | instid1(VALU_DEP_1)
	v_max_f32_e32 v0, v0, v1
	ds_bpermute_b32 v1, v6, v0
	s_waitcnt lgkmcnt(0)
	v_dual_max_f32 v8, v1, v1 :: v_dual_lshlrev_b32 v1, 2, v7
	v_max_f32_e32 v0, v0, v8
	ds_bpermute_b32 v7, v1, v0
	s_waitcnt lgkmcnt(0)
	v_max_f32_e32 v7, v7, v7
	s_delay_alu instid0(VALU_DEP_1) | instskip(NEXT) | instid1(VALU_DEP_1)
	v_max_f32_e32 v0, v0, v7
	v_sub_f32_e32 v7, v176, v0
	s_delay_alu instid0(VALU_DEP_1) | instskip(SKIP_1) | instid1(VALU_DEP_2)
	v_mul_f32_e32 v8, 0x3fb8aa3b, v7
	v_cmp_ngt_f32_e64 s2, 0xc2ce8ed0, v7
	v_fma_f32 v9, 0x3fb8aa3b, v7, -v8
	v_rndne_f32_e32 v10, v8
	s_delay_alu instid0(VALU_DEP_1) | instskip(NEXT) | instid1(VALU_DEP_1)
	v_dual_fmamk_f32 v9, v7, 0x32a5705f, v9 :: v_dual_sub_f32 v8, v8, v10
	v_add_f32_e32 v8, v8, v9
	v_cvt_i32_f32_e32 v9, v10
	s_delay_alu instid0(VALU_DEP_2) | instskip(SKIP_2) | instid1(VALU_DEP_1)
	v_exp_f32_e32 v8, v8
	s_waitcnt_depctr 0xfff
	v_ldexp_f32 v8, v8, v9
	v_cndmask_b32_e64 v8, 0, v8, s2
	v_cmp_nlt_f32_e64 s2, 0x42b17218, v7
	s_delay_alu instid0(VALU_DEP_1) | instskip(NEXT) | instid1(VALU_DEP_1)
	v_cndmask_b32_e64 v9, 0x7f800000, v8, s2
	v_mul_f32_e32 v7, v175, v9
	v_cvt_f16_f32_e32 v12, v9
	ds_bpermute_b32 v7, v3, v7
	v_pk_mul_f16 v10, v12, v172 op_sel_hi:[0,1]
	v_pk_mul_f16 v11, v12, v174 op_sel_hi:[0,1]
	s_waitcnt lgkmcnt(0)
	v_fmac_f32_e32 v7, v175, v9
	v_pk_mul_f16 v9, v12, v171 op_sel_hi:[0,1]
	v_pk_mul_f16 v12, v12, v173 op_sel_hi:[0,1]
	ds_bpermute_b32 v8, v4, v7
	ds_store_2addr_b64 v13, v[9:10], v[11:12] offset1:32
	s_waitcnt lgkmcnt(1)
	v_add_f32_e32 v7, v7, v8
	ds_bpermute_b32 v8, v5, v7
	s_waitcnt lgkmcnt(0)
	v_add_f32_e32 v7, v7, v8
	ds_bpermute_b32 v8, v6, v7
	;; [unrolled: 3-line block ×3, first 2 shown]
	s_and_saveexec_b32 s2, vcc_lo
	s_cbranch_execz .LBB23_29
; %bb.28:
	s_waitcnt lgkmcnt(0)
	v_add_f32_e32 v7, v7, v8
	ds_store_b32 v2, v7 offset:2176
.LBB23_29:
	s_or_b32 exec_lo, exec_lo, s2
	s_waitcnt lgkmcnt(0)
	s_barrier
	buffer_gl0_inv
	ds_load_b32 v2, v69 offset:2176
	s_mul_i32 s2, s12, s34
	s_waitcnt lgkmcnt(0)
	ds_bpermute_b32 v3, v3, v2
	s_waitcnt lgkmcnt(0)
	v_add_f32_e32 v2, v2, v3
	ds_bpermute_b32 v3, v4, v2
	s_waitcnt lgkmcnt(0)
	v_add_f32_e32 v2, v2, v3
	;; [unrolled: 3-line block ×3, first 2 shown]
	ds_bpermute_b32 v3, v6, v2
	ds_load_u16 v4, v68
	ds_load_u16 v5, v68 offset:512
	ds_load_u16 v6, v68 offset:1024
	;; [unrolled: 1-line block ×5, first 2 shown]
	s_waitcnt lgkmcnt(5)
	v_cvt_f32_f16_e32 v4, v4
	s_waitcnt lgkmcnt(4)
	v_cvt_f32_f16_e32 v5, v5
	s_waitcnt lgkmcnt(3)
	v_cvt_f32_f16_e32 v6, v6
	v_add_f32_e32 v2, v2, v3
	ds_load_u16 v3, v68 offset:768
	ds_load_u16 v10, v68 offset:256
	s_load_b32 s3, s[0:1], 0xd4
	ds_bpermute_b32 v1, v1, v2
	v_add_f32_e32 v4, 0, v4
	s_waitcnt lgkmcnt(0)
	s_cmp_eq_u32 s3, 1
	s_cselect_b32 s1, -1, 0
	v_add_f32_e32 v1, v2, v1
	v_add_f32_e32 v4, v4, v5
	v_cvt_f32_f16_e32 v5, v8
	v_cvt_f32_f16_e32 v2, v3
	s_add_i32 s2, s2, s13
	s_delay_alu instid0(VALU_DEP_3) | instskip(SKIP_2) | instid1(SALU_CYCLE_1)
	v_add_f32_e32 v4, v4, v6
	v_cvt_f32_f16_e32 v6, v10
	s_mul_i32 s2, s2, s35
	s_add_i32 s2, s2, s36
	s_delay_alu instid0(VALU_DEP_1) | instskip(SKIP_3) | instid1(VALU_DEP_3)
	v_dual_add_f32 v8, v4, v5 :: v_dual_add_f32 v3, 0, v6
	v_cvt_f32_f16_e32 v5, v9
	v_cvt_f32_f16_e32 v6, v7
	s_mul_i32 s2, s3, s2
	v_div_scale_f32 v4, null, v1, v1, v8
	v_add_f32_e32 v2, v3, v2
	v_div_scale_f32 v7, vcc_lo, v8, v1, v8
	s_delay_alu instid0(VALU_DEP_3) | instskip(SKIP_1) | instid1(VALU_DEP_2)
	v_rcp_f32_e32 v3, v4
	s_add_i32 s2, s2, s14
	v_add_f32_e32 v2, v2, v5
	s_cmp_lg_u32 s3, 1
	s_mov_b32 s3, 0
	s_delay_alu instid0(VALU_DEP_1) | instskip(SKIP_3) | instid1(VALU_DEP_2)
	v_add_f32_e32 v6, v2, v6
	s_waitcnt_depctr 0xfff
	v_fma_f32 v2, -v4, v3, 1.0
	v_div_scale_f32 v5, null, v1, v1, v6
	v_fmac_f32_e32 v3, v2, v3
	s_delay_alu instid0(VALU_DEP_2) | instskip(NEXT) | instid1(VALU_DEP_1)
	v_rcp_f32_e32 v9, v5
	v_mul_f32_e32 v2, v7, v3
	s_delay_alu instid0(VALU_DEP_1) | instskip(SKIP_4) | instid1(VALU_DEP_3)
	v_fma_f32 v10, -v4, v2, v7
	s_waitcnt_depctr 0xfff
	v_fma_f32 v11, -v5, v9, 1.0
	v_fmac_f32_e32 v2, v10, v3
	v_div_scale_f32 v10, s0, v6, v1, v6
	v_fmac_f32_e32 v9, v11, v9
	s_delay_alu instid0(VALU_DEP_3) | instskip(NEXT) | instid1(VALU_DEP_2)
	v_fma_f32 v4, -v4, v2, v7
	v_mul_f32_e32 v7, v10, v9
	s_delay_alu instid0(VALU_DEP_2) | instskip(SKIP_1) | instid1(VALU_DEP_2)
	v_div_fmas_f32 v2, v4, v3, v2
	s_mov_b32 vcc_lo, s0
	v_fma_f32 v3, -v5, v7, v10
	s_delay_alu instid0(VALU_DEP_2) | instskip(SKIP_1) | instid1(VALU_DEP_3)
	v_div_fixup_f32 v11, v2, v1, v8
	v_lshl_or_b32 v2, s2, 8, v67
	v_fmac_f32_e32 v7, v3, v9
	v_mov_b32_e32 v3, 0
	s_delay_alu instid0(VALU_DEP_2) | instskip(NEXT) | instid1(VALU_DEP_1)
	v_fma_f32 v4, -v5, v7, v10
	v_div_fmas_f32 v7, v4, v9, v7
	s_delay_alu instid0(VALU_DEP_3) | instskip(SKIP_1) | instid1(VALU_DEP_3)
	v_lshlrev_b64 v[4:5], 2, v[2:3]
	v_cmp_eq_u32_e32 vcc_lo, 0, v67
	v_div_fixup_f32 v2, v7, v1, v6
	v_cndmask_b32_e64 v7, v8, v11, s1
	s_delay_alu instid0(VALU_DEP_4) | instskip(NEXT) | instid1(VALU_DEP_1)
	v_add_co_u32 v4, s0, s28, v4
	v_add_co_ci_u32_e64 v5, s0, s29, v5, s0
	s_delay_alu instid0(VALU_DEP_4)
	v_cndmask_b32_e64 v2, v6, v2, s1
	s_cselect_b32 s0, -1, 0
	s_clause 0x1
	global_store_b32 v[4:5], v7, off
	global_store_b32 v[4:5], v2, off offset:512
	s_and_b32 s0, vcc_lo, s0
	s_delay_alu instid0(SALU_CYCLE_1)
	s_and_saveexec_b32 s1, s0
	s_cbranch_execz .LBB23_31
; %bb.30:
	s_lshl_b64 s[0:1], s[2:3], 3
	s_delay_alu instid0(SALU_CYCLE_1)
	s_add_u32 s0, s30, s0
	s_addc_u32 s1, s31, s1
	global_store_b64 v3, v[0:1], s[0:1]
.LBB23_31:
	s_nop 0
	s_sendmsg sendmsg(MSG_DEALLOC_VGPRS)
	s_endpgm
	.section	.rodata,"a",@progbits
	.p2align	6, 0x0
	.amdhsa_kernel _ZL18flash_attn_ext_vecILi256ELi1EL9ggml_type6ELS0_3ELb0EEvPKcS2_S2_S2_S2_PKiPfP15HIP_vector_typeIfLj2EEffffjfiS6_IjLj3EEiiiiiiiiiiiliiliiiiil
		.amdhsa_group_segment_fixed_size 2304
		.amdhsa_private_segment_fixed_size 0
		.amdhsa_kernarg_size 464
		.amdhsa_user_sgpr_count 13
		.amdhsa_user_sgpr_dispatch_ptr 0
		.amdhsa_user_sgpr_queue_ptr 0
		.amdhsa_user_sgpr_kernarg_segment_ptr 1
		.amdhsa_user_sgpr_dispatch_id 0
		.amdhsa_user_sgpr_private_segment_size 0
		.amdhsa_wavefront_size32 1
		.amdhsa_uses_dynamic_stack 0
		.amdhsa_enable_private_segment 0
		.amdhsa_system_sgpr_workgroup_id_x 1
		.amdhsa_system_sgpr_workgroup_id_y 1
		.amdhsa_system_sgpr_workgroup_id_z 1
		.amdhsa_system_sgpr_workgroup_info 0
		.amdhsa_system_vgpr_workitem_id 1
		.amdhsa_next_free_vgpr 190
		.amdhsa_next_free_sgpr 50
		.amdhsa_reserve_vcc 1
		.amdhsa_float_round_mode_32 0
		.amdhsa_float_round_mode_16_64 0
		.amdhsa_float_denorm_mode_32 3
		.amdhsa_float_denorm_mode_16_64 3
		.amdhsa_dx10_clamp 1
		.amdhsa_ieee_mode 1
		.amdhsa_fp16_overflow 0
		.amdhsa_workgroup_processor_mode 1
		.amdhsa_memory_ordered 1
		.amdhsa_forward_progress 0
		.amdhsa_shared_vgpr_count 0
		.amdhsa_exception_fp_ieee_invalid_op 0
		.amdhsa_exception_fp_denorm_src 0
		.amdhsa_exception_fp_ieee_div_zero 0
		.amdhsa_exception_fp_ieee_overflow 0
		.amdhsa_exception_fp_ieee_underflow 0
		.amdhsa_exception_fp_ieee_inexact 0
		.amdhsa_exception_int_div_zero 0
	.end_amdhsa_kernel
	.section	.text._ZL18flash_attn_ext_vecILi256ELi1EL9ggml_type6ELS0_3ELb0EEvPKcS2_S2_S2_S2_PKiPfP15HIP_vector_typeIfLj2EEffffjfiS6_IjLj3EEiiiiiiiiiiiliiliiiiil,"axG",@progbits,_ZL18flash_attn_ext_vecILi256ELi1EL9ggml_type6ELS0_3ELb0EEvPKcS2_S2_S2_S2_PKiPfP15HIP_vector_typeIfLj2EEffffjfiS6_IjLj3EEiiiiiiiiiiiliiliiiiil,comdat
.Lfunc_end23:
	.size	_ZL18flash_attn_ext_vecILi256ELi1EL9ggml_type6ELS0_3ELb0EEvPKcS2_S2_S2_S2_PKiPfP15HIP_vector_typeIfLj2EEffffjfiS6_IjLj3EEiiiiiiiiiiiliiliiiiil, .Lfunc_end23-_ZL18flash_attn_ext_vecILi256ELi1EL9ggml_type6ELS0_3ELb0EEvPKcS2_S2_S2_S2_PKiPfP15HIP_vector_typeIfLj2EEffffjfiS6_IjLj3EEiiiiiiiiiiiliiliiiiil
                                        ; -- End function
	.section	.AMDGPU.csdata,"",@progbits
; Kernel info:
; codeLenInByte = 28684
; NumSgprs: 52
; NumVgprs: 190
; ScratchSize: 0
; MemoryBound: 0
; FloatMode: 240
; IeeeMode: 1
; LDSByteSize: 2304 bytes/workgroup (compile time only)
; SGPRBlocks: 6
; VGPRBlocks: 23
; NumSGPRsForWavesPerEU: 52
; NumVGPRsForWavesPerEU: 190
; Occupancy: 8
; WaveLimiterHint : 0
; COMPUTE_PGM_RSRC2:SCRATCH_EN: 0
; COMPUTE_PGM_RSRC2:USER_SGPR: 13
; COMPUTE_PGM_RSRC2:TRAP_HANDLER: 0
; COMPUTE_PGM_RSRC2:TGID_X_EN: 1
; COMPUTE_PGM_RSRC2:TGID_Y_EN: 1
; COMPUTE_PGM_RSRC2:TGID_Z_EN: 1
; COMPUTE_PGM_RSRC2:TIDIG_COMP_CNT: 1
	.section	.text._ZL33flash_attn_stream_k_fixup_uniformILi256ELi1ELi1EEvPfPK15HIP_vector_typeIfLj2EEiiiiiiS1_IjLj3EES5_S5_,"axG",@progbits,_ZL33flash_attn_stream_k_fixup_uniformILi256ELi1ELi1EEvPfPK15HIP_vector_typeIfLj2EEiiiiiiS1_IjLj3EES5_S5_,comdat
	.globl	_ZL33flash_attn_stream_k_fixup_uniformILi256ELi1ELi1EEvPfPK15HIP_vector_typeIfLj2EEiiiiiiS1_IjLj3EES5_S5_ ; -- Begin function _ZL33flash_attn_stream_k_fixup_uniformILi256ELi1ELi1EEvPfPK15HIP_vector_typeIfLj2EEiiiiiiS1_IjLj3EES5_S5_
	.p2align	8
	.type	_ZL33flash_attn_stream_k_fixup_uniformILi256ELi1ELi1EEvPfPK15HIP_vector_typeIfLj2EEiiiiiiS1_IjLj3EES5_S5_,@function
_ZL33flash_attn_stream_k_fixup_uniformILi256ELi1ELi1EEvPfPK15HIP_vector_typeIfLj2EEiiiiiiS1_IjLj3EES5_S5_: ; @_ZL33flash_attn_stream_k_fixup_uniformILi256ELi1ELi1EEvPfPK15HIP_vector_typeIfLj2EEiiiiiiS1_IjLj3EES5_S5_
; %bb.0:
	s_clause 0x1
	s_load_b256 s[4:11], s[0:1], 0x1c
	s_load_b128 s[16:19], s[0:1], 0x3c
	s_waitcnt lgkmcnt(0)
	s_mul_hi_u32 s2, s7, s13
	s_delay_alu instid0(SALU_CYCLE_1) | instskip(NEXT) | instid1(SALU_CYCLE_1)
	s_add_i32 s2, s13, s2
	s_lshr_b32 s7, s2, s8
	s_delay_alu instid0(SALU_CYCLE_1) | instskip(SKIP_2) | instid1(SALU_CYCLE_1)
	s_mul_i32 s2, s7, s9
	s_load_b64 s[8:9], s[0:1], 0x10
	s_sub_i32 s2, s13, s2
	s_mul_hi_u32 s3, s2, s10
	s_delay_alu instid0(SALU_CYCLE_1) | instskip(NEXT) | instid1(SALU_CYCLE_1)
	s_add_i32 s3, s2, s3
	s_lshr_b32 s10, s3, s11
	s_delay_alu instid0(SALU_CYCLE_1) | instskip(NEXT) | instid1(SALU_CYCLE_1)
	s_mul_i32 s3, s10, s16
	s_sub_i32 s2, s2, s3
	s_delay_alu instid0(SALU_CYCLE_1) | instskip(NEXT) | instid1(SALU_CYCLE_1)
	s_mul_hi_u32 s3, s2, s17
	s_add_i32 s3, s2, s3
	s_delay_alu instid0(SALU_CYCLE_1) | instskip(NEXT) | instid1(SALU_CYCLE_1)
	s_lshr_b32 s12, s3, s18
	s_mul_i32 s3, s12, s19
	s_delay_alu instid0(SALU_CYCLE_1) | instskip(NEXT) | instid1(SALU_CYCLE_1)
	s_sub_i32 s11, s2, s3
	s_add_i32 s11, s11, s14
	s_waitcnt lgkmcnt(0)
	s_cmp_lt_i32 s11, s8
	s_cselect_b32 s2, -1, 0
	s_add_i32 s12, s12, s15
	s_delay_alu instid0(SALU_CYCLE_1) | instskip(SKIP_1) | instid1(SALU_CYCLE_1)
	s_cmp_lt_i32 s12, s5
	s_cselect_b32 s3, -1, 0
	s_and_b32 s2, s2, s3
	s_delay_alu instid0(SALU_CYCLE_1)
	s_and_not1_b32 vcc_lo, exec_lo, s2
	s_cbranch_vccnz .LBB24_6
; %bb.1:
	s_mul_i32 s7, s7, s8
	s_mul_i32 s10, s10, s5
	s_add_i32 s5, s11, s7
	s_load_b128 s[0:3], s[0:1], 0x0
	s_add_i32 s7, s12, s10
	s_mul_i32 s5, s5, s9
	s_delay_alu instid0(SALU_CYCLE_1) | instskip(SKIP_4) | instid1(SALU_CYCLE_1)
	s_add_i32 s7, s7, s5
	s_mul_i32 s5, s13, s6
	v_lshl_or_b32 v1, s7, 8, v0
	s_add_i32 s7, s14, s15
	s_add_i32 s6, s5, s6
	;; [unrolled: 1-line block ×3, first 2 shown]
	s_delay_alu instid0(VALU_DEP_1) | instskip(NEXT) | instid1(VALU_DEP_1)
	v_ashrrev_i32_e32 v2, 31, v1
	v_lshlrev_b64 v[1:2], 2, v[1:2]
	s_waitcnt lgkmcnt(0)
	s_delay_alu instid0(VALU_DEP_1) | instskip(NEXT) | instid1(VALU_DEP_2)
	v_add_co_u32 v1, vcc_lo, s0, v1
	v_add_co_ci_u32_e32 v2, vcc_lo, s1, v2, vcc_lo
	s_add_i32 s0, s8, -1
	s_delay_alu instid0(SALU_CYCLE_1) | instskip(SKIP_2) | instid1(SALU_CYCLE_1)
	s_ashr_i32 s1, s0, 31
	global_load_b32 v5, v[1:2], off
	s_lshl_b64 s[0:1], s[0:1], 3
	s_add_u32 s0, s2, s0
	s_addc_u32 s1, s3, s1
	s_add_i32 s10, s6, -2
	s_load_b32 s9, s[0:1], 0x4
	s_cmp_lt_i32 s10, s5
	s_cbranch_scc1 .LBB24_4
; %bb.2:
	s_load_b32 s10, s[0:1], 0x0
	v_lshl_or_b32 v0, s8, 8, v0
	s_lshl_b32 s0, s4, 2
	s_waitcnt lgkmcnt(0)
	v_mov_b32_e32 v6, s9
	s_ashr_i32 s1, s0, 31
	s_delay_alu instid0(SALU_CYCLE_1)
	s_lshl_b64 s[0:1], s[0:1], 2
	v_add_nc_u32_e32 v3, 0xfffffe00, v0
	s_add_u32 s0, s2, s0
	s_addc_u32 s1, s3, s1
	s_add_i32 s6, s6, -1
	s_add_i32 s4, s7, s4
	v_mov_b32_e32 v0, s10
.LBB24_3:                               ; =>This Inner Loop Header: Depth=1
	s_delay_alu instid0(VALU_DEP_2) | instskip(SKIP_1) | instid1(SALU_CYCLE_1)
	v_ashrrev_i32_e32 v4, 31, v3
	s_add_i32 s6, s6, -1
	s_add_i32 s8, s6, s4
	s_delay_alu instid0(SALU_CYCLE_1) | instskip(NEXT) | instid1(VALU_DEP_1)
	s_ashr_i32 s9, s8, 31
	v_lshlrev_b64 v[7:8], 2, v[3:4]
	s_lshl_b64 s[8:9], s[8:9], 3
	s_delay_alu instid0(SALU_CYCLE_1) | instskip(SKIP_2) | instid1(VALU_DEP_1)
	s_add_u32 s8, s2, s8
	s_addc_u32 s9, s3, s9
	s_cmp_le_i32 s6, s5
	v_add_co_u32 v7, vcc_lo, s0, v7
	v_add_co_ci_u32_e32 v8, vcc_lo, s1, v8, vcc_lo
	s_load_b64 s[8:9], s[8:9], 0x0
	global_load_b32 v4, v[7:8], off
	v_max_f32_e32 v7, v0, v0
	s_waitcnt lgkmcnt(0)
	v_max_f32_e64 v8, s8, s8
	s_delay_alu instid0(VALU_DEP_1) | instskip(NEXT) | instid1(VALU_DEP_1)
	v_max_f32_e32 v7, v7, v8
	v_sub_f32_e32 v8, s8, v7
	s_delay_alu instid0(VALU_DEP_1) | instskip(NEXT) | instid1(VALU_DEP_1)
	v_dual_sub_f32 v0, v0, v7 :: v_dual_mul_f32 v9, 0x3fb8aa3b, v8
	v_fma_f32 v10, 0x3fb8aa3b, v8, -v9
	v_rndne_f32_e32 v11, v9
	s_delay_alu instid0(VALU_DEP_3) | instskip(NEXT) | instid1(VALU_DEP_2)
	v_mul_f32_e32 v12, 0x3fb8aa3b, v0
	v_dual_fmac_f32 v10, 0x32a5705f, v8 :: v_dual_sub_f32 v9, v9, v11
	v_cvt_i32_f32_e32 v11, v11
	s_delay_alu instid0(VALU_DEP_3) | instskip(SKIP_1) | instid1(VALU_DEP_4)
	v_fma_f32 v13, 0x3fb8aa3b, v0, -v12
	v_rndne_f32_e32 v14, v12
	v_add_f32_e32 v9, v9, v10
	v_cmp_ngt_f32_e32 vcc_lo, 0xc2ce8ed0, v8
	s_delay_alu instid0(VALU_DEP_3) | instskip(NEXT) | instid1(VALU_DEP_3)
	v_sub_f32_e32 v10, v12, v14
	v_exp_f32_e32 v9, v9
	s_waitcnt_depctr 0xfff
	v_ldexp_f32 v9, v9, v11
	v_cvt_i32_f32_e32 v11, v14
	s_delay_alu instid0(VALU_DEP_2) | instskip(SKIP_1) | instid1(VALU_DEP_2)
	v_cndmask_b32_e32 v9, 0, v9, vcc_lo
	v_cmp_nlt_f32_e32 vcc_lo, 0x42b17218, v8
	v_cndmask_b32_e32 v9, 0x7f800000, v9, vcc_lo
	v_cmp_ngt_f32_e32 vcc_lo, 0xc2ce8ed0, v0
	v_fmac_f32_e32 v13, 0x32a5705f, v0
	s_delay_alu instid0(VALU_DEP_1) | instskip(NEXT) | instid1(VALU_DEP_1)
	v_add_f32_e32 v10, v10, v13
	v_exp_f32_e32 v10, v10
	s_waitcnt_depctr 0xfff
	v_ldexp_f32 v10, v10, v11
	s_delay_alu instid0(VALU_DEP_1)
	v_dual_mov_b32 v11, v6 :: v_dual_cndmask_b32 v10, 0, v10
	v_cmp_le_f32_e32 vcc_lo, 0xc1a00000, v8
	s_waitcnt vmcnt(1)
	v_dual_cndmask_b32 v8, 0, v9 :: v_dual_mov_b32 v9, v5
	v_cmp_nlt_f32_e32 vcc_lo, 0x42b17218, v0
	v_cndmask_b32_e32 v5, 0x7f800000, v10, vcc_lo
	s_delay_alu instid0(VALU_DEP_3) | instskip(SKIP_2) | instid1(VALU_DEP_3)
	v_mul_f32_e32 v10, s9, v8
	v_cmp_le_f32_e32 vcc_lo, 0xc1a00000, v0
	v_mov_b32_e32 v0, v7
	v_mov_b32_e32 v6, v10
	s_waitcnt vmcnt(0)
	v_dual_cndmask_b32 v12, 0, v5 :: v_dual_mul_f32 v5, v4, v8
	s_delay_alu instid0(VALU_DEP_1) | instskip(NEXT) | instid1(VALU_DEP_2)
	v_dual_fmac_f32 v6, v11, v12 :: v_dual_add_nc_u32 v3, 0xffffff00, v3
	v_fmac_f32_e32 v5, v9, v12
	s_cbranch_scc0 .LBB24_3
	s_branch .LBB24_5
.LBB24_4:
	s_waitcnt lgkmcnt(0)
	v_mov_b32_e32 v6, s9
.LBB24_5:
	s_waitcnt vmcnt(0)
	s_delay_alu instid0(VALU_DEP_1) | instskip(NEXT) | instid1(VALU_DEP_1)
	v_div_scale_f32 v0, null, v6, v6, v5
	v_rcp_f32_e32 v3, v0
	s_waitcnt_depctr 0xfff
	v_fma_f32 v4, -v0, v3, 1.0
	s_delay_alu instid0(VALU_DEP_1) | instskip(SKIP_1) | instid1(VALU_DEP_1)
	v_fmac_f32_e32 v3, v4, v3
	v_div_scale_f32 v4, vcc_lo, v5, v6, v5
	v_mul_f32_e32 v7, v4, v3
	s_delay_alu instid0(VALU_DEP_1) | instskip(NEXT) | instid1(VALU_DEP_1)
	v_fma_f32 v8, -v0, v7, v4
	v_fmac_f32_e32 v7, v8, v3
	s_delay_alu instid0(VALU_DEP_1) | instskip(NEXT) | instid1(VALU_DEP_1)
	v_fma_f32 v0, -v0, v7, v4
	v_div_fmas_f32 v0, v0, v3, v7
	s_delay_alu instid0(VALU_DEP_1)
	v_div_fixup_f32 v0, v0, v6, v5
	global_store_b32 v[1:2], v0, off
.LBB24_6:
	s_nop 0
	s_sendmsg sendmsg(MSG_DEALLOC_VGPRS)
	s_endpgm
	.section	.rodata,"a",@progbits
	.p2align	6, 0x0
	.amdhsa_kernel _ZL33flash_attn_stream_k_fixup_uniformILi256ELi1ELi1EEvPfPK15HIP_vector_typeIfLj2EEiiiiiiS1_IjLj3EES5_S5_
		.amdhsa_group_segment_fixed_size 0
		.amdhsa_private_segment_fixed_size 0
		.amdhsa_kernarg_size 76
		.amdhsa_user_sgpr_count 13
		.amdhsa_user_sgpr_dispatch_ptr 0
		.amdhsa_user_sgpr_queue_ptr 0
		.amdhsa_user_sgpr_kernarg_segment_ptr 1
		.amdhsa_user_sgpr_dispatch_id 0
		.amdhsa_user_sgpr_private_segment_size 0
		.amdhsa_wavefront_size32 1
		.amdhsa_uses_dynamic_stack 0
		.amdhsa_enable_private_segment 0
		.amdhsa_system_sgpr_workgroup_id_x 1
		.amdhsa_system_sgpr_workgroup_id_y 1
		.amdhsa_system_sgpr_workgroup_id_z 1
		.amdhsa_system_sgpr_workgroup_info 0
		.amdhsa_system_vgpr_workitem_id 0
		.amdhsa_next_free_vgpr 15
		.amdhsa_next_free_sgpr 20
		.amdhsa_reserve_vcc 1
		.amdhsa_float_round_mode_32 0
		.amdhsa_float_round_mode_16_64 0
		.amdhsa_float_denorm_mode_32 3
		.amdhsa_float_denorm_mode_16_64 3
		.amdhsa_dx10_clamp 1
		.amdhsa_ieee_mode 1
		.amdhsa_fp16_overflow 0
		.amdhsa_workgroup_processor_mode 1
		.amdhsa_memory_ordered 1
		.amdhsa_forward_progress 0
		.amdhsa_shared_vgpr_count 0
		.amdhsa_exception_fp_ieee_invalid_op 0
		.amdhsa_exception_fp_denorm_src 0
		.amdhsa_exception_fp_ieee_div_zero 0
		.amdhsa_exception_fp_ieee_overflow 0
		.amdhsa_exception_fp_ieee_underflow 0
		.amdhsa_exception_fp_ieee_inexact 0
		.amdhsa_exception_int_div_zero 0
	.end_amdhsa_kernel
	.section	.text._ZL33flash_attn_stream_k_fixup_uniformILi256ELi1ELi1EEvPfPK15HIP_vector_typeIfLj2EEiiiiiiS1_IjLj3EES5_S5_,"axG",@progbits,_ZL33flash_attn_stream_k_fixup_uniformILi256ELi1ELi1EEvPfPK15HIP_vector_typeIfLj2EEiiiiiiS1_IjLj3EES5_S5_,comdat
.Lfunc_end24:
	.size	_ZL33flash_attn_stream_k_fixup_uniformILi256ELi1ELi1EEvPfPK15HIP_vector_typeIfLj2EEiiiiiiS1_IjLj3EES5_S5_, .Lfunc_end24-_ZL33flash_attn_stream_k_fixup_uniformILi256ELi1ELi1EEvPfPK15HIP_vector_typeIfLj2EEiiiiiiS1_IjLj3EES5_S5_
                                        ; -- End function
	.section	.AMDGPU.csdata,"",@progbits
; Kernel info:
; codeLenInByte = 916
; NumSgprs: 22
; NumVgprs: 15
; ScratchSize: 0
; MemoryBound: 0
; FloatMode: 240
; IeeeMode: 1
; LDSByteSize: 0 bytes/workgroup (compile time only)
; SGPRBlocks: 2
; VGPRBlocks: 1
; NumSGPRsForWavesPerEU: 22
; NumVGPRsForWavesPerEU: 15
; Occupancy: 16
; WaveLimiterHint : 0
; COMPUTE_PGM_RSRC2:SCRATCH_EN: 0
; COMPUTE_PGM_RSRC2:USER_SGPR: 13
; COMPUTE_PGM_RSRC2:TRAP_HANDLER: 0
; COMPUTE_PGM_RSRC2:TGID_X_EN: 1
; COMPUTE_PGM_RSRC2:TGID_Y_EN: 1
; COMPUTE_PGM_RSRC2:TGID_Z_EN: 1
; COMPUTE_PGM_RSRC2:TIDIG_COMP_CNT: 0
	.section	.text._ZL33flash_attn_stream_k_fixup_generalILi256ELi1ELi1EEvPfPK15HIP_vector_typeIfLj2EEiiiiS1_IjLj3EES5_S5_S5_,"axG",@progbits,_ZL33flash_attn_stream_k_fixup_generalILi256ELi1ELi1EEvPfPK15HIP_vector_typeIfLj2EEiiiiS1_IjLj3EES5_S5_S5_,comdat
	.globl	_ZL33flash_attn_stream_k_fixup_generalILi256ELi1ELi1EEvPfPK15HIP_vector_typeIfLj2EEiiiiS1_IjLj3EES5_S5_S5_ ; -- Begin function _ZL33flash_attn_stream_k_fixup_generalILi256ELi1ELi1EEvPfPK15HIP_vector_typeIfLj2EEiiiiS1_IjLj3EES5_S5_S5_
	.p2align	8
	.type	_ZL33flash_attn_stream_k_fixup_generalILi256ELi1ELi1EEvPfPK15HIP_vector_typeIfLj2EEiiiiS1_IjLj3EES5_S5_S5_,@function
_ZL33flash_attn_stream_k_fixup_generalILi256ELi1ELi1EEvPfPK15HIP_vector_typeIfLj2EEiiiiS1_IjLj3EES5_S5_S5_: ; @_ZL33flash_attn_stream_k_fixup_generalILi256ELi1ELi1EEvPfPK15HIP_vector_typeIfLj2EEiiiiS1_IjLj3EES5_S5_S5_
; %bb.0:
	s_clause 0x1
	s_load_b128 s[4:7], s[0:1], 0x10
	s_load_b32 s20, s[0:1], 0x50
	s_mov_b32 s2, 0
	s_waitcnt lgkmcnt(0)
	s_mul_hi_i32 s3, s7, s13
	s_mul_i32 s12, s7, s13
	s_cmp_lg_u64 s[2:3], 0
	s_cbranch_scc0 .LBB25_21
; %bb.1:
	v_cvt_f32_ubyte0_e32 v1, 0
	v_cvt_f32_u32_e32 v2, s20
	s_sub_u32 s10, 0, s20
	s_subb_u32 s11, 0, 0
	s_delay_alu instid0(VALU_DEP_1) | instskip(NEXT) | instid1(VALU_DEP_1)
	v_fmamk_f32 v1, v1, 0x4f800000, v2
	v_rcp_f32_e32 v1, v1
	s_waitcnt_depctr 0xfff
	v_mul_f32_e32 v1, 0x5f7ffffc, v1
	s_delay_alu instid0(VALU_DEP_1) | instskip(NEXT) | instid1(VALU_DEP_1)
	v_mul_f32_e32 v2, 0x2f800000, v1
	v_trunc_f32_e32 v2, v2
	s_delay_alu instid0(VALU_DEP_1) | instskip(SKIP_1) | instid1(VALU_DEP_2)
	v_fmamk_f32 v1, v2, 0xcf800000, v1
	v_cvt_u32_f32_e32 v2, v2
	v_cvt_u32_f32_e32 v1, v1
	s_delay_alu instid0(VALU_DEP_2) | instskip(NEXT) | instid1(VALU_DEP_2)
	v_readfirstlane_b32 s8, v2
	v_readfirstlane_b32 s9, v1
	s_delay_alu instid0(VALU_DEP_2) | instskip(NEXT) | instid1(VALU_DEP_1)
	s_mul_i32 s16, s10, s8
	s_mul_hi_u32 s18, s10, s9
	s_mul_i32 s17, s11, s9
	s_add_i32 s16, s18, s16
	s_mul_i32 s19, s10, s9
	s_add_i32 s16, s16, s17
	s_mul_hi_u32 s18, s9, s19
	s_mul_hi_u32 s21, s8, s19
	s_mul_i32 s17, s8, s19
	s_mul_hi_u32 s19, s9, s16
	s_mul_i32 s9, s9, s16
	s_mul_hi_u32 s22, s8, s16
	s_add_u32 s9, s18, s9
	s_addc_u32 s18, 0, s19
	s_add_u32 s9, s9, s17
	s_mul_i32 s16, s8, s16
	s_addc_u32 s9, s18, s21
	s_addc_u32 s17, s22, 0
	s_add_u32 s9, s9, s16
	s_addc_u32 s16, 0, s17
	v_add_co_u32 v1, s9, v1, s9
	s_delay_alu instid0(VALU_DEP_1) | instskip(SKIP_1) | instid1(VALU_DEP_1)
	s_cmp_lg_u32 s9, 0
	s_addc_u32 s8, s8, s16
	v_readfirstlane_b32 s9, v1
	s_mul_i32 s16, s10, s8
	s_delay_alu instid0(VALU_DEP_1)
	s_mul_hi_u32 s17, s10, s9
	s_mul_i32 s11, s11, s9
	s_add_i32 s16, s17, s16
	s_mul_i32 s10, s10, s9
	s_add_i32 s16, s16, s11
	s_mul_hi_u32 s17, s8, s10
	s_mul_i32 s18, s8, s10
	s_mul_hi_u32 s10, s9, s10
	s_mul_hi_u32 s19, s9, s16
	s_mul_i32 s9, s9, s16
	s_mul_hi_u32 s11, s8, s16
	s_add_u32 s9, s10, s9
	s_addc_u32 s10, 0, s19
	s_add_u32 s9, s9, s18
	s_mul_i32 s16, s8, s16
	s_addc_u32 s9, s10, s17
	s_addc_u32 s10, s11, 0
	s_add_u32 s9, s9, s16
	s_addc_u32 s10, 0, s10
	v_add_co_u32 v1, s9, v1, s9
	s_delay_alu instid0(VALU_DEP_1) | instskip(SKIP_2) | instid1(SALU_CYCLE_1)
	s_cmp_lg_u32 s9, 0
	s_addc_u32 s16, s8, s10
	s_ashr_i32 s8, s3, 31
	s_add_u32 s10, s12, s8
	s_addc_u32 s11, s3, s8
	v_readfirstlane_b32 s3, v1
	s_mov_b32 s9, s8
	s_delay_alu instid0(SALU_CYCLE_1) | instskip(NEXT) | instid1(SALU_CYCLE_1)
	s_xor_b64 s[10:11], s[10:11], s[8:9]
	s_mul_i32 s18, s10, s16
	s_delay_alu instid0(VALU_DEP_1)
	s_mul_hi_u32 s19, s10, s3
	s_mul_hi_u32 s17, s10, s16
	;; [unrolled: 1-line block ×3, first 2 shown]
	s_mul_i32 s3, s11, s3
	s_add_u32 s18, s19, s18
	s_addc_u32 s17, 0, s17
	s_mul_hi_u32 s21, s11, s16
	s_add_u32 s3, s18, s3
	s_mul_i32 s16, s11, s16
	s_addc_u32 s3, s17, s22
	s_addc_u32 s17, s21, 0
	s_add_u32 s3, s3, s16
	s_addc_u32 s16, 0, s17
	s_mul_i32 s18, s20, s3
	s_add_u32 s17, s3, 1
	v_sub_co_u32 v1, s10, s10, s18
	s_mul_hi_u32 s18, s20, s3
	s_addc_u32 s19, s16, 0
	s_mul_i32 s21, s20, s16
	s_delay_alu instid0(VALU_DEP_1)
	v_sub_co_u32 v2, s22, v1, s20
	s_add_u32 s23, s3, 2
	s_addc_u32 s24, s16, 0
	s_add_i32 s18, s18, s21
	s_cmp_lg_u32 s10, 0
	v_readfirstlane_b32 s10, v2
	s_subb_u32 s11, s11, s18
	s_cmp_lg_u32 s22, 0
	s_subb_u32 s18, s11, 0
	s_delay_alu instid0(VALU_DEP_1) | instskip(SKIP_4) | instid1(SALU_CYCLE_1)
	s_cmp_ge_u32 s10, s20
	s_cselect_b32 s10, -1, 0
	s_cmp_eq_u32 s18, 0
	v_readfirstlane_b32 s18, v1
	s_cselect_b32 s10, s10, -1
	s_cmp_lg_u32 s10, 0
	s_cselect_b32 s10, s23, s17
	s_cselect_b32 s17, s24, s19
	s_cmp_ge_u32 s18, s20
	s_cselect_b32 s18, -1, 0
	s_cmp_eq_u32 s11, 0
	s_cselect_b32 s11, s18, -1
	s_delay_alu instid0(SALU_CYCLE_1) | instskip(SKIP_2) | instid1(SALU_CYCLE_1)
	s_cmp_lg_u32 s11, 0
	s_cselect_b32 s11, s17, s16
	s_cselect_b32 s10, s10, s3
	s_xor_b64 s[10:11], s[10:11], s[8:9]
	s_delay_alu instid0(SALU_CYCLE_1)
	s_sub_u32 s16, s10, s8
	s_load_b128 s[8:11], s[0:1], 0x44
	s_and_not1_b32 vcc_lo, exec_lo, s2
	s_cbranch_vccnz .LBB25_3
.LBB25_2:
	v_cvt_f32_u32_e32 v1, s20
	s_sub_i32 s3, 0, s20
	s_delay_alu instid0(VALU_DEP_1) | instskip(SKIP_2) | instid1(VALU_DEP_1)
	v_rcp_iflag_f32_e32 v1, v1
	s_waitcnt_depctr 0xfff
	v_mul_f32_e32 v1, 0x4f7ffffe, v1
	v_cvt_u32_f32_e32 v1, v1
	s_delay_alu instid0(VALU_DEP_1) | instskip(NEXT) | instid1(VALU_DEP_1)
	v_readfirstlane_b32 s2, v1
	s_mul_i32 s3, s3, s2
	s_delay_alu instid0(SALU_CYCLE_1) | instskip(NEXT) | instid1(SALU_CYCLE_1)
	s_mul_hi_u32 s3, s2, s3
	s_add_i32 s2, s2, s3
	s_delay_alu instid0(SALU_CYCLE_1) | instskip(NEXT) | instid1(SALU_CYCLE_1)
	s_mul_hi_u32 s2, s12, s2
	s_mul_i32 s3, s2, s20
	s_waitcnt lgkmcnt(0)
	s_add_i32 s11, s2, 1
	s_sub_i32 s3, s12, s3
	s_delay_alu instid0(SALU_CYCLE_1)
	s_sub_i32 s12, s3, s20
	s_cmp_ge_u32 s3, s20
	s_cselect_b32 s2, s11, s2
	s_cselect_b32 s3, s12, s3
	s_add_i32 s11, s2, 1
	s_cmp_ge_u32 s3, s20
	s_cselect_b32 s16, s11, s2
.LBB25_3:
	s_waitcnt lgkmcnt(0)
	s_add_i32 s11, s13, 1
	s_mov_b32 s2, 0
	s_mul_hi_i32 s3, s7, s11
	s_mul_i32 s11, s7, s11
	s_cmp_lg_u64 s[2:3], 0
	s_cbranch_scc0 .LBB25_22
; %bb.4:
	v_cvt_f32_ubyte0_e32 v1, 0
	v_cvt_f32_u32_e32 v2, s20
	s_sub_u32 s18, 0, s20
	s_subb_u32 s19, 0, 0
	s_delay_alu instid0(VALU_DEP_1) | instskip(NEXT) | instid1(VALU_DEP_1)
	v_fmamk_f32 v1, v1, 0x4f800000, v2
	v_rcp_f32_e32 v1, v1
	s_waitcnt_depctr 0xfff
	v_mul_f32_e32 v1, 0x5f7ffffc, v1
	s_delay_alu instid0(VALU_DEP_1) | instskip(NEXT) | instid1(VALU_DEP_1)
	v_mul_f32_e32 v2, 0x2f800000, v1
	v_trunc_f32_e32 v2, v2
	s_delay_alu instid0(VALU_DEP_1) | instskip(SKIP_1) | instid1(VALU_DEP_2)
	v_fmamk_f32 v1, v2, 0xcf800000, v1
	v_cvt_u32_f32_e32 v2, v2
	v_cvt_u32_f32_e32 v1, v1
	s_delay_alu instid0(VALU_DEP_2) | instskip(NEXT) | instid1(VALU_DEP_2)
	v_readfirstlane_b32 s12, v2
	v_readfirstlane_b32 s17, v1
	s_delay_alu instid0(VALU_DEP_2) | instskip(NEXT) | instid1(VALU_DEP_1)
	s_mul_i32 s21, s18, s12
	s_mul_hi_u32 s23, s18, s17
	s_mul_i32 s22, s19, s17
	s_add_i32 s21, s23, s21
	s_mul_i32 s24, s18, s17
	s_add_i32 s21, s21, s22
	s_mul_hi_u32 s23, s17, s24
	s_mul_hi_u32 s25, s12, s24
	s_mul_i32 s22, s12, s24
	s_mul_hi_u32 s24, s17, s21
	s_mul_i32 s17, s17, s21
	s_mul_hi_u32 s26, s12, s21
	s_add_u32 s17, s23, s17
	s_addc_u32 s23, 0, s24
	s_add_u32 s17, s17, s22
	s_mul_i32 s21, s12, s21
	s_addc_u32 s17, s23, s25
	s_addc_u32 s22, s26, 0
	s_add_u32 s17, s17, s21
	s_addc_u32 s21, 0, s22
	v_add_co_u32 v1, s17, v1, s17
	s_delay_alu instid0(VALU_DEP_1) | instskip(SKIP_1) | instid1(VALU_DEP_1)
	s_cmp_lg_u32 s17, 0
	s_addc_u32 s12, s12, s21
	v_readfirstlane_b32 s17, v1
	s_mul_i32 s21, s18, s12
	s_delay_alu instid0(VALU_DEP_1)
	s_mul_hi_u32 s22, s18, s17
	s_mul_i32 s19, s19, s17
	s_add_i32 s21, s22, s21
	s_mul_i32 s18, s18, s17
	s_add_i32 s21, s21, s19
	s_mul_hi_u32 s22, s12, s18
	s_mul_i32 s23, s12, s18
	s_mul_hi_u32 s18, s17, s18
	s_mul_hi_u32 s24, s17, s21
	s_mul_i32 s17, s17, s21
	s_mul_hi_u32 s19, s12, s21
	s_add_u32 s17, s18, s17
	s_addc_u32 s18, 0, s24
	s_add_u32 s17, s17, s23
	s_mul_i32 s21, s12, s21
	s_addc_u32 s17, s18, s22
	s_addc_u32 s18, s19, 0
	s_add_u32 s17, s17, s21
	s_addc_u32 s18, 0, s18
	v_add_co_u32 v1, s17, v1, s17
	s_delay_alu instid0(VALU_DEP_1) | instskip(SKIP_2) | instid1(SALU_CYCLE_1)
	s_cmp_lg_u32 s17, 0
	s_addc_u32 s12, s12, s18
	s_ashr_i32 s18, s3, 31
	s_add_u32 s22, s11, s18
	s_addc_u32 s23, s3, s18
	v_readfirstlane_b32 s3, v1
	s_mov_b32 s19, s18
	s_delay_alu instid0(SALU_CYCLE_1) | instskip(NEXT) | instid1(SALU_CYCLE_1)
	s_xor_b64 s[22:23], s[22:23], s[18:19]
	s_mul_i32 s21, s22, s12
	s_delay_alu instid0(VALU_DEP_1)
	s_mul_hi_u32 s24, s22, s3
	s_mul_hi_u32 s17, s22, s12
	;; [unrolled: 1-line block ×3, first 2 shown]
	s_mul_i32 s3, s23, s3
	s_add_u32 s21, s24, s21
	s_addc_u32 s17, 0, s17
	s_mul_hi_u32 s25, s23, s12
	s_add_u32 s3, s21, s3
	s_mul_i32 s12, s23, s12
	s_addc_u32 s3, s17, s26
	s_addc_u32 s17, s25, 0
	s_add_u32 s3, s3, s12
	s_addc_u32 s12, 0, s17
	s_mul_i32 s21, s20, s3
	s_add_u32 s17, s3, 1
	v_sub_co_u32 v1, s21, s22, s21
	s_mul_hi_u32 s22, s20, s3
	s_addc_u32 s24, s12, 0
	s_mul_i32 s25, s20, s12
	s_delay_alu instid0(VALU_DEP_1)
	v_sub_co_u32 v2, s26, v1, s20
	s_add_u32 s27, s3, 2
	s_addc_u32 s28, s12, 0
	s_add_i32 s22, s22, s25
	s_cmp_lg_u32 s21, 0
	v_readfirstlane_b32 s21, v2
	s_subb_u32 s22, s23, s22
	s_cmp_lg_u32 s26, 0
	s_subb_u32 s23, s22, 0
	s_delay_alu instid0(VALU_DEP_1) | instskip(SKIP_4) | instid1(SALU_CYCLE_1)
	s_cmp_ge_u32 s21, s20
	s_cselect_b32 s21, -1, 0
	s_cmp_eq_u32 s23, 0
	v_readfirstlane_b32 s23, v1
	s_cselect_b32 s21, s21, -1
	s_cmp_lg_u32 s21, 0
	s_cselect_b32 s17, s27, s17
	s_cselect_b32 s21, s28, s24
	s_cmp_ge_u32 s23, s20
	s_cselect_b32 s23, -1, 0
	s_cmp_eq_u32 s22, 0
	s_cselect_b32 s22, s23, -1
	s_delay_alu instid0(SALU_CYCLE_1) | instskip(SKIP_2) | instid1(SALU_CYCLE_1)
	s_cmp_lg_u32 s22, 0
	s_cselect_b32 s23, s21, s12
	s_cselect_b32 s22, s17, s3
	s_xor_b64 s[22:23], s[22:23], s[18:19]
	s_delay_alu instid0(SALU_CYCLE_1)
	s_sub_u32 s18, s22, s18
	s_and_not1_b32 vcc_lo, exec_lo, s2
	s_cbranch_vccnz .LBB25_6
.LBB25_5:
	v_cvt_f32_u32_e32 v1, s20
	s_sub_i32 s3, 0, s20
	s_delay_alu instid0(VALU_DEP_1) | instskip(SKIP_2) | instid1(VALU_DEP_1)
	v_rcp_iflag_f32_e32 v1, v1
	s_waitcnt_depctr 0xfff
	v_mul_f32_e32 v1, 0x4f7ffffe, v1
	v_cvt_u32_f32_e32 v1, v1
	s_delay_alu instid0(VALU_DEP_1) | instskip(NEXT) | instid1(VALU_DEP_1)
	v_readfirstlane_b32 s2, v1
	s_mul_i32 s3, s3, s2
	s_delay_alu instid0(SALU_CYCLE_1) | instskip(NEXT) | instid1(SALU_CYCLE_1)
	s_mul_hi_u32 s3, s2, s3
	s_add_i32 s2, s2, s3
	s_delay_alu instid0(SALU_CYCLE_1) | instskip(NEXT) | instid1(SALU_CYCLE_1)
	s_mul_hi_u32 s2, s11, s2
	s_mul_i32 s3, s2, s20
	s_delay_alu instid0(SALU_CYCLE_1)
	s_sub_i32 s3, s11, s3
	s_add_i32 s11, s2, 1
	s_sub_i32 s12, s3, s20
	s_cmp_ge_u32 s3, s20
	s_cselect_b32 s2, s11, s2
	s_cselect_b32 s3, s12, s3
	s_add_i32 s11, s2, 1
	s_cmp_ge_u32 s3, s20
	s_cselect_b32 s18, s11, s2
.LBB25_6:
	s_delay_alu instid0(SALU_CYCLE_1) | instskip(SKIP_3) | instid1(SALU_CYCLE_1)
	s_cmp_eq_u32 s16, s18
	s_mul_hi_u32 s2, s16, s8
	s_cselect_b32 s3, -1, 0
	s_add_i32 s2, s2, s16
	s_lshr_b32 s11, s2, s9
	s_delay_alu instid0(SALU_CYCLE_1) | instskip(NEXT) | instid1(SALU_CYCLE_1)
	s_mul_i32 s2, s11, s10
	s_cmp_eq_u32 s2, s16
	s_mul_hi_u32 s2, s18, s8
	s_cselect_b32 s12, -1, 0
	s_add_i32 s2, s2, s18
	s_delay_alu instid0(SALU_CYCLE_1) | instskip(NEXT) | instid1(SALU_CYCLE_1)
	s_lshr_b32 s2, s2, s9
	s_cmp_eq_u32 s11, s2
	s_mul_i32 s2, s2, s10
	s_cselect_b32 s17, -1, 0
	s_cmp_lg_u32 s2, s18
	s_cselect_b32 s2, -1, 0
	s_or_b32 s3, s3, s12
	s_and_b32 s2, s17, s2
	s_delay_alu instid0(SALU_CYCLE_1) | instskip(NEXT) | instid1(SALU_CYCLE_1)
	s_or_b32 s2, s3, s2
	s_and_b32 vcc_lo, exec_lo, s2
	s_cbranch_vccnz .LBB25_24
; %bb.7:
	s_load_b256 s[24:31], s[0:1], 0x20
	s_waitcnt lgkmcnt(0)
	s_mul_hi_u32 s2, s16, s24
	s_delay_alu instid0(SALU_CYCLE_1) | instskip(NEXT) | instid1(SALU_CYCLE_1)
	s_add_i32 s2, s2, s16
	s_lshr_b32 s17, s2, s25
	s_load_b32 s2, s[0:1], 0x40
	s_mul_i32 s3, s17, s26
	s_delay_alu instid0(SALU_CYCLE_1) | instskip(NEXT) | instid1(SALU_CYCLE_1)
	s_sub_i32 s3, s16, s3
	s_mul_hi_u32 s12, s3, s27
	s_delay_alu instid0(SALU_CYCLE_1) | instskip(NEXT) | instid1(SALU_CYCLE_1)
	s_add_i32 s12, s3, s12
	s_lshr_b32 s18, s12, s28
	s_delay_alu instid0(SALU_CYCLE_1) | instskip(NEXT) | instid1(SALU_CYCLE_1)
	s_mul_i32 s12, s18, s29
	s_sub_i32 s3, s3, s12
	s_delay_alu instid0(SALU_CYCLE_1) | instskip(NEXT) | instid1(SALU_CYCLE_1)
	s_mul_hi_u32 s12, s3, s30
	s_add_i32 s12, s3, s12
	s_delay_alu instid0(SALU_CYCLE_1) | instskip(SKIP_3) | instid1(SALU_CYCLE_1)
	s_lshr_b32 s21, s12, s31
	s_mov_b32 s12, 0
	s_waitcnt lgkmcnt(0)
	s_mul_i32 s2, s21, s2
	s_sub_i32 s2, s3, s2
	s_delay_alu instid0(SALU_CYCLE_1) | instskip(NEXT) | instid1(SALU_CYCLE_1)
	s_mul_hi_u32 s3, s2, s8
	s_add_i32 s2, s2, s3
	s_delay_alu instid0(SALU_CYCLE_1) | instskip(NEXT) | instid1(SALU_CYCLE_1)
	s_lshr_b32 s19, s2, s9
	s_add_i32 s19, s19, s14
	s_delay_alu instid0(SALU_CYCLE_1) | instskip(SKIP_2) | instid1(SALU_CYCLE_1)
	s_cmp_lt_i32 s19, s4
	s_cselect_b32 s2, -1, 0
	s_add_i32 s21, s21, s15
	s_cmp_lt_i32 s21, s6
	s_cselect_b32 s3, -1, 0
	s_delay_alu instid0(SALU_CYCLE_1) | instskip(NEXT) | instid1(SALU_CYCLE_1)
	s_and_b32 s2, s2, s3
	s_and_not1_b32 vcc_lo, exec_lo, s2
	s_cbranch_vccnz .LBB25_24
; %bb.8:
	s_load_b128 s[0:3], s[0:1], 0x0
	s_lshl_b32 s22, s20, 2
	s_mov_b32 s23, s12
	s_add_i32 s14, s14, s15
	s_lshl_b64 s[22:23], s[22:23], 2
	s_mul_i32 s17, s17, s4
	s_mul_i32 s18, s18, s6
	v_cvt_f32_ubyte0_e32 v4, 0
	v_cvt_f32_u32_e32 v5, s20
	s_waitcnt lgkmcnt(0)
	s_add_u32 s6, s2, s22
	s_addc_u32 s15, s3, s23
	s_add_i32 s4, s19, s17
	s_add_i32 s17, s21, s18
	s_mul_i32 s4, s4, s5
	s_delay_alu instid0(SALU_CYCLE_1) | instskip(NEXT) | instid1(SALU_CYCLE_1)
	s_add_i32 s17, s17, s4
	v_lshl_or_b32 v1, s17, 8, v0
	s_delay_alu instid0(VALU_DEP_1) | instskip(NEXT) | instid1(VALU_DEP_1)
	v_ashrrev_i32_e32 v2, 31, v1
	v_lshlrev_b64 v[1:2], 2, v[1:2]
	s_delay_alu instid0(VALU_DEP_1) | instskip(NEXT) | instid1(VALU_DEP_2)
	v_add_co_u32 v1, vcc_lo, s0, v1
	v_add_co_ci_u32_e32 v2, vcc_lo, s1, v2, vcc_lo
	s_add_i32 s0, s14, s13
	s_delay_alu instid0(SALU_CYCLE_1) | instskip(SKIP_2) | instid1(SALU_CYCLE_1)
	s_ashr_i32 s1, s0, 31
	global_load_b32 v3, v[1:2], off
	s_lshl_b64 s[0:1], s[0:1], 3
	s_add_u32 s0, s2, s0
	s_addc_u32 s1, s3, s1
	s_add_i32 s18, s13, -1
	s_load_b64 s[0:1], s[0:1], 0x0
	v_fmac_f32_e32 v5, 0x4f800000, v4
	s_sub_i32 s17, 0, s20
	s_waitcnt lgkmcnt(0)
	v_mov_b32_e32 v8, s0
	s_delay_alu instid0(VALU_DEP_2) | instskip(SKIP_2) | instid1(VALU_DEP_2)
	v_rcp_f32_e32 v4, v5
	v_cvt_f32_u32_e32 v5, s20
	v_mov_b32_e32 v7, s1
	v_rcp_iflag_f32_e32 v5, v5
	s_waitcnt_depctr 0xfff
	v_mul_f32_e32 v4, 0x5f7ffffc, v4
	s_delay_alu instid0(VALU_DEP_1) | instskip(SKIP_1) | instid1(VALU_DEP_2)
	v_mul_f32_e32 v6, 0x2f800000, v4
	v_mul_f32_e32 v9, 0x4f7ffffe, v5
	v_trunc_f32_e32 v6, v6
	s_delay_alu instid0(VALU_DEP_1) | instskip(SKIP_1) | instid1(VALU_DEP_4)
	v_fmac_f32_e32 v4, 0xcf800000, v6
	v_cvt_u32_f32_e32 v5, v6
	v_cvt_u32_f32_e32 v6, v9
	s_delay_alu instid0(VALU_DEP_3)
	v_cvt_u32_f32_e32 v4, v4
.LBB25_9:                               ; =>This Inner Loop Header: Depth=1
	s_mul_hi_i32 s13, s18, s7
	s_mul_i32 s4, s18, s7
	s_cmp_lg_u64 s[12:13], 0
	s_mov_b32 s5, -1
                                        ; implicit-def: $sgpr0_sgpr1
	s_cbranch_scc0 .LBB25_11
; %bb.10:                               ;   in Loop: Header=BB25_9 Depth=1
	v_readfirstlane_b32 s0, v4
	v_readfirstlane_b32 s1, v5
	s_sub_u32 s5, 0, s20
	s_subb_u32 s19, 0, 0
	s_delay_alu instid0(VALU_DEP_2) | instskip(NEXT) | instid1(VALU_DEP_1)
	s_mul_hi_u32 s21, s5, s0
	s_mul_i32 s22, s5, s1
	s_mul_i32 s23, s19, s0
	s_add_i32 s21, s21, s22
	s_mul_i32 s22, s5, s0
	s_add_i32 s21, s21, s23
	s_mul_hi_u32 s23, s0, s22
	s_mul_i32 s24, s0, s21
	s_mul_hi_u32 s0, s0, s21
	s_add_u32 s23, s23, s24
	s_mul_i32 s25, s1, s22
	s_addc_u32 s0, 0, s0
	s_mul_hi_u32 s22, s1, s22
	s_mul_hi_u32 s24, s1, s21
	s_add_u32 s23, s23, s25
	s_addc_u32 s0, s0, s22
	s_mul_i32 s21, s1, s21
	s_addc_u32 s22, s24, 0
	s_add_u32 s0, s0, s21
	s_addc_u32 s21, 0, s22
	v_add_co_u32 v9, s0, v4, s0
	s_delay_alu instid0(VALU_DEP_1) | instskip(SKIP_1) | instid1(VALU_DEP_1)
	s_cmp_lg_u32 s0, 0
	s_addc_u32 s1, s1, s21
	v_readfirstlane_b32 s0, v9
	s_mul_i32 s21, s5, s1
	s_delay_alu instid0(VALU_DEP_1)
	s_mul_hi_u32 s22, s5, s0
	s_mul_i32 s19, s19, s0
	s_add_i32 s21, s22, s21
	s_mul_i32 s5, s5, s0
	s_add_i32 s21, s21, s19
	s_mul_hi_u32 s19, s1, s5
	s_mul_i32 s23, s1, s5
	s_mul_i32 s24, s0, s21
	s_mul_hi_u32 s5, s0, s5
	s_mul_hi_u32 s0, s0, s21
	s_add_u32 s5, s5, s24
	s_addc_u32 s0, 0, s0
	s_mul_hi_u32 s22, s1, s21
	s_add_u32 s5, s5, s23
	s_addc_u32 s0, s0, s19
	s_mul_i32 s5, s1, s21
	s_addc_u32 s19, s22, 0
	s_add_u32 s0, s0, s5
	s_addc_u32 s5, 0, s19
	v_add_co_u32 v9, s0, v9, s0
	s_delay_alu instid0(VALU_DEP_1) | instskip(SKIP_2) | instid1(SALU_CYCLE_1)
	s_cmp_lg_u32 s0, 0
	s_addc_u32 s5, s1, s5
	s_ashr_i32 s0, s13, 31
	s_add_u32 s22, s4, s0
	s_addc_u32 s23, s13, s0
	v_readfirstlane_b32 s13, v9
	s_mov_b32 s1, s0
	s_delay_alu instid0(SALU_CYCLE_1) | instskip(NEXT) | instid1(SALU_CYCLE_1)
	s_xor_b64 s[22:23], s[22:23], s[0:1]
	s_mul_i32 s19, s22, s5
	s_delay_alu instid0(VALU_DEP_1)
	s_mul_hi_u32 s21, s22, s13
	s_mul_hi_u32 s24, s22, s5
	s_add_u32 s19, s21, s19
	s_mul_i32 s25, s23, s13
	s_addc_u32 s21, 0, s24
	s_mul_hi_u32 s13, s23, s13
	s_mul_hi_u32 s24, s23, s5
	s_add_u32 s19, s19, s25
	s_addc_u32 s13, s21, s13
	s_mul_i32 s5, s23, s5
	s_addc_u32 s19, s24, 0
	s_add_u32 s5, s13, s5
	s_addc_u32 s13, 0, s19
	s_mul_i32 s21, s20, s5
	s_add_u32 s19, s5, 1
	v_sub_co_u32 v9, s21, s22, s21
	s_addc_u32 s22, s13, 0
	s_mul_i32 s25, s20, s13
	s_mul_hi_u32 s27, s20, s5
	s_delay_alu instid0(VALU_DEP_1)
	v_sub_co_u32 v10, s26, v9, s20
	s_add_u32 s24, s5, 2
	s_addc_u32 s28, s13, 0
	s_add_i32 s27, s27, s25
	s_cmp_lg_u32 s21, 0
	v_readfirstlane_b32 s21, v10
	s_subb_u32 s23, s23, s27
	s_cmp_lg_u32 s26, 0
	s_subb_u32 s25, s23, 0
	s_delay_alu instid0(VALU_DEP_1) | instskip(SKIP_4) | instid1(SALU_CYCLE_1)
	s_cmp_ge_u32 s21, s20
	s_cselect_b32 s21, -1, 0
	s_cmp_eq_u32 s25, 0
	v_readfirstlane_b32 s25, v9
	s_cselect_b32 s21, s21, -1
	s_cmp_lg_u32 s21, 0
	s_cselect_b32 s19, s24, s19
	s_cselect_b32 s21, s28, s22
	s_cmp_ge_u32 s25, s20
	s_cselect_b32 s22, -1, 0
	s_cmp_eq_u32 s23, 0
	s_cselect_b32 s22, s22, -1
	s_delay_alu instid0(SALU_CYCLE_1) | instskip(SKIP_4) | instid1(SALU_CYCLE_1)
	s_cmp_lg_u32 s22, 0
	s_cselect_b32 s23, s21, s13
	s_cselect_b32 s22, s19, s5
	s_mov_b32 s5, 0
	s_xor_b64 s[22:23], s[22:23], s[0:1]
	s_sub_u32 s0, s22, s0
.LBB25_11:                              ;   in Loop: Header=BB25_9 Depth=1
	s_and_not1_b32 vcc_lo, exec_lo, s5
	s_cbranch_vccnz .LBB25_13
; %bb.12:                               ;   in Loop: Header=BB25_9 Depth=1
	v_readfirstlane_b32 s0, v6
	s_delay_alu instid0(VALU_DEP_1) | instskip(NEXT) | instid1(SALU_CYCLE_1)
	s_mul_i32 s1, s17, s0
	s_mul_hi_u32 s1, s0, s1
	s_delay_alu instid0(SALU_CYCLE_1) | instskip(NEXT) | instid1(SALU_CYCLE_1)
	s_add_i32 s0, s0, s1
	s_mul_hi_u32 s0, s4, s0
	s_delay_alu instid0(SALU_CYCLE_1) | instskip(NEXT) | instid1(SALU_CYCLE_1)
	s_mul_i32 s1, s0, s20
	s_sub_i32 s1, s4, s1
	s_add_i32 s4, s0, 1
	s_sub_i32 s5, s1, s20
	s_cmp_ge_u32 s1, s20
	s_cselect_b32 s0, s4, s0
	s_cselect_b32 s1, s5, s1
	s_add_i32 s4, s0, 1
	s_cmp_ge_u32 s1, s20
	s_cselect_b32 s0, s4, s0
.LBB25_13:                              ;   in Loop: Header=BB25_9 Depth=1
	s_delay_alu instid0(SALU_CYCLE_1)
	s_cmp_lg_u32 s16, s0
	s_cbranch_scc0 .LBB25_17
; %bb.14:                               ;   in Loop: Header=BB25_9 Depth=1
	s_add_i32 s21, s18, s14
	s_mov_b32 s5, s12
	s_add_i32 s4, s21, s20
	s_mul_hi_u32 s1, s0, s8
	s_lshl_b64 s[4:5], s[4:5], 3
	s_mov_b32 s19, s16
	s_add_u32 s4, s2, s4
	s_addc_u32 s5, s3, s5
	s_add_i32 s1, s1, s0
	s_delay_alu instid0(SALU_CYCLE_1) | instskip(NEXT) | instid1(SALU_CYCLE_1)
	s_lshr_b32 s1, s1, s9
	s_mul_i32 s13, s1, s10
	s_delay_alu instid0(SALU_CYCLE_1) | instskip(SKIP_3) | instid1(SALU_CYCLE_1)
	s_cmp_eq_u32 s13, s0
	s_cselect_b32 s13, -1, 0
	s_cmp_lt_u32 s1, s11
	s_cselect_b32 s1, -1, 0
	s_or_b32 s1, s1, s13
	s_mov_b32 s13, -1
	s_and_b32 vcc_lo, exec_lo, s1
	s_mov_b32 s1, s18
	s_cbranch_vccnz .LBB25_16
; %bb.15:                               ;   in Loop: Header=BB25_9 Depth=1
	s_add_i32 s1, s18, -1
	s_mov_b32 s13, 0
	s_mov_b32 s19, s0
.LBB25_16:                              ;   in Loop: Header=BB25_9 Depth=1
	v_lshl_or_b32 v9, s21, 8, v0
	s_load_b64 s[4:5], s[4:5], 0x0
	s_delay_alu instid0(VALU_DEP_1) | instskip(NEXT) | instid1(VALU_DEP_1)
	v_ashrrev_i32_e32 v10, 31, v9
	v_lshlrev_b64 v[9:10], 2, v[9:10]
	s_delay_alu instid0(VALU_DEP_1) | instskip(NEXT) | instid1(VALU_DEP_2)
	v_add_co_u32 v9, vcc_lo, s6, v9
	v_add_co_ci_u32_e32 v10, vcc_lo, s15, v10, vcc_lo
	s_waitcnt lgkmcnt(0)
	v_max_f32_e64 v11, s4, s4
	global_load_b32 v10, v[9:10], off
	v_max_f32_e32 v9, v8, v8
	s_delay_alu instid0(VALU_DEP_1) | instskip(NEXT) | instid1(VALU_DEP_1)
	v_max_f32_e32 v9, v9, v11
	v_sub_f32_e32 v12, v8, v9
	s_delay_alu instid0(VALU_DEP_1) | instskip(NEXT) | instid1(VALU_DEP_1)
	v_dual_mul_f32 v14, 0x3fb8aa3b, v12 :: v_dual_sub_f32 v11, s4, v9
	v_rndne_f32_e32 v18, v14
	s_delay_alu instid0(VALU_DEP_2) | instskip(SKIP_2) | instid1(VALU_DEP_4)
	v_mul_f32_e32 v13, 0x3fb8aa3b, v11
	v_fma_f32 v17, 0x3fb8aa3b, v12, -v14
	v_cmp_ngt_f32_e32 vcc_lo, 0xc2ce8ed0, v11
	v_sub_f32_e32 v14, v14, v18
	s_delay_alu instid0(VALU_DEP_4) | instskip(SKIP_2) | instid1(VALU_DEP_3)
	v_fma_f32 v15, 0x3fb8aa3b, v11, -v13
	v_rndne_f32_e32 v16, v13
	v_fmac_f32_e32 v17, 0x32a5705f, v12
	v_fmac_f32_e32 v15, 0x32a5705f, v11
	s_delay_alu instid0(VALU_DEP_2) | instskip(NEXT) | instid1(VALU_DEP_1)
	v_dual_sub_f32 v13, v13, v16 :: v_dual_add_f32 v14, v14, v17
	v_add_f32_e32 v13, v13, v15
	s_delay_alu instid0(VALU_DEP_2) | instskip(SKIP_2) | instid1(VALU_DEP_3)
	v_exp_f32_e32 v14, v14
	v_cvt_i32_f32_e32 v15, v16
	v_cvt_i32_f32_e32 v16, v18
	v_exp_f32_e32 v13, v13
	s_waitcnt_depctr 0xfff
	v_ldexp_f32 v14, v14, v16
	v_ldexp_f32 v13, v13, v15
	s_delay_alu instid0(VALU_DEP_1) | instskip(SKIP_1) | instid1(VALU_DEP_4)
	v_cndmask_b32_e32 v13, 0, v13, vcc_lo
	v_cmp_ngt_f32_e32 vcc_lo, 0xc2ce8ed0, v12
	v_cndmask_b32_e32 v14, 0, v14, vcc_lo
	v_cmp_nlt_f32_e32 vcc_lo, 0x42b17218, v11
	s_delay_alu instid0(VALU_DEP_4) | instskip(SKIP_1) | instid1(VALU_DEP_4)
	v_cndmask_b32_e32 v13, 0x7f800000, v13, vcc_lo
	v_cmp_nlt_f32_e32 vcc_lo, 0x42b17218, v12
	v_cndmask_b32_e32 v14, 0x7f800000, v14, vcc_lo
	v_cmp_le_f32_e32 vcc_lo, 0xc1a00000, v11
	s_delay_alu instid0(VALU_DEP_4) | instskip(SKIP_1) | instid1(VALU_DEP_4)
	v_cndmask_b32_e32 v11, 0, v13, vcc_lo
	v_cmp_le_f32_e32 vcc_lo, 0xc1a00000, v12
	v_cndmask_b32_e32 v12, 0, v14, vcc_lo
	s_waitcnt vmcnt(0)
	s_delay_alu instid0(VALU_DEP_3) | instskip(NEXT) | instid1(VALU_DEP_1)
	v_mul_f32_e32 v10, v10, v11
	v_dual_mul_f32 v11, s5, v11 :: v_dual_fmac_f32 v10, v3, v12
	s_delay_alu instid0(VALU_DEP_1)
	v_fmac_f32_e32 v11, v7, v12
	s_cbranch_execz .LBB25_18
	s_branch .LBB25_19
.LBB25_17:                              ;   in Loop: Header=BB25_9 Depth=1
                                        ; implicit-def: $sgpr13
                                        ; implicit-def: $vgpr10
                                        ; implicit-def: $vgpr9
                                        ; implicit-def: $vgpr11
                                        ; implicit-def: $sgpr1
                                        ; implicit-def: $sgpr19
.LBB25_18:                              ;   in Loop: Header=BB25_9 Depth=1
	v_mov_b32_e32 v11, v7
	s_waitcnt vmcnt(0)
	v_dual_mov_b32 v9, v8 :: v_dual_mov_b32 v10, v3
	s_add_i32 s1, s18, -1
	s_mov_b32 s13, 0
	s_mov_b32 s19, s16
.LBB25_19:                              ;   in Loop: Header=BB25_9 Depth=1
	s_and_not1_b32 vcc_lo, exec_lo, s13
	s_cbranch_vccz .LBB25_23
; %bb.20:                               ;   in Loop: Header=BB25_9 Depth=1
	v_dual_mov_b32 v7, v11 :: v_dual_mov_b32 v8, v9
	s_waitcnt vmcnt(0)
	v_mov_b32_e32 v3, v10
	s_mov_b32 s16, s19
	s_mov_b32 s18, s1
	s_branch .LBB25_9
.LBB25_21:
                                        ; implicit-def: $sgpr16_sgpr17
	s_load_b128 s[8:11], s[0:1], 0x44
	s_branch .LBB25_2
.LBB25_22:
                                        ; implicit-def: $sgpr18_sgpr19
	s_branch .LBB25_5
.LBB25_23:
	v_div_scale_f32 v0, null, v11, v11, v10
	s_waitcnt vmcnt(0)
	s_delay_alu instid0(VALU_DEP_1) | instskip(SKIP_2) | instid1(VALU_DEP_1)
	v_rcp_f32_e32 v3, v0
	s_waitcnt_depctr 0xfff
	v_fma_f32 v4, -v0, v3, 1.0
	v_fmac_f32_e32 v3, v4, v3
	v_div_scale_f32 v4, vcc_lo, v10, v11, v10
	s_delay_alu instid0(VALU_DEP_1) | instskip(NEXT) | instid1(VALU_DEP_1)
	v_mul_f32_e32 v5, v4, v3
	v_fma_f32 v6, -v0, v5, v4
	s_delay_alu instid0(VALU_DEP_1) | instskip(NEXT) | instid1(VALU_DEP_1)
	v_fmac_f32_e32 v5, v6, v3
	v_fma_f32 v0, -v0, v5, v4
	s_delay_alu instid0(VALU_DEP_1) | instskip(NEXT) | instid1(VALU_DEP_1)
	v_div_fmas_f32 v0, v0, v3, v5
	v_div_fixup_f32 v0, v0, v11, v10
	global_store_b32 v[1:2], v0, off
.LBB25_24:
	s_nop 0
	s_sendmsg sendmsg(MSG_DEALLOC_VGPRS)
	s_endpgm
	.section	.rodata,"a",@progbits
	.p2align	6, 0x0
	.amdhsa_kernel _ZL33flash_attn_stream_k_fixup_generalILi256ELi1ELi1EEvPfPK15HIP_vector_typeIfLj2EEiiiiS1_IjLj3EES5_S5_S5_
		.amdhsa_group_segment_fixed_size 0
		.amdhsa_private_segment_fixed_size 0
		.amdhsa_kernarg_size 336
		.amdhsa_user_sgpr_count 13
		.amdhsa_user_sgpr_dispatch_ptr 0
		.amdhsa_user_sgpr_queue_ptr 0
		.amdhsa_user_sgpr_kernarg_segment_ptr 1
		.amdhsa_user_sgpr_dispatch_id 0
		.amdhsa_user_sgpr_private_segment_size 0
		.amdhsa_wavefront_size32 1
		.amdhsa_uses_dynamic_stack 0
		.amdhsa_enable_private_segment 0
		.amdhsa_system_sgpr_workgroup_id_x 1
		.amdhsa_system_sgpr_workgroup_id_y 1
		.amdhsa_system_sgpr_workgroup_id_z 1
		.amdhsa_system_sgpr_workgroup_info 0
		.amdhsa_system_vgpr_workitem_id 0
		.amdhsa_next_free_vgpr 19
		.amdhsa_next_free_sgpr 32
		.amdhsa_reserve_vcc 1
		.amdhsa_float_round_mode_32 0
		.amdhsa_float_round_mode_16_64 0
		.amdhsa_float_denorm_mode_32 3
		.amdhsa_float_denorm_mode_16_64 3
		.amdhsa_dx10_clamp 1
		.amdhsa_ieee_mode 1
		.amdhsa_fp16_overflow 0
		.amdhsa_workgroup_processor_mode 1
		.amdhsa_memory_ordered 1
		.amdhsa_forward_progress 0
		.amdhsa_shared_vgpr_count 0
		.amdhsa_exception_fp_ieee_invalid_op 0
		.amdhsa_exception_fp_denorm_src 0
		.amdhsa_exception_fp_ieee_div_zero 0
		.amdhsa_exception_fp_ieee_overflow 0
		.amdhsa_exception_fp_ieee_underflow 0
		.amdhsa_exception_fp_ieee_inexact 0
		.amdhsa_exception_int_div_zero 0
	.end_amdhsa_kernel
	.section	.text._ZL33flash_attn_stream_k_fixup_generalILi256ELi1ELi1EEvPfPK15HIP_vector_typeIfLj2EEiiiiS1_IjLj3EES5_S5_S5_,"axG",@progbits,_ZL33flash_attn_stream_k_fixup_generalILi256ELi1ELi1EEvPfPK15HIP_vector_typeIfLj2EEiiiiS1_IjLj3EES5_S5_S5_,comdat
.Lfunc_end25:
	.size	_ZL33flash_attn_stream_k_fixup_generalILi256ELi1ELi1EEvPfPK15HIP_vector_typeIfLj2EEiiiiS1_IjLj3EES5_S5_S5_, .Lfunc_end25-_ZL33flash_attn_stream_k_fixup_generalILi256ELi1ELi1EEvPfPK15HIP_vector_typeIfLj2EEiiiiS1_IjLj3EES5_S5_S5_
                                        ; -- End function
	.section	.AMDGPU.csdata,"",@progbits
; Kernel info:
; codeLenInByte = 3168
; NumSgprs: 34
; NumVgprs: 19
; ScratchSize: 0
; MemoryBound: 0
; FloatMode: 240
; IeeeMode: 1
; LDSByteSize: 0 bytes/workgroup (compile time only)
; SGPRBlocks: 4
; VGPRBlocks: 2
; NumSGPRsForWavesPerEU: 34
; NumVGPRsForWavesPerEU: 19
; Occupancy: 16
; WaveLimiterHint : 0
; COMPUTE_PGM_RSRC2:SCRATCH_EN: 0
; COMPUTE_PGM_RSRC2:USER_SGPR: 13
; COMPUTE_PGM_RSRC2:TRAP_HANDLER: 0
; COMPUTE_PGM_RSRC2:TGID_X_EN: 1
; COMPUTE_PGM_RSRC2:TGID_Y_EN: 1
; COMPUTE_PGM_RSRC2:TGID_Z_EN: 1
; COMPUTE_PGM_RSRC2:TIDIG_COMP_CNT: 0
	.section	.text._ZL26flash_attn_combine_resultsILi256EEvPKfPK15HIP_vector_typeIfLj2EEPfi,"axG",@progbits,_ZL26flash_attn_combine_resultsILi256EEvPKfPK15HIP_vector_typeIfLj2EEPfi,comdat
	.globl	_ZL26flash_attn_combine_resultsILi256EEvPKfPK15HIP_vector_typeIfLj2EEPfi ; -- Begin function _ZL26flash_attn_combine_resultsILi256EEvPKfPK15HIP_vector_typeIfLj2EEPfi
	.p2align	8
	.type	_ZL26flash_attn_combine_resultsILi256EEvPKfPK15HIP_vector_typeIfLj2EEPfi,@function
_ZL26flash_attn_combine_resultsILi256EEvPKfPK15HIP_vector_typeIfLj2EEPfi: ; @_ZL26flash_attn_combine_resultsILi256EEvPKfPK15HIP_vector_typeIfLj2EEPfi
; %bb.0:
	s_clause 0x3
	s_load_b64 s[2:3], s[0:1], 0x20
	s_load_b32 s11, s[0:1], 0x18
	s_load_b128 s[4:7], s[0:1], 0x0
	s_load_b64 s[8:9], s[0:1], 0x10
	v_lshlrev_b32_e32 v5, 2, v0
	s_mov_b32 s12, exec_lo
	s_waitcnt lgkmcnt(0)
	s_mul_i32 s0, s2, s15
	s_lshl_b32 s1, s11, 1
	s_add_i32 s0, s0, s13
	s_delay_alu instid0(SALU_CYCLE_1) | instskip(NEXT) | instid1(SALU_CYCLE_1)
	s_mul_i32 s10, s0, s3
	s_add_i32 s10, s10, s14
	s_delay_alu instid0(SALU_CYCLE_1)
	s_mul_i32 s2, s10, s11
	v_cmpx_gt_i32_e64 s1, v0
	s_cbranch_execz .LBB26_3
; %bb.1:
	s_ashr_i32 s3, s2, 31
	v_dual_mov_b32 v4, v0 :: v_dual_add_nc_u32 v3, 0, v5
	s_lshl_b64 s[14:15], s[2:3], 3
	s_delay_alu instid0(SALU_CYCLE_1) | instskip(SKIP_2) | instid1(VALU_DEP_1)
	s_add_u32 s0, s6, s14
	s_addc_u32 s3, s7, s15
	v_add_co_u32 v1, s0, s0, v5
	v_add_co_ci_u32_e64 v2, null, s3, 0, s0
	s_mov_b32 s3, 0
	.p2align	6
.LBB26_2:                               ; =>This Inner Loop Header: Depth=1
	global_load_b32 v6, v[1:2], off
	v_add_nc_u32_e32 v4, 0x100, v4
	v_add_co_u32 v1, vcc_lo, 0x400, v1
	v_add_co_ci_u32_e32 v2, vcc_lo, 0, v2, vcc_lo
	s_delay_alu instid0(VALU_DEP_3) | instskip(NEXT) | instid1(VALU_DEP_1)
	v_cmp_le_i32_e64 s0, s1, v4
	s_or_b32 s3, s0, s3
	s_waitcnt vmcnt(0)
	ds_store_b32 v3, v6
	v_add_nc_u32_e32 v3, 0x400, v3
	s_and_not1_b32 exec_lo, exec_lo, s3
	s_cbranch_execnz .LBB26_2
.LBB26_3:
	s_or_b32 exec_lo, exec_lo, s12
	v_mov_b32_e32 v1, 0
	s_waitcnt lgkmcnt(0)
	s_barrier
	buffer_gl0_inv
	s_cmp_lt_i32 s11, 2
	ds_load_b32 v6, v1
	s_cbranch_scc1 .LBB26_11
; %bb.4:
	s_add_i32 s1, s11, -2
	s_add_i32 s0, s11, -1
	s_cmp_lt_u32 s1, 7
	s_cbranch_scc1 .LBB26_8
; %bb.5:
	s_mov_b32 s3, 0
	s_add_i32 s1, 0, 8
	s_and_b32 s6, s0, -8
	.p2align	6
.LBB26_6:                               ; =>This Inner Loop Header: Depth=1
	v_mov_b32_e32 v9, s1
	s_mov_b32 s7, s3
	s_add_i32 s3, s3, 8
	s_add_i32 s1, s1, 64
	s_cmp_eq_u32 s6, s3
	ds_load_2addr_b32 v[1:2], v9 offset1:2
	ds_load_2addr_b32 v[3:4], v9 offset0:4 offset1:6
	ds_load_2addr_b32 v[7:8], v9 offset0:8 offset1:10
	;; [unrolled: 1-line block ×3, first 2 shown]
	s_waitcnt lgkmcnt(3)
	v_max3_f32 v1, v6, v1, v2
	s_waitcnt lgkmcnt(2)
	s_delay_alu instid0(VALU_DEP_1) | instskip(SKIP_1) | instid1(VALU_DEP_1)
	v_max3_f32 v1, v1, v3, v4
	s_waitcnt lgkmcnt(1)
	v_max3_f32 v1, v1, v7, v8
	s_waitcnt lgkmcnt(0)
	s_delay_alu instid0(VALU_DEP_1)
	v_max3_f32 v6, v1, v9, v10
	s_cbranch_scc0 .LBB26_6
; %bb.7:
	s_add_i32 s1, s7, 9
	s_and_b32 s0, s0, 7
	s_delay_alu instid0(SALU_CYCLE_1)
	s_cmp_eq_u32 s0, 0
	s_cbranch_scc0 .LBB26_9
	s_branch .LBB26_11
.LBB26_8:
	s_mov_b32 s1, 1
	s_and_b32 s0, s0, 7
	s_delay_alu instid0(SALU_CYCLE_1)
	s_cmp_eq_u32 s0, 0
	s_cbranch_scc1 .LBB26_11
.LBB26_9:
	s_lshl_b32 s1, s1, 3
	s_delay_alu instid0(SALU_CYCLE_1)
	s_add_i32 s1, s1, 0
.LBB26_10:                              ; =>This Inner Loop Header: Depth=1
	s_waitcnt lgkmcnt(0)
	s_delay_alu instid0(VALU_DEP_1)
	v_dual_mov_b32 v1, s1 :: v_dual_max_f32 v2, v6, v6
	s_add_i32 s0, s0, -1
	s_add_i32 s1, s1, 8
	s_cmp_lg_u32 s0, 0
	ds_load_b32 v1, v1
	s_waitcnt lgkmcnt(0)
	v_max_f32_e32 v1, v1, v1
	s_delay_alu instid0(VALU_DEP_1)
	v_max_f32_e32 v6, v2, v1
	s_cbranch_scc1 .LBB26_10
.LBB26_11:
	s_cmp_lt_i32 s11, 1
	s_cbranch_scc1 .LBB26_16
; %bb.12:
	s_lshl_b32 s0, s2, 8
	v_mov_b32_e32 v7, 0
	s_ashr_i32 s1, s0, 31
	s_mov_b32 s13, 0
	s_lshl_b64 s[0:1], s[0:1], 2
	s_delay_alu instid0(SALU_CYCLE_1)
	s_add_u32 s6, s4, s0
	s_addc_u32 s7, s5, s1
	s_cmp_lt_u32 s11, 8
	s_cbranch_scc1 .LBB26_17
; %bb.13:
	v_or_b32_e32 v1, 0x700, v0
	v_dual_mov_b32 v4, 0 :: v_dual_mov_b32 v7, 0
	v_mov_b32_e32 v8, 0
	s_and_b32 s12, s11, 0x7ffffff8
	s_mov_b32 s14, 0
.LBB26_14:                              ; =>This Inner Loop Header: Depth=1
	s_delay_alu instid0(VALU_DEP_2) | instskip(SKIP_3) | instid1(VALU_DEP_2)
	v_dual_mov_b32 v2, v4 :: v_dual_add_nc_u32 v3, 0xfffff900, v1
	v_mov_b32_e32 v21, s13
	s_add_i32 s14, s14, 8
	s_add_i32 s13, s13, 64
	v_lshlrev_b64 v[9:10], 2, v[3:4]
	v_add_nc_u32_e32 v3, 0xfffffa00, v1
	v_lshlrev_b64 v[11:12], 2, v[1:2]
	s_cmp_eq_u32 s12, s14
	s_delay_alu instid0(VALU_DEP_2) | instskip(NEXT) | instid1(VALU_DEP_4)
	v_lshlrev_b64 v[13:14], 2, v[3:4]
	v_add_co_u32 v9, vcc_lo, s6, v9
	v_add_co_ci_u32_e32 v10, vcc_lo, s7, v10, vcc_lo
	v_add_nc_u32_e32 v3, 0xfffffb00, v1
	s_delay_alu instid0(VALU_DEP_4)
	v_add_co_u32 v13, vcc_lo, s6, v13
	global_load_b32 v25, v[9:10], off
	v_add_co_ci_u32_e32 v14, vcc_lo, s7, v14, vcc_lo
	v_lshlrev_b64 v[15:16], 2, v[3:4]
	v_add_nc_u32_e32 v3, 0xfffffc00, v1
	global_load_b32 v26, v[13:14], off
	v_add_co_u32 v13, vcc_lo, s6, v15
	v_add_co_ci_u32_e32 v14, vcc_lo, s7, v16, vcc_lo
	v_lshlrev_b64 v[9:10], 2, v[3:4]
	v_add_nc_u32_e32 v3, 0xfffffd00, v1
	global_load_b32 v27, v[13:14], off
	v_add_co_u32 v9, vcc_lo, s6, v9
	v_lshlrev_b64 v[15:16], 2, v[3:4]
	v_add_nc_u32_e32 v3, 0xfffffe00, v1
	v_add_co_ci_u32_e32 v10, vcc_lo, s7, v10, vcc_lo
	global_load_b32 v28, v[9:10], off
	v_lshlrev_b64 v[13:14], 2, v[3:4]
	v_add_nc_u32_e32 v3, 0xffffff00, v1
	v_add_co_u32 v9, vcc_lo, s6, v15
	v_add_co_ci_u32_e32 v10, vcc_lo, s7, v16, vcc_lo
	s_delay_alu instid0(VALU_DEP_4) | instskip(NEXT) | instid1(VALU_DEP_4)
	v_add_co_u32 v13, vcc_lo, s6, v13
	v_lshlrev_b64 v[2:3], 2, v[3:4]
	v_add_co_ci_u32_e32 v14, vcc_lo, s7, v14, vcc_lo
	s_clause 0x1
	global_load_b32 v29, v[9:10], off
	global_load_b32 v30, v[13:14], off
	v_add_co_u32 v2, vcc_lo, s6, v2
	v_add_co_ci_u32_e32 v3, vcc_lo, s7, v3, vcc_lo
	v_add_co_u32 v9, vcc_lo, s6, v11
	v_add_co_ci_u32_e32 v10, vcc_lo, s7, v12, vcc_lo
	s_clause 0x1
	global_load_b32 v2, v[2:3], off
	global_load_b32 v3, v[9:10], off
	ds_load_2addr_b64 v[9:12], v21 offset1:1
	ds_load_2addr_b64 v[13:16], v21 offset0:2 offset1:3
	ds_load_2addr_b64 v[17:20], v21 offset0:4 offset1:5
	;; [unrolled: 1-line block ×3, first 2 shown]
	v_add_nc_u32_e32 v1, 0x800, v1
	s_waitcnt lgkmcnt(1)
	v_sub_f32_e32 v19, v19, v6
	v_sub_f32_e32 v11, v11, v6
	s_waitcnt lgkmcnt(0)
	v_sub_f32_e32 v23, v23, v6
	s_delay_alu instid0(VALU_DEP_3) | instskip(NEXT) | instid1(VALU_DEP_3)
	v_dual_sub_f32 v13, v13, v6 :: v_dual_mul_f32 v36, 0x3fb8aa3b, v19
	v_mul_f32_e32 v32, 0x3fb8aa3b, v11
	s_delay_alu instid0(VALU_DEP_2) | instskip(SKIP_1) | instid1(VALU_DEP_4)
	v_dual_mul_f32 v38, 0x3fb8aa3b, v23 :: v_dual_mul_f32 v33, 0x3fb8aa3b, v13
	v_cmp_ngt_f32_e32 vcc_lo, 0xc2ce8ed0, v13
	v_fma_f32 v49, 0x3fb8aa3b, v19, -v36
	s_delay_alu instid0(VALU_DEP_4) | instskip(SKIP_4) | instid1(VALU_DEP_4)
	v_fma_f32 v41, 0x3fb8aa3b, v11, -v32
	v_rndne_f32_e32 v42, v32
	v_fma_f32 v43, 0x3fb8aa3b, v13, -v33
	v_rndne_f32_e32 v44, v33
	v_rndne_f32_e32 v50, v36
	v_dual_fmac_f32 v41, 0x32a5705f, v11 :: v_dual_sub_f32 v32, v32, v42
	v_sub_f32_e32 v15, v15, v6
	v_fmac_f32_e32 v43, 0x32a5705f, v13
	v_sub_f32_e32 v33, v33, v44
	v_cvt_i32_f32_e32 v42, v42
	v_dual_add_f32 v32, v32, v41 :: v_dual_sub_f32 v9, v9, v6
	v_mul_f32_e32 v34, 0x3fb8aa3b, v15
	s_delay_alu instid0(VALU_DEP_4) | instskip(SKIP_1) | instid1(VALU_DEP_4)
	v_add_f32_e32 v33, v33, v43
	v_cvt_i32_f32_e32 v44, v44
	v_exp_f32_e32 v32, v32
	v_mul_f32_e32 v31, 0x3fb8aa3b, v9
	v_fma_f32 v45, 0x3fb8aa3b, v15, -v34
	v_rndne_f32_e32 v46, v34
	v_exp_f32_e32 v33, v33
	v_cmp_ngt_f32_e64 s5, 0xc2ce8ed0, v9
	v_fma_f32 v39, 0x3fb8aa3b, v9, -v31
	v_rndne_f32_e32 v40, v31
	v_dual_fmac_f32 v45, 0x32a5705f, v15 :: v_dual_sub_f32 v34, v34, v46
	v_sub_f32_e32 v17, v17, v6
	s_delay_alu instid0(VALU_DEP_4) | instskip(NEXT) | instid1(VALU_DEP_4)
	v_fmac_f32_e32 v39, 0x32a5705f, v9
	v_sub_f32_e32 v31, v31, v40
	v_cvt_i32_f32_e32 v40, v40
	v_add_f32_e32 v34, v34, v45
	v_ldexp_f32 v32, v32, v42
	v_ldexp_f32 v33, v33, v44
	v_add_f32_e32 v31, v31, v39
	v_cvt_i32_f32_e32 v46, v46
	v_exp_f32_e32 v34, v34
	v_cmp_ngt_f32_e64 s0, 0xc2ce8ed0, v15
	v_fmac_f32_e32 v49, 0x32a5705f, v19
	v_exp_f32_e32 v31, v31
	v_sub_f32_e32 v36, v36, v50
	v_cvt_i32_f32_e32 v50, v50
	v_cmp_ngt_f32_e64 s1, 0xc2ce8ed0, v17
	v_rndne_f32_e32 v54, v38
	s_delay_alu instid0(VALU_DEP_4) | instskip(NEXT) | instid1(TRANS32_DEP_2)
	v_add_f32_e32 v36, v36, v49
	v_ldexp_f32 v34, v34, v46
	v_cmp_ngt_f32_e64 s2, 0xc2ce8ed0, v19
	s_delay_alu instid0(TRANS32_DEP_1) | instskip(NEXT) | instid1(VALU_DEP_4)
	v_ldexp_f32 v31, v31, v40
	v_exp_f32_e32 v36, v36
	s_delay_alu instid0(VALU_DEP_1) | instskip(SKIP_1) | instid1(VALU_DEP_1)
	v_cndmask_b32_e64 v31, 0, v31, s5
	v_cmp_ngt_f32_e64 s5, 0xc2ce8ed0, v11
	v_cndmask_b32_e64 v32, 0, v32, s5
	v_cmp_nlt_f32_e64 s5, 0x42b17218, v9
	s_waitcnt_depctr 0xfff
	v_ldexp_f32 v36, v36, v50
	v_cndmask_b32_e64 v9, 0x7f800000, v31, s5
	v_cndmask_b32_e32 v31, 0, v33, vcc_lo
	v_cmp_nlt_f32_e32 vcc_lo, 0x42b17218, v11
	s_delay_alu instid0(VALU_DEP_3) | instskip(SKIP_1) | instid1(VALU_DEP_2)
	v_dual_fmac_f32 v8, v9, v10 :: v_dual_cndmask_b32 v11, 0x7f800000, v32
	v_cmp_nlt_f32_e32 vcc_lo, 0x42b17218, v13
	v_fmac_f32_e32 v8, v11, v12
	v_cndmask_b32_e32 v10, 0x7f800000, v31, vcc_lo
	v_cmp_nlt_f32_e32 vcc_lo, 0x42b17218, v15
	v_fma_f32 v53, 0x3fb8aa3b, v23, -v38
	v_sub_f32_e32 v38, v38, v54
	v_cvt_i32_f32_e32 v54, v54
	v_fmac_f32_e32 v8, v10, v14
	v_cmp_ngt_f32_e64 s4, 0xc2ce8ed0, v23
	v_fmac_f32_e32 v53, 0x32a5705f, v23
	s_delay_alu instid0(VALU_DEP_1) | instskip(NEXT) | instid1(VALU_DEP_1)
	v_dual_sub_f32 v21, v21, v6 :: v_dual_add_f32 v38, v38, v53
	v_cmp_ngt_f32_e64 s3, 0xc2ce8ed0, v21
	s_delay_alu instid0(VALU_DEP_2)
	v_exp_f32_e32 v38, v38
	s_waitcnt_depctr 0xfff
	v_ldexp_f32 v38, v38, v54
	s_waitcnt vmcnt(7)
	v_fmac_f32_e32 v7, v25, v9
	v_cndmask_b32_e64 v9, 0, v34, s0
	s_delay_alu instid0(VALU_DEP_1) | instskip(SKIP_1) | instid1(VALU_DEP_3)
	v_cndmask_b32_e32 v9, 0x7f800000, v9, vcc_lo
	s_waitcnt vmcnt(6)
	v_fmac_f32_e32 v7, v26, v11
	v_cmp_nlt_f32_e32 vcc_lo, 0x42b17218, v17
	s_delay_alu instid0(VALU_DEP_3) | instskip(SKIP_1) | instid1(VALU_DEP_3)
	v_dual_fmac_f32 v8, v9, v16 :: v_dual_mul_f32 v35, 0x3fb8aa3b, v17
	s_waitcnt vmcnt(5)
	v_fmac_f32_e32 v7, v27, v10
	s_delay_alu instid0(VALU_DEP_2) | instskip(SKIP_2) | instid1(VALU_DEP_3)
	v_fma_f32 v47, 0x3fb8aa3b, v17, -v35
	v_rndne_f32_e32 v48, v35
	v_cndmask_b32_e64 v10, 0, v36, s2
	v_fmac_f32_e32 v47, 0x32a5705f, v17
	s_delay_alu instid0(VALU_DEP_3) | instskip(SKIP_1) | instid1(VALU_DEP_2)
	v_sub_f32_e32 v35, v35, v48
	v_cvt_i32_f32_e32 v48, v48
	v_add_f32_e32 v35, v35, v47
	s_waitcnt vmcnt(4)
	v_fmac_f32_e32 v7, v28, v9
	s_delay_alu instid0(VALU_DEP_2) | instskip(SKIP_2) | instid1(VALU_DEP_1)
	v_exp_f32_e32 v35, v35
	s_waitcnt_depctr 0xfff
	v_ldexp_f32 v35, v35, v48
	v_cndmask_b32_e64 v11, 0, v35, s1
	s_delay_alu instid0(VALU_DEP_1) | instskip(SKIP_1) | instid1(VALU_DEP_2)
	v_cndmask_b32_e32 v11, 0x7f800000, v11, vcc_lo
	v_cmp_nlt_f32_e32 vcc_lo, 0x42b17218, v19
	v_fmac_f32_e32 v8, v11, v18
	v_cndmask_b32_e32 v10, 0x7f800000, v10, vcc_lo
	v_mul_f32_e32 v37, 0x3fb8aa3b, v21
	s_waitcnt vmcnt(3)
	v_fmac_f32_e32 v7, v29, v11
	v_cmp_nlt_f32_e32 vcc_lo, 0x42b17218, v21
	v_cndmask_b32_e64 v11, 0, v38, s4
	v_fmac_f32_e32 v8, v10, v20
	v_fma_f32 v51, 0x3fb8aa3b, v21, -v37
	v_rndne_f32_e32 v52, v37
	s_waitcnt vmcnt(2)
	v_fmac_f32_e32 v7, v30, v10
	s_delay_alu instid0(VALU_DEP_3) | instskip(NEXT) | instid1(VALU_DEP_3)
	v_fmac_f32_e32 v51, 0x32a5705f, v21
	v_sub_f32_e32 v37, v37, v52
	v_cvt_i32_f32_e32 v52, v52
	s_delay_alu instid0(VALU_DEP_2) | instskip(NEXT) | instid1(VALU_DEP_1)
	v_add_f32_e32 v37, v37, v51
	v_exp_f32_e32 v37, v37
	s_waitcnt_depctr 0xfff
	v_ldexp_f32 v37, v37, v52
	s_delay_alu instid0(VALU_DEP_1) | instskip(NEXT) | instid1(VALU_DEP_1)
	v_cndmask_b32_e64 v9, 0, v37, s3
	v_cndmask_b32_e32 v9, 0x7f800000, v9, vcc_lo
	v_cmp_nlt_f32_e32 vcc_lo, 0x42b17218, v23
	s_delay_alu instid0(VALU_DEP_2) | instskip(SKIP_3) | instid1(VALU_DEP_1)
	v_fmac_f32_e32 v8, v9, v22
	s_waitcnt vmcnt(1)
	v_dual_cndmask_b32 v10, 0x7f800000, v11 :: v_dual_fmac_f32 v7, v2, v9
	s_waitcnt vmcnt(0)
	v_dual_fmac_f32 v8, v10, v24 :: v_dual_fmac_f32 v7, v3, v10
	s_cbranch_scc0 .LBB26_14
; %bb.15:
	s_and_b32 s0, s11, 7
	s_delay_alu instid0(SALU_CYCLE_1)
	s_cmp_eq_u32 s0, 0
	s_cbranch_scc0 .LBB26_18
	s_branch .LBB26_20
.LBB26_16:
	v_mov_b32_e32 v0, 0x7fc00000
	s_branch .LBB26_21
.LBB26_17:
	v_mov_b32_e32 v8, 0
	s_mov_b32 s12, 0
	s_and_b32 s0, s11, 7
	s_delay_alu instid0(SALU_CYCLE_1)
	s_cmp_eq_u32 s0, 0
	s_cbranch_scc1 .LBB26_20
.LBB26_18:
	v_lshl_or_b32 v0, s12, 8, v0
	v_mov_b32_e32 v1, 0
	s_lshl_b32 s1, s12, 3
	s_delay_alu instid0(SALU_CYCLE_1)
	s_add_i32 s1, s1, 0
	s_set_inst_prefetch_distance 0x1
	.p2align	6
.LBB26_19:                              ; =>This Inner Loop Header: Depth=1
	s_delay_alu instid0(VALU_DEP_1) | instskip(SKIP_2) | instid1(VALU_DEP_2)
	v_lshlrev_b64 v[2:3], 2, v[0:1]
	s_add_i32 s0, s0, -1
	v_add_nc_u32_e32 v0, 0x100, v0
	v_add_co_u32 v2, vcc_lo, s6, v2
	s_delay_alu instid0(VALU_DEP_3)
	v_add_co_ci_u32_e32 v3, vcc_lo, s7, v3, vcc_lo
	global_load_b32 v4, v[2:3], off
	v_mov_b32_e32 v2, s1
	s_add_i32 s1, s1, 8
	s_cmp_lg_u32 s0, 0
	ds_load_b64 v[2:3], v2
	s_waitcnt lgkmcnt(0)
	v_sub_f32_e32 v2, v2, v6
	s_delay_alu instid0(VALU_DEP_1) | instskip(SKIP_1) | instid1(VALU_DEP_2)
	v_mul_f32_e32 v9, 0x3fb8aa3b, v2
	v_cmp_ngt_f32_e32 vcc_lo, 0xc2ce8ed0, v2
	v_fma_f32 v10, 0x3fb8aa3b, v2, -v9
	v_rndne_f32_e32 v11, v9
	s_delay_alu instid0(VALU_DEP_1) | instskip(NEXT) | instid1(VALU_DEP_1)
	v_dual_fmac_f32 v10, 0x32a5705f, v2 :: v_dual_sub_f32 v9, v9, v11
	v_add_f32_e32 v9, v9, v10
	v_cvt_i32_f32_e32 v10, v11
	s_delay_alu instid0(VALU_DEP_2) | instskip(SKIP_2) | instid1(VALU_DEP_1)
	v_exp_f32_e32 v9, v9
	s_waitcnt_depctr 0xfff
	v_ldexp_f32 v9, v9, v10
	v_cndmask_b32_e32 v9, 0, v9, vcc_lo
	v_cmp_nlt_f32_e32 vcc_lo, 0x42b17218, v2
	s_delay_alu instid0(VALU_DEP_2) | instskip(SKIP_1) | instid1(VALU_DEP_1)
	v_cndmask_b32_e32 v2, 0x7f800000, v9, vcc_lo
	s_waitcnt vmcnt(0)
	v_dual_fmac_f32 v8, v2, v3 :: v_dual_fmac_f32 v7, v4, v2
	s_cbranch_scc1 .LBB26_19
.LBB26_20:
	s_set_inst_prefetch_distance 0x2
	s_delay_alu instid0(VALU_DEP_1) | instskip(NEXT) | instid1(VALU_DEP_1)
	v_div_scale_f32 v0, null, v8, v8, v7
	v_rcp_f32_e32 v1, v0
	s_waitcnt_depctr 0xfff
	v_fma_f32 v2, -v0, v1, 1.0
	s_delay_alu instid0(VALU_DEP_1) | instskip(SKIP_1) | instid1(VALU_DEP_1)
	v_fmac_f32_e32 v1, v2, v1
	v_div_scale_f32 v2, vcc_lo, v7, v8, v7
	v_mul_f32_e32 v3, v2, v1
	s_delay_alu instid0(VALU_DEP_1) | instskip(NEXT) | instid1(VALU_DEP_1)
	v_fma_f32 v4, -v0, v3, v2
	v_fmac_f32_e32 v3, v4, v1
	s_delay_alu instid0(VALU_DEP_1) | instskip(NEXT) | instid1(VALU_DEP_1)
	v_fma_f32 v0, -v0, v3, v2
	v_div_fmas_f32 v0, v0, v1, v3
	s_delay_alu instid0(VALU_DEP_1)
	v_div_fixup_f32 v0, v0, v8, v7
.LBB26_21:
	s_lshl_b32 s0, s10, 8
	s_delay_alu instid0(SALU_CYCLE_1) | instskip(NEXT) | instid1(SALU_CYCLE_1)
	s_ashr_i32 s1, s0, 31
	s_lshl_b64 s[0:1], s[0:1], 2
	s_delay_alu instid0(SALU_CYCLE_1)
	s_add_u32 s0, s8, s0
	s_addc_u32 s1, s9, s1
	global_store_b32 v5, v0, s[0:1]
	s_nop 0
	s_sendmsg sendmsg(MSG_DEALLOC_VGPRS)
	s_endpgm
	.section	.rodata,"a",@progbits
	.p2align	6, 0x0
	.amdhsa_kernel _ZL26flash_attn_combine_resultsILi256EEvPKfPK15HIP_vector_typeIfLj2EEPfi
		.amdhsa_group_segment_fixed_size 0
		.amdhsa_private_segment_fixed_size 0
		.amdhsa_kernarg_size 288
		.amdhsa_user_sgpr_count 13
		.amdhsa_user_sgpr_dispatch_ptr 0
		.amdhsa_user_sgpr_queue_ptr 0
		.amdhsa_user_sgpr_kernarg_segment_ptr 1
		.amdhsa_user_sgpr_dispatch_id 0
		.amdhsa_user_sgpr_private_segment_size 0
		.amdhsa_wavefront_size32 1
		.amdhsa_uses_dynamic_stack 0
		.amdhsa_enable_private_segment 0
		.amdhsa_system_sgpr_workgroup_id_x 1
		.amdhsa_system_sgpr_workgroup_id_y 1
		.amdhsa_system_sgpr_workgroup_id_z 1
		.amdhsa_system_sgpr_workgroup_info 0
		.amdhsa_system_vgpr_workitem_id 0
		.amdhsa_next_free_vgpr 55
		.amdhsa_next_free_sgpr 16
		.amdhsa_reserve_vcc 1
		.amdhsa_float_round_mode_32 0
		.amdhsa_float_round_mode_16_64 0
		.amdhsa_float_denorm_mode_32 3
		.amdhsa_float_denorm_mode_16_64 3
		.amdhsa_dx10_clamp 1
		.amdhsa_ieee_mode 1
		.amdhsa_fp16_overflow 0
		.amdhsa_workgroup_processor_mode 1
		.amdhsa_memory_ordered 1
		.amdhsa_forward_progress 0
		.amdhsa_shared_vgpr_count 0
		.amdhsa_exception_fp_ieee_invalid_op 0
		.amdhsa_exception_fp_denorm_src 0
		.amdhsa_exception_fp_ieee_div_zero 0
		.amdhsa_exception_fp_ieee_overflow 0
		.amdhsa_exception_fp_ieee_underflow 0
		.amdhsa_exception_fp_ieee_inexact 0
		.amdhsa_exception_int_div_zero 0
	.end_amdhsa_kernel
	.section	.text._ZL26flash_attn_combine_resultsILi256EEvPKfPK15HIP_vector_typeIfLj2EEPfi,"axG",@progbits,_ZL26flash_attn_combine_resultsILi256EEvPKfPK15HIP_vector_typeIfLj2EEPfi,comdat
.Lfunc_end26:
	.size	_ZL26flash_attn_combine_resultsILi256EEvPKfPK15HIP_vector_typeIfLj2EEPfi, .Lfunc_end26-_ZL26flash_attn_combine_resultsILi256EEvPKfPK15HIP_vector_typeIfLj2EEPfi
                                        ; -- End function
	.section	.AMDGPU.csdata,"",@progbits
; Kernel info:
; codeLenInByte = 2352
; NumSgprs: 18
; NumVgprs: 55
; ScratchSize: 0
; MemoryBound: 0
; FloatMode: 240
; IeeeMode: 1
; LDSByteSize: 0 bytes/workgroup (compile time only)
; SGPRBlocks: 2
; VGPRBlocks: 6
; NumSGPRsForWavesPerEU: 18
; NumVGPRsForWavesPerEU: 55
; Occupancy: 16
; WaveLimiterHint : 0
; COMPUTE_PGM_RSRC2:SCRATCH_EN: 0
; COMPUTE_PGM_RSRC2:USER_SGPR: 13
; COMPUTE_PGM_RSRC2:TRAP_HANDLER: 0
; COMPUTE_PGM_RSRC2:TGID_X_EN: 1
; COMPUTE_PGM_RSRC2:TGID_Y_EN: 1
; COMPUTE_PGM_RSRC2:TGID_Z_EN: 1
; COMPUTE_PGM_RSRC2:TIDIG_COMP_CNT: 0
	.section	.text._ZL18flash_attn_ext_vecILi256ELi1EL9ggml_type6ELS0_3ELb1EEvPKcS2_S2_S2_S2_PKiPfP15HIP_vector_typeIfLj2EEffffjfiS6_IjLj3EEiiiiiiiiiiiliiliiiiil,"axG",@progbits,_ZL18flash_attn_ext_vecILi256ELi1EL9ggml_type6ELS0_3ELb1EEvPKcS2_S2_S2_S2_PKiPfP15HIP_vector_typeIfLj2EEffffjfiS6_IjLj3EEiiiiiiiiiiiliiliiiiil,comdat
	.globl	_ZL18flash_attn_ext_vecILi256ELi1EL9ggml_type6ELS0_3ELb1EEvPKcS2_S2_S2_S2_PKiPfP15HIP_vector_typeIfLj2EEffffjfiS6_IjLj3EEiiiiiiiiiiiliiliiiiil ; -- Begin function _ZL18flash_attn_ext_vecILi256ELi1EL9ggml_type6ELS0_3ELb1EEvPKcS2_S2_S2_S2_PKiPfP15HIP_vector_typeIfLj2EEffffjfiS6_IjLj3EEiiiiiiiiiiiliiliiiiil
	.p2align	8
	.type	_ZL18flash_attn_ext_vecILi256ELi1EL9ggml_type6ELS0_3ELb1EEvPKcS2_S2_S2_S2_PKiPfP15HIP_vector_typeIfLj2EEffffjfiS6_IjLj3EEiiiiiiiiiiiliiliiiiil,@function
_ZL18flash_attn_ext_vecILi256ELi1EL9ggml_type6ELS0_3ELb1EEvPKcS2_S2_S2_S2_PKiPfP15HIP_vector_typeIfLj2EEffffjfiS6_IjLj3EEiiiiiiiiiiiliiliiiiil: ; @_ZL18flash_attn_ext_vecILi256ELi1EL9ggml_type6ELS0_3ELb1EEvPKcS2_S2_S2_S2_PKiPfP15HIP_vector_typeIfLj2EEffffjfiS6_IjLj3EEiiiiiiiiiiiliiliiiiil
; %bb.0:
	s_clause 0x4
	s_load_b64 s[34:35], s[0:1], 0x64
	s_load_b64 s[38:39], s[0:1], 0x80
	;; [unrolled: 1-line block ×3, first 2 shown]
	s_load_b128 s[8:11], s[0:1], 0x40
	s_load_b64 s[40:41], s[0:1], 0x50
	v_mov_b32_e32 v66, 1.0
	s_waitcnt lgkmcnt(0)
	v_cvt_f32_u32_e32 v1, s35
	s_sub_i32 s3, 0, s35
	s_delay_alu instid0(VALU_DEP_1) | instskip(SKIP_2) | instid1(VALU_DEP_1)
	v_rcp_iflag_f32_e32 v1, v1
	s_waitcnt_depctr 0xfff
	v_mul_f32_e32 v1, 0x4f7ffffe, v1
	v_cvt_u32_f32_e32 v1, v1
	s_delay_alu instid0(VALU_DEP_1) | instskip(NEXT) | instid1(VALU_DEP_1)
	v_readfirstlane_b32 s2, v1
	s_mul_i32 s3, s3, s2
	s_delay_alu instid0(SALU_CYCLE_1) | instskip(NEXT) | instid1(SALU_CYCLE_1)
	s_mul_hi_u32 s3, s2, s3
	s_add_i32 s2, s2, s3
	s_delay_alu instid0(SALU_CYCLE_1) | instskip(NEXT) | instid1(SALU_CYCLE_1)
	s_mul_hi_u32 s2, s15, s2
	s_mul_i32 s3, s2, s35
	s_add_i32 s4, s2, 1
	s_sub_i32 s3, s15, s3
	s_delay_alu instid0(SALU_CYCLE_1)
	s_sub_i32 s5, s3, s35
	s_cmp_ge_u32 s3, s35
	s_cselect_b32 s2, s4, s2
	s_cselect_b32 s3, s5, s3
	s_add_i32 s4, s2, 1
	s_cmp_ge_u32 s3, s35
	s_cselect_b32 s12, s4, s2
	s_abs_i32 s2, s39
	s_abs_i32 s6, s35
	v_cvt_f32_u32_e32 v1, s2
	s_sub_i32 s4, 0, s2
	s_xor_b32 s5, s35, s39
	s_delay_alu instid0(SALU_CYCLE_1) | instskip(NEXT) | instid1(VALU_DEP_1)
	s_ashr_i32 s5, s5, 31
	v_rcp_iflag_f32_e32 v1, v1
	s_waitcnt_depctr 0xfff
	v_mul_f32_e32 v1, 0x4f7ffffe, v1
	s_delay_alu instid0(VALU_DEP_1) | instskip(NEXT) | instid1(VALU_DEP_1)
	v_cvt_u32_f32_e32 v1, v1
	v_readfirstlane_b32 s3, v1
	s_delay_alu instid0(VALU_DEP_1) | instskip(NEXT) | instid1(SALU_CYCLE_1)
	s_mul_i32 s4, s4, s3
	s_mul_hi_u32 s4, s3, s4
	s_delay_alu instid0(SALU_CYCLE_1) | instskip(SKIP_4) | instid1(SALU_CYCLE_1)
	s_add_i32 s3, s3, s4
	s_mul_i32 s4, s12, s35
	s_mul_hi_u32 s3, s6, s3
	s_sub_i32 s36, s15, s4
	s_mul_i32 s7, s3, s2
	s_sub_i32 s4, s6, s7
	s_add_i32 s6, s3, 1
	s_sub_i32 s7, s4, s2
	s_cmp_ge_u32 s4, s2
	s_cselect_b32 s3, s6, s3
	s_cselect_b32 s4, s7, s4
	s_add_i32 s6, s3, 1
	s_cmp_ge_u32 s4, s2
	s_cselect_b32 s2, s6, s3
	s_abs_i32 s15, s42
	s_xor_b32 s2, s2, s5
	v_cvt_f32_u32_e32 v1, s15
	s_sub_i32 s7, s2, s5
	v_cmp_le_f32_e64 s2, s9, 0
	s_abs_i32 s33, s7
	s_abs_i32 s39, s36
	v_cvt_f32_u32_e32 v2, s33
	v_rcp_iflag_f32_e32 v1, v1
	s_and_b32 vcc_lo, exec_lo, s2
	s_sub_i32 s2, 0, s15
	s_sub_i32 s3, 0, s33
	v_rcp_iflag_f32_e32 v2, v2
	s_abs_i32 s9, s12
	s_waitcnt_depctr 0xfff
	v_dual_mul_f32 v1, 0x4f7ffffe, v1 :: v_dual_mul_f32 v2, 0x4f7ffffe, v2
	s_delay_alu instid0(VALU_DEP_1) | instskip(NEXT) | instid1(VALU_DEP_2)
	v_cvt_u32_f32_e32 v1, v1
	v_cvt_u32_f32_e32 v2, v2
	s_delay_alu instid0(VALU_DEP_2) | instskip(NEXT) | instid1(VALU_DEP_2)
	v_readfirstlane_b32 s5, v1
	v_readfirstlane_b32 s6, v2
	s_delay_alu instid0(VALU_DEP_2) | instskip(NEXT) | instid1(SALU_CYCLE_1)
	s_mul_i32 s2, s2, s5
	s_mul_hi_u32 s2, s5, s2
	s_delay_alu instid0(VALU_DEP_1) | instskip(SKIP_2) | instid1(SALU_CYCLE_1)
	s_mul_i32 s3, s3, s6
	s_add_i32 s5, s5, s2
	s_mul_hi_u32 s3, s6, s3
	s_add_i32 s6, s6, s3
	s_cbranch_vccnz .LBB27_2
; %bb.1:
	s_sub_i32 s2, s36, s40
	s_add_i32 s3, s36, 1
	s_lshl_b32 s2, s2, 1
	v_mov_b32_e32 v1, s10
	s_or_b32 s2, s2, 1
	s_cmp_lt_u32 s36, s40
	s_cselect_b32 vcc_lo, -1, 0
	s_delay_alu instid0(VALU_DEP_1)
	v_cndmask_b32_e32 v3, s11, v1, vcc_lo
	s_and_b32 s4, vcc_lo, exec_lo
	s_cselect_b32 s2, s3, s2
	s_mov_b32 s3, 0x3e76c4e1
	v_cvt_f32_i32_e32 v1, s2
	v_cmp_neq_f32_e32 vcc_lo, 1.0, v3
	s_delay_alu instid0(VALU_DEP_2) | instskip(NEXT) | instid1(VALU_DEP_1)
	v_cndmask_b32_e32 v4, 1.0, v1, vcc_lo
	v_cmp_eq_f32_e32 vcc_lo, 0, v4
	v_cndmask_b32_e64 v5, |v3|, 1.0, vcc_lo
	s_delay_alu instid0(VALU_DEP_1) | instskip(NEXT) | instid1(VALU_DEP_1)
	v_frexp_mant_f32_e32 v1, v5
	v_cmp_gt_f32_e64 s2, 0x3f2aaaab, v1
	s_delay_alu instid0(VALU_DEP_1) | instskip(NEXT) | instid1(VALU_DEP_1)
	v_cndmask_b32_e64 v2, 1.0, 2.0, s2
	v_mul_f32_e32 v1, v1, v2
	s_delay_alu instid0(VALU_DEP_1) | instskip(SKIP_1) | instid1(VALU_DEP_2)
	v_add_f32_e32 v2, 1.0, v1
	v_add_f32_e32 v7, -1.0, v1
	v_rcp_f32_e32 v6, v2
	s_waitcnt_depctr 0xfff
	v_mul_f32_e32 v8, v7, v6
	s_delay_alu instid0(VALU_DEP_1) | instskip(NEXT) | instid1(VALU_DEP_1)
	v_dual_add_f32 v9, -1.0, v2 :: v_dual_mul_f32 v10, v2, v8
	v_sub_f32_e32 v1, v1, v9
	v_cndmask_b32_e64 v3, v3, 1.0, vcc_lo
	s_delay_alu instid0(VALU_DEP_3) | instskip(NEXT) | instid1(VALU_DEP_2)
	v_fma_f32 v2, v8, v2, -v10
	v_cmp_eq_f32_e64 s4, 0, v3
	s_delay_alu instid0(VALU_DEP_2) | instskip(NEXT) | instid1(VALU_DEP_1)
	v_fmac_f32_e32 v2, v8, v1
	v_add_f32_e32 v1, v10, v2
	s_delay_alu instid0(VALU_DEP_1) | instskip(NEXT) | instid1(VALU_DEP_1)
	v_dual_sub_f32 v10, v1, v10 :: v_dual_sub_f32 v9, v7, v1
	v_dual_sub_f32 v2, v10, v2 :: v_dual_sub_f32 v7, v7, v9
	s_delay_alu instid0(VALU_DEP_1) | instskip(NEXT) | instid1(VALU_DEP_1)
	v_sub_f32_e32 v1, v7, v1
	v_add_f32_e32 v1, v2, v1
	s_delay_alu instid0(VALU_DEP_1) | instskip(NEXT) | instid1(VALU_DEP_1)
	v_add_f32_e32 v1, v9, v1
	v_mul_f32_e32 v1, v6, v1
	s_delay_alu instid0(VALU_DEP_1) | instskip(NEXT) | instid1(VALU_DEP_1)
	v_add_f32_e32 v6, v8, v1
	v_sub_f32_e32 v2, v6, v8
	v_mul_f32_e32 v7, v6, v6
	s_delay_alu instid0(VALU_DEP_2) | instskip(NEXT) | instid1(VALU_DEP_2)
	v_sub_f32_e32 v8, v1, v2
	v_fma_f32 v9, v6, v6, -v7
	s_delay_alu instid0(VALU_DEP_2) | instskip(NEXT) | instid1(VALU_DEP_1)
	v_add_f32_e32 v1, v8, v8
	v_fmac_f32_e32 v9, v6, v1
	v_cvt_f64_f32_e32 v[1:2], v5
	s_delay_alu instid0(VALU_DEP_2) | instskip(NEXT) | instid1(VALU_DEP_1)
	v_add_f32_e32 v10, v7, v9
	v_fmaak_f32 v11, s3, v10, 0x3e91f4c4
	v_sub_f32_e32 v7, v10, v7
	v_mul_f32_e32 v14, v6, v10
	s_delay_alu instid0(VALU_DEP_3) | instskip(NEXT) | instid1(VALU_DEP_3)
	v_fmaak_f32 v11, v10, v11, 0x3ecccdef
	v_sub_f32_e32 v7, v9, v7
	s_delay_alu instid0(VALU_DEP_2) | instskip(NEXT) | instid1(VALU_DEP_1)
	v_mul_f32_e32 v12, v10, v11
	v_fma_f32 v9, v10, v11, -v12
	s_delay_alu instid0(VALU_DEP_1) | instskip(NEXT) | instid1(VALU_DEP_1)
	v_fmac_f32_e32 v9, v7, v11
	v_add_f32_e32 v11, v12, v9
	v_frexp_exp_i32_f64_e32 v1, v[1:2]
	s_delay_alu instid0(VALU_DEP_2) | instskip(NEXT) | instid1(VALU_DEP_1)
	v_sub_f32_e32 v12, v11, v12
	v_sub_f32_e32 v2, v9, v12
	v_fma_f32 v12, v10, v6, -v14
	s_delay_alu instid0(VALU_DEP_2) | instskip(NEXT) | instid1(VALU_DEP_2)
	v_add_f32_e32 v2, 0x31739010, v2
	v_dual_add_f32 v13, 0x3f2aaaaa, v11 :: v_dual_fmac_f32 v12, v10, v8
	v_ldexp_f32 v8, v8, 1
	s_delay_alu instid0(VALU_DEP_2) | instskip(NEXT) | instid1(VALU_DEP_1)
	v_dual_add_f32 v9, 0xbf2aaaaa, v13 :: v_dual_fmac_f32 v12, v7, v6
	v_sub_f32_e32 v9, v11, v9
	s_delay_alu instid0(VALU_DEP_1) | instskip(NEXT) | instid1(VALU_DEP_3)
	v_add_f32_e32 v2, v2, v9
	v_add_f32_e32 v9, v14, v12
	s_delay_alu instid0(VALU_DEP_2) | instskip(NEXT) | instid1(VALU_DEP_1)
	v_add_f32_e32 v7, v13, v2
	v_sub_f32_e32 v10, v13, v7
	s_delay_alu instid0(VALU_DEP_3) | instskip(SKIP_2) | instid1(VALU_DEP_4)
	v_mul_f32_e32 v11, v9, v7
	v_sub_f32_e32 v13, v9, v14
	v_subrev_co_ci_u32_e64 v1, s2, 0, v1, s2
	v_add_f32_e32 v2, v2, v10
	s_delay_alu instid0(VALU_DEP_4) | instskip(NEXT) | instid1(VALU_DEP_4)
	v_fma_f32 v10, v9, v7, -v11
	v_sub_f32_e32 v12, v12, v13
	s_delay_alu instid0(VALU_DEP_4) | instskip(NEXT) | instid1(VALU_DEP_3)
	v_cvt_f32_i32_e32 v1, v1
	v_fmac_f32_e32 v10, v9, v2
	v_ldexp_f32 v2, v6, 1
	s_delay_alu instid0(VALU_DEP_2) | instskip(NEXT) | instid1(VALU_DEP_1)
	v_fmac_f32_e32 v10, v12, v7
	v_add_f32_e32 v6, v11, v10
	s_delay_alu instid0(VALU_DEP_1) | instskip(NEXT) | instid1(VALU_DEP_1)
	v_add_f32_e32 v7, v2, v6
	v_dual_sub_f32 v2, v7, v2 :: v_dual_sub_f32 v9, v6, v11
	s_delay_alu instid0(VALU_DEP_1) | instskip(NEXT) | instid1(VALU_DEP_2)
	v_sub_f32_e32 v2, v6, v2
	v_sub_f32_e32 v9, v10, v9
	s_delay_alu instid0(VALU_DEP_1) | instskip(NEXT) | instid1(VALU_DEP_1)
	v_add_f32_e32 v6, v8, v9
	v_dual_mul_f32 v11, 0x3f317218, v1 :: v_dual_add_f32 v2, v6, v2
	s_delay_alu instid0(VALU_DEP_1) | instskip(NEXT) | instid1(VALU_DEP_2)
	v_fma_f32 v10, 0x3f317218, v1, -v11
	v_add_f32_e32 v8, v7, v2
	s_delay_alu instid0(VALU_DEP_1) | instskip(NEXT) | instid1(VALU_DEP_1)
	v_sub_f32_e32 v7, v8, v7
	v_dual_fmamk_f32 v1, v1, 0xb102e308, v10 :: v_dual_sub_f32 v2, v2, v7
	s_delay_alu instid0(VALU_DEP_1) | instskip(NEXT) | instid1(VALU_DEP_1)
	v_add_f32_e32 v6, v11, v1
	v_add_f32_e32 v9, v6, v8
	s_delay_alu instid0(VALU_DEP_1) | instskip(NEXT) | instid1(VALU_DEP_1)
	v_dual_sub_f32 v11, v6, v11 :: v_dual_sub_f32 v10, v9, v6
	v_sub_f32_e32 v12, v9, v10
	s_delay_alu instid0(VALU_DEP_2) | instskip(NEXT) | instid1(VALU_DEP_2)
	v_sub_f32_e32 v1, v1, v11
	v_dual_sub_f32 v7, v8, v10 :: v_dual_sub_f32 v6, v6, v12
	s_delay_alu instid0(VALU_DEP_2) | instskip(NEXT) | instid1(VALU_DEP_2)
	v_add_f32_e32 v8, v1, v2
	v_add_f32_e32 v6, v7, v6
	s_delay_alu instid0(VALU_DEP_1) | instskip(NEXT) | instid1(VALU_DEP_1)
	v_add_f32_e32 v6, v8, v6
	v_dual_sub_f32 v7, v8, v1 :: v_dual_add_f32 v10, v9, v6
	s_delay_alu instid0(VALU_DEP_1) | instskip(SKIP_1) | instid1(VALU_DEP_3)
	v_sub_f32_e32 v8, v8, v7
	v_sub_f32_e32 v2, v2, v7
	;; [unrolled: 1-line block ×3, first 2 shown]
	s_delay_alu instid0(VALU_DEP_3) | instskip(NEXT) | instid1(VALU_DEP_1)
	v_sub_f32_e32 v1, v1, v8
	v_add_f32_e32 v1, v2, v1
	s_delay_alu instid0(VALU_DEP_3) | instskip(NEXT) | instid1(VALU_DEP_1)
	v_sub_f32_e32 v2, v6, v7
	v_add_f32_e32 v1, v1, v2
	s_delay_alu instid0(VALU_DEP_1) | instskip(NEXT) | instid1(VALU_DEP_1)
	v_add_f32_e32 v2, v10, v1
	v_mul_f32_e32 v7, v4, v2
	v_sub_f32_e32 v6, v2, v10
	s_delay_alu instid0(VALU_DEP_2) | instskip(NEXT) | instid1(VALU_DEP_2)
	v_fma_f32 v2, v4, v2, -v7
	v_sub_f32_e32 v1, v1, v6
	v_cmp_class_f32_e64 s2, v7, 0x204
	s_delay_alu instid0(VALU_DEP_2) | instskip(NEXT) | instid1(VALU_DEP_1)
	v_fmac_f32_e32 v2, v4, v1
	v_add_f32_e32 v1, v7, v2
	s_delay_alu instid0(VALU_DEP_1) | instskip(NEXT) | instid1(VALU_DEP_1)
	v_cndmask_b32_e64 v6, v1, v7, s2
	v_cmp_eq_f32_e64 s2, 0x42b17218, v6
	s_delay_alu instid0(VALU_DEP_1) | instskip(SKIP_1) | instid1(VALU_DEP_2)
	v_cndmask_b32_e64 v8, 0, 0x37000000, s2
	v_cmp_neq_f32_e64 s2, 0x7f800000, |v6|
	v_sub_f32_e32 v9, v6, v8
	v_trunc_f32_e32 v6, v4
	s_delay_alu instid0(VALU_DEP_2) | instskip(NEXT) | instid1(VALU_DEP_1)
	v_mul_f32_e32 v10, 0x3fb8aa3b, v9
	v_fma_f32 v11, 0x3fb8aa3b, v9, -v10
	v_rndne_f32_e32 v12, v10
	s_delay_alu instid0(VALU_DEP_1) | instskip(NEXT) | instid1(VALU_DEP_1)
	v_dual_fmamk_f32 v11, v9, 0x32a5705f, v11 :: v_dual_sub_f32 v10, v10, v12
	v_add_f32_e32 v10, v10, v11
	v_sub_f32_e32 v1, v1, v7
	v_cvt_i32_f32_e32 v7, v12
	s_delay_alu instid0(VALU_DEP_3) | instskip(NEXT) | instid1(VALU_DEP_2)
	v_exp_f32_e32 v10, v10
	v_sub_f32_e32 v1, v2, v1
	s_delay_alu instid0(VALU_DEP_1)
	v_cndmask_b32_e64 v1, 0, v1, s2
	v_cmp_ngt_f32_e64 s2, 0xc2ce8ed0, v9
	s_waitcnt_depctr 0xfff
	v_ldexp_f32 v2, v10, v7
	v_mul_f32_e32 v7, 0.5, v4
	v_add_f32_e32 v1, v8, v1
	s_delay_alu instid0(VALU_DEP_3) | instskip(NEXT) | instid1(VALU_DEP_3)
	v_cndmask_b32_e64 v2, 0, v2, s2
	v_trunc_f32_e32 v10, v7
	v_cmp_nlt_f32_e64 s2, 0x42b17218, v9
	s_delay_alu instid0(VALU_DEP_2) | instskip(NEXT) | instid1(VALU_DEP_2)
	v_cmp_neq_f32_e64 s3, v10, v7
	v_cndmask_b32_e64 v2, 0x7f800000, v2, s2
	v_cmp_eq_f32_e64 s2, v6, v4
	s_delay_alu instid0(VALU_DEP_2) | instskip(NEXT) | instid1(VALU_DEP_2)
	v_fma_f32 v1, v2, v1, v2
	s_and_b32 vcc_lo, s2, s3
	v_cmp_class_f32_e64 s3, v2, 0x204
	v_cndmask_b32_e32 v6, 1.0, v3, vcc_lo
	s_delay_alu instid0(VALU_DEP_2) | instskip(SKIP_1) | instid1(VALU_DEP_2)
	v_cndmask_b32_e64 v1, v1, v2, s3
	v_cmp_gt_f32_e64 s3, 0, v4
	v_bfi_b32 v1, 0x7fffffff, v1, v6
	s_delay_alu instid0(VALU_DEP_2)
	s_xor_b32 s3, s3, s4
	v_cndmask_b32_e32 v6, 0, v3, vcc_lo
	v_cndmask_b32_e64 v2, 0x7f800000, 0, s3
	v_cmp_eq_f32_e32 vcc_lo, 0x7f800000, v5
	v_cndmask_b32_e64 v4, 0x7fc00000, v1, s2
	v_cmp_gt_f32_e64 s2, 0, v3
	s_delay_alu instid0(VALU_DEP_4) | instskip(SKIP_1) | instid1(VALU_DEP_2)
	v_bfi_b32 v2, 0x7fffffff, v2, v6
	s_or_b32 vcc_lo, vcc_lo, s4
	v_cndmask_b32_e64 v1, v1, v4, s2
	s_delay_alu instid0(VALU_DEP_1) | instskip(SKIP_1) | instid1(VALU_DEP_2)
	v_cndmask_b32_e32 v1, v1, v2, vcc_lo
	v_cmp_o_f32_e32 vcc_lo, v3, v3
	v_cndmask_b32_e32 v66, 0x7fc00000, v1, vcc_lo
.LBB27_2:
	s_load_b512 s[16:31], s[0:1], 0x0
	v_bfe_u32 v63, v0, 10, 10
	v_and_b32_e32 v64, 0x3ff, v0
	v_mbcnt_lo_u32_b32 v65, -1, 0
	s_mul_hi_u32 s10, s39, s6
	s_mul_hi_u32 s40, s9, s5
	v_cmp_eq_u32_e64 s2, 0, v63
	s_delay_alu instid0(VALU_DEP_1)
	s_and_saveexec_b32 s11, s2
	s_cbranch_execz .LBB27_11
; %bb.3:
	s_load_b128 s[44:47], s[0:1], 0x70
	v_lshlrev_b32_e32 v0, 4, v64
	v_xor_b32_e32 v1, 4, v65
	v_xor_b32_e32 v5, 2, v65
	s_mov_b32 s6, exec_lo
	s_delay_alu instid0(VALU_DEP_2) | instskip(SKIP_1) | instid1(VALU_DEP_3)
	v_cmp_gt_i32_e32 vcc_lo, 32, v1
	v_cndmask_b32_e32 v1, v65, v1, vcc_lo
	v_cmp_gt_i32_e32 vcc_lo, 32, v5
	s_delay_alu instid0(VALU_DEP_2)
	v_lshlrev_b32_e32 v4, 2, v1
	s_waitcnt lgkmcnt(0)
	s_mul_i32 s3, s12, s46
	s_mul_i32 s4, s13, s44
	;; [unrolled: 1-line block ×3, first 2 shown]
	s_add_i32 s3, s3, s4
	s_delay_alu instid0(SALU_CYCLE_1) | instskip(NEXT) | instid1(SALU_CYCLE_1)
	s_add_i32 s3, s3, s5
	s_ashr_i32 s5, s3, 31
	s_add_u32 s4, s16, s3
	s_addc_u32 s5, s17, s5
	global_load_b128 v[11:14], v0, s[4:5]
	s_waitcnt vmcnt(0)
	v_mul_f32_e32 v3, s8, v11
	v_dual_mul_f32 v7, s8, v12 :: v_dual_mul_f32 v10, s8, v14
	v_mul_f32_e32 v11, s8, v13
	v_add_co_u32 v0, s3, s4, v0
	s_delay_alu instid0(VALU_DEP_4) | instskip(SKIP_1) | instid1(VALU_DEP_2)
	v_max_f32_e64 v2, |v3|, |v3|
	v_fma_f32 v8, s8, v12, v3
	v_max_f32_e64 v2, v2, |v7|
	s_delay_alu instid0(VALU_DEP_2) | instskip(SKIP_1) | instid1(VALU_DEP_3)
	v_fmac_f32_e32 v8, s8, v13
	v_cndmask_b32_e32 v5, v65, v5, vcc_lo
	v_max3_f32 v1, v2, |v11|, |v10|
	s_delay_alu instid0(VALU_DEP_3) | instskip(SKIP_3) | instid1(VALU_DEP_1)
	v_fmac_f32_e32 v8, s8, v14
	ds_bpermute_b32 v2, v4, v1
	s_waitcnt lgkmcnt(0)
	v_max_f32_e32 v2, v2, v2
	v_dual_max_f32 v1, v1, v2 :: v_dual_lshlrev_b32 v6, 2, v5
	v_xor_b32_e32 v5, 1, v65
	ds_bpermute_b32 v9, v4, v8
	ds_bpermute_b32 v2, v6, v1
	v_cmp_gt_i32_e32 vcc_lo, 32, v5
	v_cndmask_b32_e32 v5, v65, v5, vcc_lo
	s_waitcnt lgkmcnt(0)
	s_delay_alu instid0(VALU_DEP_1) | instskip(NEXT) | instid1(VALU_DEP_1)
	v_dual_max_f32 v2, v2, v2 :: v_dual_lshlrev_b32 v5, 2, v5
	v_max_f32_e32 v1, v1, v2
	ds_bpermute_b32 v2, v5, v1
	s_waitcnt lgkmcnt(0)
	v_max_f32_e32 v2, v2, v2
	s_delay_alu instid0(VALU_DEP_1) | instskip(NEXT) | instid1(VALU_DEP_1)
	v_max_f32_e32 v1, v1, v2
	v_div_scale_f32 v2, null, 0x42fe0000, 0x42fe0000, v1
	v_div_scale_f32 v14, vcc_lo, v1, 0x42fe0000, v1
	v_add_f32_e32 v8, v8, v9
	s_delay_alu instid0(VALU_DEP_3) | instskip(SKIP_2) | instid1(VALU_DEP_1)
	v_rcp_f32_e32 v12, v2
	s_waitcnt_depctr 0xfff
	v_fma_f32 v9, -v2, v12, 1.0
	v_fmac_f32_e32 v12, v9, v12
	s_delay_alu instid0(VALU_DEP_1) | instskip(SKIP_3) | instid1(VALU_DEP_1)
	v_mul_f32_e32 v15, v14, v12
	ds_bpermute_b32 v13, v6, v8
	v_fma_f32 v9, -v2, v15, v14
	s_waitcnt lgkmcnt(0)
	v_dual_fmac_f32 v15, v9, v12 :: v_dual_add_f32 v8, v8, v13
	s_delay_alu instid0(VALU_DEP_1) | instskip(SKIP_3) | instid1(VALU_DEP_2)
	v_fma_f32 v2, -v2, v15, v14
	ds_bpermute_b32 v9, v5, v8
	v_div_fmas_f32 v2, v2, v12, v15
	v_mov_b32_e32 v12, 0
	v_div_fixup_f32 v2, v2, 0x42fe0000, v1
	v_add_co_ci_u32_e64 v1, null, s5, 0, s3
	s_delay_alu instid0(VALU_DEP_2)
	v_cmpx_neq_f32_e32 0, v2
	s_cbranch_execz .LBB27_5
; %bb.4:
	v_div_scale_f32 v12, null, v2, v2, v3
	v_div_scale_f32 v13, null, v2, v2, v7
	;; [unrolled: 1-line block ×3, first 2 shown]
	s_delay_alu instid0(VALU_DEP_3) | instskip(SKIP_1) | instid1(VALU_DEP_3)
	v_rcp_f32_e32 v14, v12
	v_div_scale_f32 v16, null, v2, v2, v10
	v_rcp_f32_e32 v17, v13
	s_delay_alu instid0(VALU_DEP_2) | instskip(SKIP_1) | instid1(VALU_DEP_2)
	v_rcp_f32_e32 v18, v15
	v_div_scale_f32 v22, vcc_lo, v3, v2, v3
	v_rcp_f32_e32 v19, v16
	v_fma_f32 v20, -v12, v14, 1.0
	s_delay_alu instid0(TRANS32_DEP_3)
	v_fma_f32 v21, -v13, v17, 1.0
	s_waitcnt_depctr 0xfff
	v_fma_f32 v23, -v15, v18, 1.0
	v_fmac_f32_e32 v14, v20, v14
	v_div_scale_f32 v20, s3, v7, v2, v7
	v_fmac_f32_e32 v17, v21, v17
	v_fma_f32 v24, -v16, v19, 1.0
	v_fmac_f32_e32 v18, v23, v18
	v_div_scale_f32 v21, s4, v11, v2, v11
	s_delay_alu instid0(VALU_DEP_4) | instskip(NEXT) | instid1(VALU_DEP_4)
	v_mul_f32_e32 v25, v20, v17
	v_dual_fmac_f32 v19, v24, v19 :: v_dual_mul_f32 v24, v22, v14
	v_div_scale_f32 v23, s5, v10, v2, v10
	s_delay_alu instid0(VALU_DEP_4) | instskip(NEXT) | instid1(VALU_DEP_4)
	v_mul_f32_e32 v26, v21, v18
	v_fma_f32 v29, -v13, v25, v20
	s_delay_alu instid0(VALU_DEP_4) | instskip(NEXT) | instid1(VALU_DEP_4)
	v_fma_f32 v28, -v12, v24, v22
	v_mul_f32_e32 v27, v23, v19
	s_delay_alu instid0(VALU_DEP_4) | instskip(NEXT) | instid1(VALU_DEP_3)
	v_fma_f32 v30, -v15, v26, v21
	v_dual_fmac_f32 v25, v29, v17 :: v_dual_fmac_f32 v24, v28, v14
	s_delay_alu instid0(VALU_DEP_3) | instskip(NEXT) | instid1(VALU_DEP_3)
	v_fma_f32 v31, -v16, v27, v23
	v_fmac_f32_e32 v26, v30, v18
	s_delay_alu instid0(VALU_DEP_3) | instskip(NEXT) | instid1(VALU_DEP_4)
	v_fma_f32 v13, -v13, v25, v20
	v_fma_f32 v12, -v12, v24, v22
	s_delay_alu instid0(VALU_DEP_4) | instskip(NEXT) | instid1(VALU_DEP_4)
	v_fmac_f32_e32 v27, v31, v19
	v_fma_f32 v15, -v15, v26, v21
	s_delay_alu instid0(VALU_DEP_3) | instskip(SKIP_3) | instid1(VALU_DEP_2)
	v_div_fmas_f32 v12, v12, v14, v24
	s_mov_b32 vcc_lo, s3
	v_div_fmas_f32 v13, v13, v17, v25
	s_mov_b32 vcc_lo, s4
	v_div_fixup_f32 v3, v12, v2, v3
	v_div_fmas_f32 v14, v15, v18, v26
	v_fma_f32 v15, -v16, v27, v23
	s_mov_b32 vcc_lo, s5
	v_div_fixup_f32 v7, v13, v2, v7
	v_trunc_f32_e32 v17, v3
	v_div_fixup_f32 v11, v14, v2, v11
	v_div_fmas_f32 v14, v15, v19, v27
	s_delay_alu instid0(VALU_DEP_2) | instskip(NEXT) | instid1(VALU_DEP_2)
	v_trunc_f32_e32 v13, v11
	v_div_fixup_f32 v10, v14, v2, v10
	v_trunc_f32_e32 v14, v7
	s_delay_alu instid0(VALU_DEP_2) | instskip(NEXT) | instid1(VALU_DEP_1)
	v_trunc_f32_e32 v12, v10
	v_dual_sub_f32 v15, v11, v13 :: v_dual_sub_f32 v18, v10, v12
	s_delay_alu instid0(VALU_DEP_1) | instskip(NEXT) | instid1(VALU_DEP_1)
	v_cmp_ge_f32_e64 s3, |v15|, 0.5
	v_cndmask_b32_e64 v15, 0, 1.0, s3
	s_delay_alu instid0(VALU_DEP_1) | instskip(NEXT) | instid1(VALU_DEP_1)
	v_bfi_b32 v11, 0x7fffffff, v15, v11
	v_dual_sub_f32 v16, v7, v14 :: v_dual_add_f32 v11, v13, v11
	s_delay_alu instid0(VALU_DEP_1) | instskip(NEXT) | instid1(VALU_DEP_2)
	v_cmp_ge_f32_e64 s3, |v16|, 0.5
	v_cvt_i32_f32_e32 v11, v11
	s_delay_alu instid0(VALU_DEP_2) | instskip(SKIP_1) | instid1(VALU_DEP_3)
	v_cndmask_b32_e64 v16, 0, 1.0, s3
	v_cmp_ge_f32_e64 s3, |v18|, 0.5
	v_and_b32_e32 v11, 0xff, v11
	s_delay_alu instid0(VALU_DEP_3) | instskip(NEXT) | instid1(VALU_DEP_3)
	v_bfi_b32 v7, 0x7fffffff, v16, v7
	v_cndmask_b32_e64 v18, 0, 1.0, s3
	s_delay_alu instid0(VALU_DEP_3) | instskip(NEXT) | instid1(VALU_DEP_3)
	v_lshlrev_b32_e32 v11, 16, v11
	v_add_f32_e32 v7, v14, v7
	s_delay_alu instid0(VALU_DEP_3) | instskip(SKIP_1) | instid1(VALU_DEP_3)
	v_bfi_b32 v10, 0x7fffffff, v18, v10
	v_sub_f32_e32 v15, v3, v17
	v_cvt_i32_f32_e32 v7, v7
	s_delay_alu instid0(VALU_DEP_3) | instskip(NEXT) | instid1(VALU_DEP_3)
	v_add_f32_e32 v10, v12, v10
	v_cmp_ge_f32_e64 s3, |v15|, 0.5
	s_delay_alu instid0(VALU_DEP_3) | instskip(NEXT) | instid1(VALU_DEP_3)
	v_and_b32_e32 v7, 0xff, v7
	v_cvt_i32_f32_e32 v10, v10
	s_delay_alu instid0(VALU_DEP_3) | instskip(NEXT) | instid1(VALU_DEP_3)
	v_cndmask_b32_e64 v13, 0, 1.0, s3
	v_lshlrev_b32_e32 v7, 8, v7
	s_delay_alu instid0(VALU_DEP_3) | instskip(NEXT) | instid1(VALU_DEP_3)
	v_lshl_or_b32 v10, v10, 24, v11
	v_bfi_b32 v3, 0x7fffffff, v13, v3
	s_delay_alu instid0(VALU_DEP_1) | instskip(NEXT) | instid1(VALU_DEP_1)
	v_add_f32_e32 v3, v17, v3
	v_cvt_i32_f32_e32 v3, v3
	s_delay_alu instid0(VALU_DEP_1) | instskip(NEXT) | instid1(VALU_DEP_1)
	v_and_b32_e32 v3, 0xff, v3
	v_or3_b32 v12, v10, v7, v3
.LBB27_5:
	s_or_b32 exec_lo, exec_lo, s6
	v_and_b32_e32 v3, 7, v64
	v_lshlrev_b32_e32 v7, 2, v64
	s_delay_alu instid0(VALU_DEP_2)
	v_cmp_eq_u32_e64 s3, 0, v3
	ds_store_b32 v7, v12
	s_and_saveexec_b32 s4, s3
	s_cbranch_execz .LBB27_7
; %bb.6:
	s_waitcnt lgkmcnt(1)
	v_add_f32_e32 v3, v8, v9
	ds_store_b64 v64, v[2:3] offset:256
.LBB27_7:
	s_or_b32 exec_lo, exec_lo, s4
	global_load_b128 v[10:13], v[0:1], off offset:512
	s_waitcnt vmcnt(0)
	v_dual_mul_f32 v3, s8, v10 :: v_dual_mul_f32 v8, s8, v11
	s_waitcnt lgkmcnt(1)
	v_dual_mul_f32 v10, s8, v12 :: v_dual_mul_f32 v9, s8, v13
	s_delay_alu instid0(VALU_DEP_2) | instskip(SKIP_1) | instid1(VALU_DEP_2)
	v_max_f32_e64 v0, |v3|, |v3|
	v_fma_f32 v2, s8, v11, v3
	v_max_f32_e64 v0, v0, |v8|
	s_delay_alu instid0(VALU_DEP_2) | instskip(NEXT) | instid1(VALU_DEP_2)
	v_fmac_f32_e32 v2, s8, v12
	v_max3_f32 v0, v0, |v10|, |v9|
	s_delay_alu instid0(VALU_DEP_2)
	v_fmac_f32_e32 v2, s8, v13
	s_mov_b32 s8, exec_lo
	ds_bpermute_b32 v1, v4, v0
	ds_bpermute_b32 v4, v4, v2
	s_waitcnt lgkmcnt(1)
	v_max_f32_e32 v1, v1, v1
	s_delay_alu instid0(VALU_DEP_1) | instskip(SKIP_3) | instid1(VALU_DEP_1)
	v_max_f32_e32 v0, v0, v1
	ds_bpermute_b32 v1, v6, v0
	s_waitcnt lgkmcnt(0)
	v_max_f32_e32 v1, v1, v1
	v_max_f32_e32 v0, v0, v1
	ds_bpermute_b32 v1, v5, v0
	s_waitcnt lgkmcnt(0)
	v_max_f32_e32 v1, v1, v1
	s_delay_alu instid0(VALU_DEP_1) | instskip(NEXT) | instid1(VALU_DEP_1)
	v_dual_max_f32 v0, v0, v1 :: v_dual_add_f32 v1, v2, v4
	v_div_scale_f32 v11, null, 0x42fe0000, 0x42fe0000, v0
	ds_bpermute_b32 v4, v6, v1
	v_div_scale_f32 v6, vcc_lo, v0, 0x42fe0000, v0
	v_rcp_f32_e32 v12, v11
	s_waitcnt_depctr 0xfff
	v_fma_f32 v2, -v11, v12, 1.0
	s_delay_alu instid0(VALU_DEP_1) | instskip(SKIP_2) | instid1(VALU_DEP_2)
	v_fmac_f32_e32 v12, v2, v12
	s_waitcnt lgkmcnt(0)
	v_add_f32_e32 v1, v1, v4
	v_mul_f32_e32 v13, v6, v12
	s_delay_alu instid0(VALU_DEP_1) | instskip(NEXT) | instid1(VALU_DEP_1)
	v_fma_f32 v2, -v11, v13, v6
	v_fmac_f32_e32 v13, v2, v12
	ds_bpermute_b32 v2, v5, v1
	v_fma_f32 v4, -v11, v13, v6
	s_delay_alu instid0(VALU_DEP_1) | instskip(NEXT) | instid1(VALU_DEP_1)
	v_div_fmas_f32 v4, v4, v12, v13
	v_div_fixup_f32 v0, v4, 0x42fe0000, v0
	v_mov_b32_e32 v4, 0
	s_delay_alu instid0(VALU_DEP_2)
	v_cmpx_neq_f32_e32 0, v0
	s_cbranch_execz .LBB27_9
; %bb.8:
	v_div_scale_f32 v4, null, v0, v0, v3
	v_div_scale_f32 v5, null, v0, v0, v8
	;; [unrolled: 1-line block ×3, first 2 shown]
	s_delay_alu instid0(VALU_DEP_3) | instskip(SKIP_1) | instid1(VALU_DEP_3)
	v_rcp_f32_e32 v6, v4
	v_div_scale_f32 v12, null, v0, v0, v9
	v_rcp_f32_e32 v13, v5
	s_delay_alu instid0(VALU_DEP_2) | instskip(SKIP_1) | instid1(VALU_DEP_2)
	v_rcp_f32_e32 v14, v11
	v_div_scale_f32 v18, vcc_lo, v3, v0, v3
	v_rcp_f32_e32 v15, v12
	v_fma_f32 v16, -v4, v6, 1.0
	s_delay_alu instid0(TRANS32_DEP_3)
	v_fma_f32 v17, -v5, v13, 1.0
	s_waitcnt_depctr 0xfff
	v_fma_f32 v19, -v11, v14, 1.0
	v_fmac_f32_e32 v6, v16, v6
	v_div_scale_f32 v16, s4, v8, v0, v8
	v_fmac_f32_e32 v13, v17, v13
	v_fma_f32 v20, -v12, v15, 1.0
	v_fmac_f32_e32 v14, v19, v14
	v_div_scale_f32 v17, s5, v10, v0, v10
	s_delay_alu instid0(VALU_DEP_4) | instskip(NEXT) | instid1(VALU_DEP_4)
	v_mul_f32_e32 v21, v16, v13
	v_dual_fmac_f32 v15, v20, v15 :: v_dual_mul_f32 v20, v18, v6
	v_div_scale_f32 v19, s6, v9, v0, v9
	s_delay_alu instid0(VALU_DEP_4) | instskip(NEXT) | instid1(VALU_DEP_4)
	v_mul_f32_e32 v22, v17, v14
	v_fma_f32 v25, -v5, v21, v16
	s_delay_alu instid0(VALU_DEP_4) | instskip(NEXT) | instid1(VALU_DEP_4)
	v_fma_f32 v24, -v4, v20, v18
	v_mul_f32_e32 v23, v19, v15
	s_delay_alu instid0(VALU_DEP_4) | instskip(NEXT) | instid1(VALU_DEP_3)
	v_fma_f32 v26, -v11, v22, v17
	v_dual_fmac_f32 v21, v25, v13 :: v_dual_fmac_f32 v20, v24, v6
	s_delay_alu instid0(VALU_DEP_3) | instskip(NEXT) | instid1(VALU_DEP_3)
	v_fma_f32 v27, -v12, v23, v19
	v_fmac_f32_e32 v22, v26, v14
	s_delay_alu instid0(VALU_DEP_3) | instskip(NEXT) | instid1(VALU_DEP_4)
	v_fma_f32 v5, -v5, v21, v16
	v_fma_f32 v4, -v4, v20, v18
	s_delay_alu instid0(VALU_DEP_4) | instskip(NEXT) | instid1(VALU_DEP_4)
	v_fmac_f32_e32 v23, v27, v15
	v_fma_f32 v11, -v11, v22, v17
	s_delay_alu instid0(VALU_DEP_3) | instskip(SKIP_3) | instid1(VALU_DEP_2)
	v_div_fmas_f32 v4, v4, v6, v20
	s_mov_b32 vcc_lo, s4
	v_div_fmas_f32 v5, v5, v13, v21
	s_mov_b32 vcc_lo, s5
	v_div_fixup_f32 v3, v4, v0, v3
	v_div_fmas_f32 v6, v11, v14, v22
	v_fma_f32 v11, -v12, v23, v19
	s_mov_b32 vcc_lo, s6
	v_div_fixup_f32 v5, v5, v0, v8
	v_trunc_f32_e32 v13, v3
	v_div_fixup_f32 v6, v6, v0, v10
	v_div_fmas_f32 v10, v11, v15, v23
	s_delay_alu instid0(VALU_DEP_2) | instskip(NEXT) | instid1(VALU_DEP_2)
	v_trunc_f32_e32 v8, v6
	v_div_fixup_f32 v9, v10, v0, v9
	v_trunc_f32_e32 v10, v5
	s_delay_alu instid0(VALU_DEP_3) | instskip(NEXT) | instid1(VALU_DEP_3)
	v_sub_f32_e32 v11, v6, v8
	v_trunc_f32_e32 v4, v9
	s_delay_alu instid0(VALU_DEP_3) | instskip(NEXT) | instid1(VALU_DEP_3)
	v_sub_f32_e32 v12, v5, v10
	v_cmp_ge_f32_e64 s4, |v11|, 0.5
	s_delay_alu instid0(VALU_DEP_3) | instskip(NEXT) | instid1(VALU_DEP_2)
	v_sub_f32_e32 v14, v9, v4
	v_cndmask_b32_e64 v11, 0, 1.0, s4
	s_delay_alu instid0(VALU_DEP_4) | instskip(NEXT) | instid1(VALU_DEP_2)
	v_cmp_ge_f32_e64 s4, |v12|, 0.5
	v_bfi_b32 v6, 0x7fffffff, v11, v6
	v_sub_f32_e32 v11, v3, v13
	s_delay_alu instid0(VALU_DEP_3) | instskip(SKIP_1) | instid1(VALU_DEP_2)
	v_cndmask_b32_e64 v12, 0, 1.0, s4
	v_cmp_ge_f32_e64 s4, |v14|, 0.5
	v_bfi_b32 v5, 0x7fffffff, v12, v5
	s_delay_alu instid0(VALU_DEP_2) | instskip(SKIP_1) | instid1(VALU_DEP_3)
	v_cndmask_b32_e64 v14, 0, 1.0, s4
	v_cmp_ge_f32_e64 s4, |v11|, 0.5
	v_dual_add_f32 v6, v8, v6 :: v_dual_add_f32 v5, v10, v5
	s_delay_alu instid0(VALU_DEP_3) | instskip(NEXT) | instid1(VALU_DEP_3)
	v_bfi_b32 v9, 0x7fffffff, v14, v9
	v_cndmask_b32_e64 v8, 0, 1.0, s4
	s_delay_alu instid0(VALU_DEP_3) | instskip(NEXT) | instid1(VALU_DEP_4)
	v_cvt_i32_f32_e32 v6, v6
	v_cvt_i32_f32_e32 v5, v5
	s_delay_alu instid0(VALU_DEP_3) | instskip(SKIP_1) | instid1(VALU_DEP_4)
	v_bfi_b32 v3, 0x7fffffff, v8, v3
	v_add_f32_e32 v4, v4, v9
	v_and_b32_e32 v6, 0xff, v6
	s_delay_alu instid0(VALU_DEP_4) | instskip(NEXT) | instid1(VALU_DEP_4)
	v_and_b32_e32 v5, 0xff, v5
	v_add_f32_e32 v3, v13, v3
	s_delay_alu instid0(VALU_DEP_4) | instskip(NEXT) | instid1(VALU_DEP_4)
	v_cvt_i32_f32_e32 v4, v4
	v_lshlrev_b32_e32 v6, 16, v6
	s_delay_alu instid0(VALU_DEP_4) | instskip(NEXT) | instid1(VALU_DEP_4)
	v_lshlrev_b32_e32 v5, 8, v5
	v_cvt_i32_f32_e32 v3, v3
	s_delay_alu instid0(VALU_DEP_3) | instskip(NEXT) | instid1(VALU_DEP_2)
	v_lshl_or_b32 v4, v4, 24, v6
	v_and_b32_e32 v3, 0xff, v3
	s_delay_alu instid0(VALU_DEP_1)
	v_or3_b32 v4, v4, v5, v3
.LBB27_9:
	s_or_b32 exec_lo, exec_lo, s8
	ds_store_b32 v7, v4 offset:128
	s_and_b32 exec_lo, exec_lo, s3
	s_cbranch_execz .LBB27_11
; %bb.10:
	s_waitcnt lgkmcnt(1)
	v_add_f32_e32 v1, v1, v2
	ds_store_b64 v64, v[0:1] offset:288
.LBB27_11:
	s_or_b32 exec_lo, exec_lo, s11
	v_dual_mov_b32 v175, 0 :: v_dual_and_b32 v16, 1, v64
	s_waitcnt lgkmcnt(0)
	s_barrier
	buffer_gl0_inv
	v_lshlrev_b32_e32 v70, 2, v16
	s_ashr_i32 s37, s36, 31
	s_ashr_i32 s42, s7, 31
	;; [unrolled: 1-line block ×3, first 2 shown]
	s_cmp_eq_u64 s[26:27], 0
	ds_load_2addr_b32 v[31:32], v70 offset1:2
	ds_load_2addr_b32 v[33:34], v70 offset0:4 offset1:6
	ds_load_2addr_b32 v[35:36], v70 offset0:8 offset1:10
	;; [unrolled: 1-line block ×3, first 2 shown]
	ds_load_b128 v[0:3], v175 offset:256
	ds_load_b128 v[4:7], v175 offset:272
	;; [unrolled: 1-line block ×4, first 2 shown]
	ds_load_2addr_b32 v[39:40], v70 offset0:16 offset1:18
	ds_load_2addr_b32 v[41:42], v70 offset0:20 offset1:22
	ds_load_2addr_b32 v[43:44], v70 offset0:24 offset1:26
	ds_load_2addr_b32 v[45:46], v70 offset0:28 offset1:30
	ds_load_2addr_b32 v[47:48], v70 offset0:32 offset1:34
	ds_load_2addr_b32 v[49:50], v70 offset0:36 offset1:38
	ds_load_2addr_b32 v[51:52], v70 offset0:40 offset1:42
	ds_load_2addr_b32 v[53:54], v70 offset0:44 offset1:46
	ds_load_2addr_b32 v[55:56], v70 offset0:48 offset1:50
	ds_load_2addr_b32 v[57:58], v70 offset0:52 offset1:54
	ds_load_2addr_b32 v[59:60], v70 offset0:56 offset1:58
	ds_load_2addr_b32 v[61:62], v70 offset0:60 offset1:62
	s_waitcnt lgkmcnt(0)
	s_barrier
	buffer_gl0_inv
	s_cbranch_scc1 .LBB27_13
; %bb.12:
	s_load_b32 s4, s[0:1], 0xd0
	s_mov_b32 s5, 0
	s_waitcnt lgkmcnt(0)
	s_mul_i32 s4, s4, s12
	s_delay_alu instid0(SALU_CYCLE_1) | instskip(NEXT) | instid1(SALU_CYCLE_1)
	s_add_i32 s4, s4, s13
	s_lshl_b64 s[4:5], s[4:5], 2
	s_delay_alu instid0(SALU_CYCLE_1)
	s_add_u32 s4, s26, s4
	s_addc_u32 s5, s27, s5
	s_load_b32 s38, s[4:5], 0x0
.LBB27_13:
	v_dual_mov_b32 v176, 0xfeffffff :: v_dual_lshlrev_b32 v17, 5, v63
	v_dual_mov_b32 v173, 0 :: v_dual_mov_b32 v172, 0
	v_lshlrev_b32_e32 v69, 2, v64
	s_delay_alu instid0(VALU_DEP_3)
	v_dual_mov_b32 v174, 0 :: v_dual_add_nc_u32 v67, v17, v64
	s_lshl_b32 s8, s14, 7
	s_mov_b32 s11, 0
	s_waitcnt lgkmcnt(0)
	s_cmp_ge_i32 s8, s38
	v_dual_mov_b32 v171, 0 :: v_dual_lshlrev_b32 v68, 1, v67
	s_cbranch_scc1 .LBB27_29
; %bb.14:
	s_clause 0x2
	s_load_b128 s[4:7], s[0:1], 0x98
	s_load_b64 s[26:27], s[0:1], 0xa8
	s_load_b64 s[16:17], s[0:1], 0x8c
	s_xor_b32 s44, s37, s42
	s_mul_i32 s42, s10, s33
	s_add_i32 s45, s10, 1
	s_sub_i32 s47, s39, s42
	s_mul_i32 s46, s13, s43
	s_sub_i32 s48, s47, s33
	s_clause 0x1
	s_load_b64 s[42:43], s[0:1], 0xc8
	s_load_b32 s39, s[0:1], 0xd4
	s_mul_i32 s40, s40, s15
	v_dual_add_f32 v1, v1, v1 :: v_dual_and_b32 v18, 0x7e, v64
	v_xor_b32_e32 v20, 1, v65
	v_or_b32_e32 v19, 0x58, v70
	s_delay_alu instid0(VALU_DEP_3) | instskip(SKIP_2) | instid1(VALU_DEP_4)
	v_dual_add_f32 v7, v7, v7 :: v_dual_add_nc_u32 v78, v17, v18
	v_or_b32_e32 v18, 56, v70
	v_or_b32_e32 v80, 24, v70
	v_dual_mov_b32 v170, 0 :: v_dual_and_b32 v89, 12, v19
	s_waitcnt lgkmcnt(0)
	s_mul_i32 s5, s12, s5
	s_mul_hi_u32 s49, s12, s4
	s_mul_i32 s50, s3, s4
	s_add_i32 s5, s49, s5
	s_mul_i32 s4, s12, s4
	s_add_i32 s5, s5, s50
	s_cmp_ge_u32 s47, s33
	s_mul_i32 s27, s12, s27
	s_cselect_b32 s10, s45, s10
	s_cselect_b32 s45, s48, s47
	s_add_i32 s47, s10, 1
	s_cmp_ge_u32 s45, s33
	s_mul_hi_u32 s33, s12, s26
	s_cselect_b32 s10, s47, s10
	s_mul_i32 s45, s3, s26
	s_xor_b32 s10, s10, s44
	s_mul_i32 s26, s12, s26
	s_sub_i32 s10, s10, s44
	v_mul_lo_u32 v71, v17, s6
	s_mul_i32 s17, s10, s17
	s_mul_i32 s10, s10, s7
	s_ashr_i32 s7, s17, 31
	s_add_u32 s4, s18, s4
	s_addc_u32 s5, s19, s5
	s_add_u32 s17, s4, s17
	s_addc_u32 s18, s5, s7
	s_add_i32 s4, s33, s27
	s_ashr_i32 s5, s10, 31
	s_add_i32 s4, s4, s45
	s_add_u32 s7, s20, s26
	s_addc_u32 s4, s21, s4
	s_add_u32 s7, s7, s10
	s_addc_u32 s10, s4, s5
	s_sub_i32 s4, s9, s40
	s_mov_b32 s9, s11
	s_sub_i32 s5, s4, s15
	s_cmp_ge_u32 s4, s15
	v_dual_mov_b32 v174, 0 :: v_dual_and_b32 v87, 28, v18
	s_cselect_b32 s4, s5, s4
	v_dual_mov_b32 v171, 0 :: v_dual_add_nc_u32 v72, s6, v71
	s_sub_i32 s5, s4, s15
	s_cmp_ge_u32 s4, s15
	v_add_f32_e32 v104, v15, v15
	s_cselect_b32 s4, s5, s4
	v_add_nc_u32_e32 v73, s6, v72
	s_xor_b32 s4, s4, s3
	v_xor_b32_e32 v15, 2, v65
	s_sub_i32 s3, s4, s3
	v_add_f32_e32 v3, v3, v3
	s_mul_i32 s4, s3, s43
	s_mul_hi_u32 s5, s3, s42
	s_ashr_i32 s20, s3, 31
	s_add_i32 s4, s5, s4
	s_mul_i32 s20, s20, s42
	s_mul_i32 s3, s3, s42
	s_add_i32 s4, s4, s20
	s_add_u32 s3, s22, s3
	s_addc_u32 s4, s23, s4
	s_ashr_i32 s5, s46, 31
	s_add_u32 s3, s3, s46
	s_addc_u32 s20, s4, s5
	s_lshl_b64 s[4:5], s[8:9], 1
	v_add_nc_u32_e32 v74, s6, v73
	s_add_u32 s4, s3, s4
	v_cmp_eq_u32_e64 s3, 0, v16
	v_xor_b32_e32 v16, 4, v65
	v_and_b32_e32 v85, 12, v18
	v_or_b32_e32 v18, 0x78, v70
	v_and_b32_e32 v90, 28, v19
	v_or_b32_e32 v19, 0x98, v70
	v_mul_lo_u32 v108, v78, s16
	s_mul_i32 s15, s8, s6
	v_and_b32_e32 v91, 12, v18
	v_and_b32_e32 v93, 28, v18
	v_or_b32_e32 v18, 0xb8, v70
	v_and_b32_e32 v95, 12, v19
	v_and_b32_e32 v96, 28, v19
	v_or_b32_e32 v19, 0xd8, v70
	v_add_f32_e32 v5, v5, v5
	v_and_b32_e32 v97, 12, v18
	v_and_b32_e32 v99, 28, v18
	;; [unrolled: 1-line block ×5, first 2 shown]
	v_or_b32_e32 v19, 0xf8, v70
	s_addc_u32 s5, s20, s5
	v_add_nc_u32_e32 v18, 2, v18
	s_mul_i32 s19, s8, s16
	s_add_u32 s7, s7, s15
	v_and_b32_e32 v106, 12, v19
	v_and_b32_e32 v107, 28, v19
	v_cmp_lt_i32_e32 vcc_lo, v20, v18
	v_dual_mov_b32 v172, 0 :: v_dual_add_nc_u32 v75, s6, v74
	v_xor_b32_e32 v19, 16, v65
	v_add_nc_u32_e32 v113, s16, v108
	v_cndmask_b32_e32 v18, v65, v20, vcc_lo
	v_cmp_gt_i32_e32 vcc_lo, 32, v15
	v_dual_add_f32 v9, v9, v9 :: v_dual_add_nc_u32 v76, s6, v75
	s_addc_u32 s9, s10, 0
	s_delay_alu instid0(VALU_DEP_3)
	v_dual_cndmask_b32 v15, v65, v15 :: v_dual_lshlrev_b32 v110, 2, v18
	v_xor_b32_e32 v18, 8, v65
	v_cmp_gt_i32_e32 vcc_lo, 32, v16
	v_add_f32_e32 v13, v13, v13
	s_add_u32 s15, s17, s19
	v_lshlrev_b32_e32 v119, 2, v15
	v_dual_cndmask_b32 v16, v65, v16 :: v_dual_add_nc_u32 v15, 0x80, v69
	v_cmp_gt_i32_e32 vcc_lo, 32, v18
	v_add_nc_u32_e32 v77, s6, v76
	s_addc_u32 s17, s18, 0
	v_mov_b32_e32 v173, 0
	s_cmp_lg_u64 s[22:23], 0
	s_delay_alu instid0(VALU_DEP_2)
	v_dual_cndmask_b32 v18, v65, v18 :: v_dual_add_nc_u32 v79, s6, v77
	v_cmp_gt_i32_e32 vcc_lo, 32, v19
	v_or_b32_e32 v81, 8, v70
	v_or_b32_e32 v83, 16, v70
	v_dual_add_f32 v11, v11, v11 :: v_dual_and_b32 v84, 12, v80
	v_add_nc_u32_e32 v82, s6, v79
	v_cndmask_b32_e32 v19, v65, v19, vcc_lo
	v_and_b32_e32 v111, 4, v64
	v_ashrrev_i32_e32 v114, 31, v108
	v_ashrrev_i32_e32 v116, 31, v113
	v_add_nc_u32_e32 v86, s6, v82
	v_lshlrev_b32_e32 v121, 2, v16
	v_lshlrev_b32_e32 v122, 2, v18
	v_lshlrev_b32_e32 v123, 2, v19
	v_lshlrev_b32_e32 v124, 1, v17
	v_add_nc_u32_e32 v88, s6, v86
	v_ashrrev_i32_e32 v126, 31, v71
	v_bfe_u32 v127, v64, 3, 27
	v_and_b32_e32 v128, 12, v69
	v_lshrrev_b32_e32 v130, 5, v15
	v_add_nc_u32_e32 v92, s6, v88
	v_and_b32_e32 v131, 12, v15
	v_ashrrev_i32_e32 v132, 31, v72
	v_ashrrev_i32_e32 v133, 31, v73
	v_ashrrev_i32_e32 v135, 31, v74
	v_add_nc_u32_e32 v94, s6, v92
	v_ashrrev_i32_e32 v136, 31, v75
	v_ashrrev_i32_e32 v137, 31, v76
	v_ashrrev_i32_e32 v138, 31, v77
	v_ashrrev_i32_e32 v140, 31, v79
	v_add_nc_u32_e32 v98, s6, v94
	v_ashrrev_i32_e32 v141, 31, v82
	;; [unrolled: 5-line block ×3, first 2 shown]
	v_ashrrev_i32_e32 v147, 31, v98
	v_mov_b32_e32 v19, 0xfeffffff
	s_cselect_b32 s18, -1, 0
	v_add_nc_u32_e32 v103, s6, v100
	v_ashrrev_i32_e32 v148, 31, v100
	s_lshl_b32 s10, s39, 7
	s_mov_b32 s19, 0xbbbac73d
	s_mul_i32 s16, s10, s16
	v_add_nc_u32_e32 v105, s6, v103
	v_ashrrev_i32_e32 v150, 31, v103
	s_delay_alu instid0(VALU_DEP_2) | instskip(SKIP_1) | instid1(VALU_DEP_2)
	v_add_nc_u32_e32 v109, s6, v105
	v_ashrrev_i32_e32 v151, 31, v105
	v_add_nc_u32_e32 v112, s6, v109
	v_ashrrev_i32_e32 v152, 31, v109
	s_delay_alu instid0(VALU_DEP_2) | instskip(SKIP_1) | instid1(VALU_DEP_2)
	v_add_nc_u32_e32 v115, s6, v112
	v_ashrrev_i32_e32 v153, 31, v112
	;; [unrolled: 5-line block ×7, first 2 shown]
	v_add_nc_u32_e32 v159, s6, v154
	v_ashrrev_i32_e32 v167, 31, v154
	s_delay_alu instid0(VALU_DEP_2) | instskip(SKIP_2) | instid1(VALU_DEP_2)
	v_add_nc_u32_e32 v164, s6, v159
	v_ashrrev_i32_e32 v168, 31, v159
	s_mul_i32 s6, s10, s6
	v_ashrrev_i32_e32 v169, 31, v164
.LBB27_15:                              ; =>This Inner Loop Header: Depth=1
	v_add_co_u32 v15, vcc_lo, s15, v108
	v_add_co_ci_u32_e32 v16, vcc_lo, s17, v114, vcc_lo
	s_delay_alu instid0(VALU_DEP_2) | instskip(NEXT) | instid1(VALU_DEP_2)
	v_add_co_u32 v17, vcc_lo, v15, v70
	v_add_co_ci_u32_e32 v18, vcc_lo, 0, v16, vcc_lo
	s_clause 0x2
	global_load_b32 v20, v[17:18], off offset:6
	global_load_b32 v22, v[15:16], off
	global_load_u16 v21, v[15:16], off offset:4
	s_waitcnt vmcnt(2)
	v_and_b32_e32 v25, 0xf0f0f0f, v20
	v_lshrrev_b32_e32 v20, 4, v20
	s_waitcnt vmcnt(0)
	v_perm_b32 v23, v22, v21, 0x1000706
	s_delay_alu instid0(VALU_DEP_2) | instskip(NEXT) | instid1(VALU_DEP_2)
	v_and_b32_e32 v20, 0xf0f0f0f, v20
	v_ashrrev_i32_e32 v21, v70, v23
	s_delay_alu instid0(VALU_DEP_1) | instskip(SKIP_3) | instid1(VALU_DEP_4)
	v_lshlrev_b32_e32 v24, 4, v21
	v_lshlrev_b32_e32 v26, 11, v21
	;; [unrolled: 1-line block ×4, first 2 shown]
	v_and_b32_e32 v24, 16, v24
	s_delay_alu instid0(VALU_DEP_4) | instskip(NEXT) | instid1(VALU_DEP_4)
	v_and_b32_e32 v26, 0x1000, v26
	v_and_b32_e32 v27, 0x100000, v27
	s_delay_alu instid0(VALU_DEP_4) | instskip(NEXT) | instid1(VALU_DEP_1)
	v_and_b32_e32 v21, 0x10000000, v21
	v_or3_b32 v21, v21, v25, v27
	v_ashrrev_i32_e32 v25, v81, v23
	s_delay_alu instid0(VALU_DEP_2)
	v_or3_b32 v21, v21, v24, v26
	global_load_b32 v24, v[17:18], off offset:14
	v_lshlrev_b32_e32 v26, 4, v25
	v_lshlrev_b32_e32 v27, 11, v25
	;; [unrolled: 1-line block ×4, first 2 shown]
	v_dot4_i32_iu8 v21, v21, v31, 0 neg_lo:[1,1,0]
	v_and_b32_e32 v26, 16, v26
	v_and_b32_e32 v27, 0x1000, v27
	v_and_b32_e32 v28, 0x100000, v28
	v_and_b32_e32 v25, 0x10000000, v25
	v_cvt_f32_i32_e32 v21, v21
	s_delay_alu instid0(VALU_DEP_1) | instskip(NEXT) | instid1(VALU_DEP_1)
	v_fma_f32 v21, v0, v21, -v1
	v_fma_mix_f32 v21, v21, v22, 0 op_sel_hi:[0,1,0]
	s_waitcnt vmcnt(0)
	v_and_b32_e32 v24, 0xf0f0f0f, v24
	s_delay_alu instid0(VALU_DEP_1) | instskip(NEXT) | instid1(VALU_DEP_1)
	v_or3_b32 v24, v25, v24, v28
	v_or3_b32 v24, v24, v26, v27
	s_delay_alu instid0(VALU_DEP_1) | instskip(NEXT) | instid1(VALU_DEP_1)
	v_dot4_i32_iu8 v24, v24, v32, 0 neg_lo:[1,1,0]
	v_cvt_f32_i32_e32 v24, v24
	s_delay_alu instid0(VALU_DEP_1) | instskip(NEXT) | instid1(VALU_DEP_1)
	v_fma_f32 v24, v0, v24, -v1
	v_fma_mix_f32 v21, v24, v22, v21 op_sel_hi:[0,1,0]
	v_ashrrev_i32_e32 v24, v83, v23
	s_delay_alu instid0(VALU_DEP_1) | instskip(SKIP_3) | instid1(VALU_DEP_4)
	v_lshlrev_b32_e32 v25, 4, v24
	v_lshlrev_b32_e32 v26, 11, v24
	;; [unrolled: 1-line block ×4, first 2 shown]
	v_and_b32_e32 v25, 16, v25
	s_delay_alu instid0(VALU_DEP_4) | instskip(NEXT) | instid1(VALU_DEP_4)
	v_and_b32_e32 v26, 0x1000, v26
	v_and_b32_e32 v27, 0x100000, v27
	s_delay_alu instid0(VALU_DEP_4) | instskip(NEXT) | instid1(VALU_DEP_1)
	v_and_b32_e32 v24, 0x10000000, v24
	v_or3_b32 v20, v24, v20, v27
	s_delay_alu instid0(VALU_DEP_1) | instskip(NEXT) | instid1(VALU_DEP_1)
	v_or3_b32 v20, v20, v25, v26
	v_dot4_i32_iu8 v20, v20, v33, 0 neg_lo:[1,1,0]
	s_delay_alu instid0(VALU_DEP_1) | instskip(NEXT) | instid1(VALU_DEP_1)
	v_cvt_f32_i32_e32 v20, v20
	v_fma_f32 v20, v0, v20, -v1
	s_delay_alu instid0(VALU_DEP_1) | instskip(SKIP_4) | instid1(VALU_DEP_1)
	v_fma_mix_f32 v24, v20, v22, v21 op_sel_hi:[0,1,0]
	v_add_co_u32 v20, vcc_lo, v15, v84
	v_add_co_ci_u32_e32 v21, vcc_lo, 0, v16, vcc_lo
	global_load_b32 v20, v[20:21], off offset:6
	v_ashrrev_i32_e32 v21, v80, v23
	v_lshlrev_b32_e32 v23, 4, v21
	v_lshlrev_b32_e32 v25, 11, v21
	;; [unrolled: 1-line block ×4, first 2 shown]
	s_delay_alu instid0(VALU_DEP_4) | instskip(NEXT) | instid1(VALU_DEP_4)
	v_and_b32_e32 v23, 16, v23
	v_and_b32_e32 v25, 0x1000, v25
	s_delay_alu instid0(VALU_DEP_4) | instskip(NEXT) | instid1(VALU_DEP_4)
	v_and_b32_e32 v26, 0x100000, v26
	v_and_b32_e32 v21, 0x10000000, v21
	s_delay_alu instid0(VALU_DEP_1) | instskip(SKIP_2) | instid1(VALU_DEP_1)
	v_or3_b32 v21, v26, v21, v23
	s_waitcnt vmcnt(0)
	v_lshrrev_b32_e32 v20, 4, v20
	v_and_b32_e32 v20, 0xf0f0f0f, v20
	s_delay_alu instid0(VALU_DEP_1) | instskip(NEXT) | instid1(VALU_DEP_1)
	v_or3_b32 v20, v21, v25, v20
	v_dot4_i32_iu8 v20, v20, v34, 0 neg_lo:[1,1,0]
	s_delay_alu instid0(VALU_DEP_1) | instskip(NEXT) | instid1(VALU_DEP_1)
	v_cvt_f32_i32_e32 v20, v20
	v_fma_f32 v20, v0, v20, -v1
	s_delay_alu instid0(VALU_DEP_1)
	v_fma_mix_f32 v20, v20, v22, v24 op_sel_hi:[0,1,0]
	s_clause 0x2
	global_load_b32 v21, v[17:18], off offset:28
	global_load_b32 v22, v[15:16], off offset:22
	global_load_u16 v23, v[15:16], off offset:26
	s_waitcnt vmcnt(2)
	v_and_b32_e32 v26, 0xf0f0f0f, v21
	v_lshrrev_b32_e32 v21, 4, v21
	s_waitcnt vmcnt(0)
	v_perm_b32 v23, v22, v23, 0x1000706
	s_delay_alu instid0(VALU_DEP_2) | instskip(NEXT) | instid1(VALU_DEP_2)
	v_and_b32_e32 v21, 0xf0f0f0f, v21
	v_ashrrev_i32_e32 v24, v70, v23
	s_delay_alu instid0(VALU_DEP_1) | instskip(SKIP_3) | instid1(VALU_DEP_4)
	v_lshlrev_b32_e32 v25, 4, v24
	v_lshlrev_b32_e32 v27, 11, v24
	;; [unrolled: 1-line block ×4, first 2 shown]
	v_and_b32_e32 v25, 16, v25
	s_delay_alu instid0(VALU_DEP_4) | instskip(NEXT) | instid1(VALU_DEP_4)
	v_and_b32_e32 v27, 0x1000, v27
	v_and_b32_e32 v28, 0x100000, v28
	s_delay_alu instid0(VALU_DEP_4) | instskip(NEXT) | instid1(VALU_DEP_1)
	v_and_b32_e32 v24, 0x10000000, v24
	v_or3_b32 v24, v24, v26, v28
	s_delay_alu instid0(VALU_DEP_1) | instskip(SKIP_1) | instid1(VALU_DEP_2)
	v_or3_b32 v24, v24, v25, v27
	v_ashrrev_i32_e32 v25, v81, v23
	v_dot4_i32_iu8 v24, v24, v35, 0 neg_lo:[1,1,0]
	s_delay_alu instid0(VALU_DEP_2)
	v_lshlrev_b32_e32 v26, 4, v25
	v_lshlrev_b32_e32 v27, 11, v25
	;; [unrolled: 1-line block ×4, first 2 shown]
	v_cvt_f32_i32_e32 v24, v24
	v_and_b32_e32 v26, 16, v26
	v_and_b32_e32 v27, 0x1000, v27
	;; [unrolled: 1-line block ×4, first 2 shown]
	v_fma_f32 v24, v2, v24, -v3
	s_delay_alu instid0(VALU_DEP_1) | instskip(SKIP_3) | instid1(VALU_DEP_1)
	v_fma_mix_f32 v20, v24, v22, v20 op_sel_hi:[0,1,0]
	global_load_b32 v24, v[17:18], off offset:36
	s_waitcnt vmcnt(0)
	v_and_b32_e32 v24, 0xf0f0f0f, v24
	v_or3_b32 v24, v25, v24, v28
	s_delay_alu instid0(VALU_DEP_1) | instskip(NEXT) | instid1(VALU_DEP_1)
	v_or3_b32 v24, v24, v26, v27
	v_dot4_i32_iu8 v24, v24, v36, 0 neg_lo:[1,1,0]
	s_delay_alu instid0(VALU_DEP_1) | instskip(NEXT) | instid1(VALU_DEP_1)
	v_cvt_f32_i32_e32 v24, v24
	v_fma_f32 v24, v2, v24, -v3
	s_delay_alu instid0(VALU_DEP_1) | instskip(SKIP_1) | instid1(VALU_DEP_1)
	v_fma_mix_f32 v20, v24, v22, v20 op_sel_hi:[0,1,0]
	v_ashrrev_i32_e32 v24, v83, v23
	v_lshlrev_b32_e32 v25, 4, v24
	v_lshlrev_b32_e32 v26, 11, v24
	;; [unrolled: 1-line block ×4, first 2 shown]
	s_delay_alu instid0(VALU_DEP_4) | instskip(NEXT) | instid1(VALU_DEP_4)
	v_and_b32_e32 v25, 16, v25
	v_and_b32_e32 v26, 0x1000, v26
	s_delay_alu instid0(VALU_DEP_4) | instskip(NEXT) | instid1(VALU_DEP_4)
	v_and_b32_e32 v27, 0x100000, v27
	v_and_b32_e32 v24, 0x10000000, v24
	s_delay_alu instid0(VALU_DEP_1) | instskip(NEXT) | instid1(VALU_DEP_1)
	v_or3_b32 v21, v24, v21, v27
	v_or3_b32 v21, v21, v25, v26
	s_delay_alu instid0(VALU_DEP_1) | instskip(NEXT) | instid1(VALU_DEP_1)
	v_dot4_i32_iu8 v21, v21, v37, 0 neg_lo:[1,1,0]
	v_cvt_f32_i32_e32 v21, v21
	s_delay_alu instid0(VALU_DEP_1) | instskip(NEXT) | instid1(VALU_DEP_1)
	v_fma_f32 v21, v2, v21, -v3
	v_fma_mix_f32 v24, v21, v22, v20 op_sel_hi:[0,1,0]
	v_add_co_u32 v20, vcc_lo, v15, v85
	v_add_co_ci_u32_e32 v21, vcc_lo, 0, v16, vcc_lo
	global_load_b32 v20, v[20:21], off offset:28
	v_ashrrev_i32_e32 v21, v87, v23
	s_delay_alu instid0(VALU_DEP_1) | instskip(SKIP_3) | instid1(VALU_DEP_4)
	v_lshlrev_b32_e32 v23, 4, v21
	v_lshlrev_b32_e32 v25, 11, v21
	;; [unrolled: 1-line block ×4, first 2 shown]
	v_and_b32_e32 v23, 16, v23
	s_delay_alu instid0(VALU_DEP_4) | instskip(NEXT) | instid1(VALU_DEP_4)
	v_and_b32_e32 v25, 0x1000, v25
	v_and_b32_e32 v26, 0x100000, v26
	s_delay_alu instid0(VALU_DEP_4) | instskip(NEXT) | instid1(VALU_DEP_1)
	v_and_b32_e32 v21, 0x10000000, v21
	v_or3_b32 v21, v26, v21, v23
	s_waitcnt vmcnt(0)
	v_lshrrev_b32_e32 v20, 4, v20
	s_delay_alu instid0(VALU_DEP_1) | instskip(NEXT) | instid1(VALU_DEP_1)
	v_and_b32_e32 v20, 0xf0f0f0f, v20
	v_or3_b32 v20, v21, v25, v20
	s_delay_alu instid0(VALU_DEP_1) | instskip(NEXT) | instid1(VALU_DEP_1)
	v_dot4_i32_iu8 v20, v20, v38, 0 neg_lo:[1,1,0]
	v_cvt_f32_i32_e32 v20, v20
	s_delay_alu instid0(VALU_DEP_1) | instskip(NEXT) | instid1(VALU_DEP_1)
	v_fma_f32 v20, v2, v20, -v3
	v_fma_mix_f32 v20, v20, v22, v24 op_sel_hi:[0,1,0]
	s_clause 0x2
	global_load_b32 v21, v[17:18], off offset:50
	global_load_b32 v22, v[15:16], off offset:44
	global_load_u16 v23, v[15:16], off offset:48
	s_waitcnt vmcnt(2)
	v_and_b32_e32 v26, 0xf0f0f0f, v21
	v_lshrrev_b32_e32 v21, 4, v21
	s_waitcnt vmcnt(0)
	v_perm_b32 v23, v22, v23, 0x1000706
	s_delay_alu instid0(VALU_DEP_2) | instskip(NEXT) | instid1(VALU_DEP_2)
	v_and_b32_e32 v21, 0xf0f0f0f, v21
	v_ashrrev_i32_e32 v24, v70, v23
	s_delay_alu instid0(VALU_DEP_1) | instskip(SKIP_3) | instid1(VALU_DEP_4)
	v_lshlrev_b32_e32 v25, 4, v24
	v_lshlrev_b32_e32 v27, 11, v24
	;; [unrolled: 1-line block ×4, first 2 shown]
	v_and_b32_e32 v25, 16, v25
	s_delay_alu instid0(VALU_DEP_4) | instskip(NEXT) | instid1(VALU_DEP_4)
	v_and_b32_e32 v27, 0x1000, v27
	v_and_b32_e32 v28, 0x100000, v28
	s_delay_alu instid0(VALU_DEP_4) | instskip(NEXT) | instid1(VALU_DEP_1)
	v_and_b32_e32 v24, 0x10000000, v24
	v_or3_b32 v24, v24, v26, v28
	s_delay_alu instid0(VALU_DEP_1) | instskip(SKIP_1) | instid1(VALU_DEP_2)
	v_or3_b32 v24, v24, v25, v27
	v_ashrrev_i32_e32 v25, v81, v23
	v_dot4_i32_iu8 v24, v24, v39, 0 neg_lo:[1,1,0]
	s_delay_alu instid0(VALU_DEP_2)
	v_lshlrev_b32_e32 v26, 4, v25
	v_lshlrev_b32_e32 v27, 11, v25
	;; [unrolled: 1-line block ×4, first 2 shown]
	v_cvt_f32_i32_e32 v24, v24
	v_and_b32_e32 v26, 16, v26
	v_and_b32_e32 v27, 0x1000, v27
	v_and_b32_e32 v28, 0x100000, v28
	v_and_b32_e32 v25, 0x10000000, v25
	v_fma_f32 v24, v4, v24, -v5
	s_delay_alu instid0(VALU_DEP_1) | instskip(SKIP_3) | instid1(VALU_DEP_1)
	v_fma_mix_f32 v20, v24, v22, v20 op_sel_hi:[0,1,0]
	global_load_b32 v24, v[17:18], off offset:58
	s_waitcnt vmcnt(0)
	v_and_b32_e32 v24, 0xf0f0f0f, v24
	v_or3_b32 v24, v25, v24, v28
	s_delay_alu instid0(VALU_DEP_1) | instskip(NEXT) | instid1(VALU_DEP_1)
	v_or3_b32 v24, v24, v26, v27
	v_dot4_i32_iu8 v24, v24, v40, 0 neg_lo:[1,1,0]
	s_delay_alu instid0(VALU_DEP_1) | instskip(NEXT) | instid1(VALU_DEP_1)
	v_cvt_f32_i32_e32 v24, v24
	v_fma_f32 v24, v4, v24, -v5
	s_delay_alu instid0(VALU_DEP_1) | instskip(SKIP_1) | instid1(VALU_DEP_1)
	v_fma_mix_f32 v20, v24, v22, v20 op_sel_hi:[0,1,0]
	v_ashrrev_i32_e32 v24, v83, v23
	v_lshlrev_b32_e32 v25, 4, v24
	v_lshlrev_b32_e32 v26, 11, v24
	;; [unrolled: 1-line block ×4, first 2 shown]
	s_delay_alu instid0(VALU_DEP_4) | instskip(NEXT) | instid1(VALU_DEP_4)
	v_and_b32_e32 v25, 16, v25
	v_and_b32_e32 v26, 0x1000, v26
	s_delay_alu instid0(VALU_DEP_4) | instskip(NEXT) | instid1(VALU_DEP_4)
	v_and_b32_e32 v27, 0x100000, v27
	v_and_b32_e32 v24, 0x10000000, v24
	s_delay_alu instid0(VALU_DEP_1) | instskip(NEXT) | instid1(VALU_DEP_1)
	v_or3_b32 v21, v24, v21, v27
	v_or3_b32 v21, v21, v25, v26
	s_delay_alu instid0(VALU_DEP_1) | instskip(NEXT) | instid1(VALU_DEP_1)
	v_dot4_i32_iu8 v21, v21, v41, 0 neg_lo:[1,1,0]
	v_cvt_f32_i32_e32 v21, v21
	s_delay_alu instid0(VALU_DEP_1) | instskip(NEXT) | instid1(VALU_DEP_1)
	v_fma_f32 v21, v4, v21, -v5
	v_fma_mix_f32 v24, v21, v22, v20 op_sel_hi:[0,1,0]
	v_add_co_u32 v20, vcc_lo, v15, v89
	v_add_co_ci_u32_e32 v21, vcc_lo, 0, v16, vcc_lo
	global_load_b32 v20, v[20:21], off offset:50
	v_ashrrev_i32_e32 v21, v90, v23
	s_delay_alu instid0(VALU_DEP_1) | instskip(SKIP_3) | instid1(VALU_DEP_4)
	v_lshlrev_b32_e32 v23, 4, v21
	v_lshlrev_b32_e32 v25, 11, v21
	;; [unrolled: 1-line block ×4, first 2 shown]
	v_and_b32_e32 v23, 16, v23
	s_delay_alu instid0(VALU_DEP_4) | instskip(NEXT) | instid1(VALU_DEP_4)
	v_and_b32_e32 v25, 0x1000, v25
	v_and_b32_e32 v26, 0x100000, v26
	s_delay_alu instid0(VALU_DEP_4) | instskip(NEXT) | instid1(VALU_DEP_1)
	v_and_b32_e32 v21, 0x10000000, v21
	v_or3_b32 v21, v26, v21, v23
	s_waitcnt vmcnt(0)
	v_lshrrev_b32_e32 v20, 4, v20
	s_delay_alu instid0(VALU_DEP_1) | instskip(NEXT) | instid1(VALU_DEP_1)
	v_and_b32_e32 v20, 0xf0f0f0f, v20
	v_or3_b32 v20, v21, v25, v20
	s_delay_alu instid0(VALU_DEP_1) | instskip(NEXT) | instid1(VALU_DEP_1)
	v_dot4_i32_iu8 v20, v20, v42, 0 neg_lo:[1,1,0]
	v_cvt_f32_i32_e32 v20, v20
	s_delay_alu instid0(VALU_DEP_1) | instskip(NEXT) | instid1(VALU_DEP_1)
	v_fma_f32 v20, v4, v20, -v5
	v_fma_mix_f32 v20, v20, v22, v24 op_sel_hi:[0,1,0]
	s_clause 0x2
	global_load_b32 v21, v[17:18], off offset:72
	global_load_b32 v22, v[15:16], off offset:66
	global_load_u16 v23, v[15:16], off offset:70
	s_waitcnt vmcnt(2)
	v_and_b32_e32 v26, 0xf0f0f0f, v21
	v_lshrrev_b32_e32 v21, 4, v21
	s_waitcnt vmcnt(0)
	v_perm_b32 v23, v22, v23, 0x1000706
	s_delay_alu instid0(VALU_DEP_2) | instskip(NEXT) | instid1(VALU_DEP_2)
	v_and_b32_e32 v21, 0xf0f0f0f, v21
	v_ashrrev_i32_e32 v24, v70, v23
	s_delay_alu instid0(VALU_DEP_1) | instskip(SKIP_3) | instid1(VALU_DEP_4)
	v_lshlrev_b32_e32 v25, 4, v24
	v_lshlrev_b32_e32 v27, 11, v24
	;; [unrolled: 1-line block ×4, first 2 shown]
	v_and_b32_e32 v25, 16, v25
	s_delay_alu instid0(VALU_DEP_4) | instskip(NEXT) | instid1(VALU_DEP_4)
	v_and_b32_e32 v27, 0x1000, v27
	v_and_b32_e32 v28, 0x100000, v28
	s_delay_alu instid0(VALU_DEP_4) | instskip(NEXT) | instid1(VALU_DEP_1)
	v_and_b32_e32 v24, 0x10000000, v24
	v_or3_b32 v24, v24, v26, v28
	s_delay_alu instid0(VALU_DEP_1) | instskip(SKIP_1) | instid1(VALU_DEP_2)
	v_or3_b32 v24, v24, v25, v27
	v_ashrrev_i32_e32 v25, v81, v23
	v_dot4_i32_iu8 v24, v24, v43, 0 neg_lo:[1,1,0]
	s_delay_alu instid0(VALU_DEP_2)
	v_lshlrev_b32_e32 v26, 4, v25
	v_lshlrev_b32_e32 v27, 11, v25
	;; [unrolled: 1-line block ×4, first 2 shown]
	v_cvt_f32_i32_e32 v24, v24
	v_and_b32_e32 v26, 16, v26
	v_and_b32_e32 v27, 0x1000, v27
	v_and_b32_e32 v28, 0x100000, v28
	v_and_b32_e32 v25, 0x10000000, v25
	v_fma_f32 v24, v6, v24, -v7
	s_delay_alu instid0(VALU_DEP_1) | instskip(SKIP_3) | instid1(VALU_DEP_1)
	v_fma_mix_f32 v20, v24, v22, v20 op_sel_hi:[0,1,0]
	global_load_b32 v24, v[17:18], off offset:80
	s_waitcnt vmcnt(0)
	v_and_b32_e32 v24, 0xf0f0f0f, v24
	v_or3_b32 v24, v25, v24, v28
	s_delay_alu instid0(VALU_DEP_1) | instskip(NEXT) | instid1(VALU_DEP_1)
	v_or3_b32 v24, v24, v26, v27
	v_dot4_i32_iu8 v24, v24, v44, 0 neg_lo:[1,1,0]
	s_delay_alu instid0(VALU_DEP_1) | instskip(NEXT) | instid1(VALU_DEP_1)
	v_cvt_f32_i32_e32 v24, v24
	v_fma_f32 v24, v6, v24, -v7
	s_delay_alu instid0(VALU_DEP_1) | instskip(SKIP_1) | instid1(VALU_DEP_1)
	v_fma_mix_f32 v20, v24, v22, v20 op_sel_hi:[0,1,0]
	v_ashrrev_i32_e32 v24, v83, v23
	v_lshlrev_b32_e32 v25, 4, v24
	v_lshlrev_b32_e32 v26, 11, v24
	;; [unrolled: 1-line block ×4, first 2 shown]
	s_delay_alu instid0(VALU_DEP_4) | instskip(NEXT) | instid1(VALU_DEP_4)
	v_and_b32_e32 v25, 16, v25
	v_and_b32_e32 v26, 0x1000, v26
	s_delay_alu instid0(VALU_DEP_4) | instskip(NEXT) | instid1(VALU_DEP_4)
	v_and_b32_e32 v27, 0x100000, v27
	v_and_b32_e32 v24, 0x10000000, v24
	s_delay_alu instid0(VALU_DEP_1) | instskip(NEXT) | instid1(VALU_DEP_1)
	v_or3_b32 v21, v24, v21, v27
	v_or3_b32 v21, v21, v25, v26
	s_delay_alu instid0(VALU_DEP_1) | instskip(NEXT) | instid1(VALU_DEP_1)
	v_dot4_i32_iu8 v21, v21, v45, 0 neg_lo:[1,1,0]
	v_cvt_f32_i32_e32 v21, v21
	s_delay_alu instid0(VALU_DEP_1) | instskip(NEXT) | instid1(VALU_DEP_1)
	v_fma_f32 v21, v6, v21, -v7
	v_fma_mix_f32 v24, v21, v22, v20 op_sel_hi:[0,1,0]
	v_add_co_u32 v20, vcc_lo, v15, v91
	v_add_co_ci_u32_e32 v21, vcc_lo, 0, v16, vcc_lo
	global_load_b32 v20, v[20:21], off offset:72
	v_ashrrev_i32_e32 v21, v93, v23
	s_delay_alu instid0(VALU_DEP_1) | instskip(SKIP_3) | instid1(VALU_DEP_4)
	v_lshlrev_b32_e32 v23, 4, v21
	v_lshlrev_b32_e32 v25, 11, v21
	;; [unrolled: 1-line block ×4, first 2 shown]
	v_and_b32_e32 v23, 16, v23
	s_delay_alu instid0(VALU_DEP_4) | instskip(NEXT) | instid1(VALU_DEP_4)
	v_and_b32_e32 v25, 0x1000, v25
	v_and_b32_e32 v26, 0x100000, v26
	s_delay_alu instid0(VALU_DEP_4) | instskip(NEXT) | instid1(VALU_DEP_1)
	v_and_b32_e32 v21, 0x10000000, v21
	v_or3_b32 v21, v26, v21, v23
	s_waitcnt vmcnt(0)
	v_lshrrev_b32_e32 v20, 4, v20
	s_delay_alu instid0(VALU_DEP_1) | instskip(NEXT) | instid1(VALU_DEP_1)
	v_and_b32_e32 v20, 0xf0f0f0f, v20
	v_or3_b32 v20, v21, v25, v20
	s_delay_alu instid0(VALU_DEP_1) | instskip(NEXT) | instid1(VALU_DEP_1)
	v_dot4_i32_iu8 v20, v20, v46, 0 neg_lo:[1,1,0]
	v_cvt_f32_i32_e32 v20, v20
	s_delay_alu instid0(VALU_DEP_1) | instskip(NEXT) | instid1(VALU_DEP_1)
	v_fma_f32 v20, v6, v20, -v7
	v_fma_mix_f32 v20, v20, v22, v24 op_sel_hi:[0,1,0]
	s_clause 0x2
	global_load_b32 v21, v[17:18], off offset:94
	global_load_b32 v22, v[15:16], off offset:88
	global_load_u16 v23, v[15:16], off offset:92
	s_waitcnt vmcnt(2)
	v_and_b32_e32 v26, 0xf0f0f0f, v21
	v_lshrrev_b32_e32 v21, 4, v21
	s_waitcnt vmcnt(0)
	v_perm_b32 v23, v22, v23, 0x1000706
	s_delay_alu instid0(VALU_DEP_2) | instskip(NEXT) | instid1(VALU_DEP_2)
	v_and_b32_e32 v21, 0xf0f0f0f, v21
	v_ashrrev_i32_e32 v24, v70, v23
	s_delay_alu instid0(VALU_DEP_1) | instskip(SKIP_3) | instid1(VALU_DEP_4)
	v_lshlrev_b32_e32 v25, 4, v24
	v_lshlrev_b32_e32 v27, 11, v24
	;; [unrolled: 1-line block ×4, first 2 shown]
	v_and_b32_e32 v25, 16, v25
	s_delay_alu instid0(VALU_DEP_4) | instskip(NEXT) | instid1(VALU_DEP_4)
	v_and_b32_e32 v27, 0x1000, v27
	v_and_b32_e32 v28, 0x100000, v28
	s_delay_alu instid0(VALU_DEP_4) | instskip(NEXT) | instid1(VALU_DEP_1)
	v_and_b32_e32 v24, 0x10000000, v24
	v_or3_b32 v24, v24, v26, v28
	s_delay_alu instid0(VALU_DEP_1) | instskip(SKIP_1) | instid1(VALU_DEP_2)
	v_or3_b32 v24, v24, v25, v27
	v_ashrrev_i32_e32 v25, v81, v23
	v_dot4_i32_iu8 v24, v24, v47, 0 neg_lo:[1,1,0]
	s_delay_alu instid0(VALU_DEP_2)
	v_lshlrev_b32_e32 v26, 4, v25
	v_lshlrev_b32_e32 v27, 11, v25
	;; [unrolled: 1-line block ×4, first 2 shown]
	v_cvt_f32_i32_e32 v24, v24
	v_and_b32_e32 v26, 16, v26
	v_and_b32_e32 v27, 0x1000, v27
	;; [unrolled: 1-line block ×4, first 2 shown]
	v_fma_f32 v24, v8, v24, -v9
	s_delay_alu instid0(VALU_DEP_1) | instskip(SKIP_3) | instid1(VALU_DEP_1)
	v_fma_mix_f32 v20, v24, v22, v20 op_sel_hi:[0,1,0]
	global_load_b32 v24, v[17:18], off offset:102
	s_waitcnt vmcnt(0)
	v_and_b32_e32 v24, 0xf0f0f0f, v24
	v_or3_b32 v24, v25, v24, v28
	s_delay_alu instid0(VALU_DEP_1) | instskip(NEXT) | instid1(VALU_DEP_1)
	v_or3_b32 v24, v24, v26, v27
	v_dot4_i32_iu8 v24, v24, v48, 0 neg_lo:[1,1,0]
	s_delay_alu instid0(VALU_DEP_1) | instskip(NEXT) | instid1(VALU_DEP_1)
	v_cvt_f32_i32_e32 v24, v24
	v_fma_f32 v24, v8, v24, -v9
	s_delay_alu instid0(VALU_DEP_1) | instskip(SKIP_1) | instid1(VALU_DEP_1)
	v_fma_mix_f32 v20, v24, v22, v20 op_sel_hi:[0,1,0]
	v_ashrrev_i32_e32 v24, v83, v23
	v_lshlrev_b32_e32 v25, 4, v24
	v_lshlrev_b32_e32 v26, 11, v24
	;; [unrolled: 1-line block ×4, first 2 shown]
	s_delay_alu instid0(VALU_DEP_4) | instskip(NEXT) | instid1(VALU_DEP_4)
	v_and_b32_e32 v25, 16, v25
	v_and_b32_e32 v26, 0x1000, v26
	s_delay_alu instid0(VALU_DEP_4) | instskip(NEXT) | instid1(VALU_DEP_4)
	v_and_b32_e32 v27, 0x100000, v27
	v_and_b32_e32 v24, 0x10000000, v24
	s_delay_alu instid0(VALU_DEP_1) | instskip(NEXT) | instid1(VALU_DEP_1)
	v_or3_b32 v21, v24, v21, v27
	v_or3_b32 v21, v21, v25, v26
	s_delay_alu instid0(VALU_DEP_1) | instskip(NEXT) | instid1(VALU_DEP_1)
	v_dot4_i32_iu8 v21, v21, v49, 0 neg_lo:[1,1,0]
	v_cvt_f32_i32_e32 v21, v21
	s_delay_alu instid0(VALU_DEP_1) | instskip(NEXT) | instid1(VALU_DEP_1)
	v_fma_f32 v21, v8, v21, -v9
	v_fma_mix_f32 v24, v21, v22, v20 op_sel_hi:[0,1,0]
	v_add_co_u32 v20, vcc_lo, v15, v95
	v_add_co_ci_u32_e32 v21, vcc_lo, 0, v16, vcc_lo
	global_load_b32 v20, v[20:21], off offset:94
	v_ashrrev_i32_e32 v21, v96, v23
	s_delay_alu instid0(VALU_DEP_1) | instskip(SKIP_3) | instid1(VALU_DEP_4)
	v_lshlrev_b32_e32 v23, 4, v21
	v_lshlrev_b32_e32 v25, 11, v21
	;; [unrolled: 1-line block ×4, first 2 shown]
	v_and_b32_e32 v23, 16, v23
	s_delay_alu instid0(VALU_DEP_4) | instskip(NEXT) | instid1(VALU_DEP_4)
	v_and_b32_e32 v25, 0x1000, v25
	v_and_b32_e32 v26, 0x100000, v26
	s_delay_alu instid0(VALU_DEP_4) | instskip(NEXT) | instid1(VALU_DEP_1)
	v_and_b32_e32 v21, 0x10000000, v21
	v_or3_b32 v21, v26, v21, v23
	s_waitcnt vmcnt(0)
	v_lshrrev_b32_e32 v20, 4, v20
	s_delay_alu instid0(VALU_DEP_1) | instskip(NEXT) | instid1(VALU_DEP_1)
	v_and_b32_e32 v20, 0xf0f0f0f, v20
	v_or3_b32 v20, v21, v25, v20
	s_delay_alu instid0(VALU_DEP_1) | instskip(NEXT) | instid1(VALU_DEP_1)
	v_dot4_i32_iu8 v20, v20, v50, 0 neg_lo:[1,1,0]
	v_cvt_f32_i32_e32 v20, v20
	s_delay_alu instid0(VALU_DEP_1) | instskip(NEXT) | instid1(VALU_DEP_1)
	v_fma_f32 v20, v8, v20, -v9
	v_fma_mix_f32 v20, v20, v22, v24 op_sel_hi:[0,1,0]
	s_clause 0x2
	global_load_b32 v21, v[17:18], off offset:116
	global_load_b32 v22, v[15:16], off offset:110
	global_load_u16 v23, v[15:16], off offset:114
	s_waitcnt vmcnt(2)
	v_and_b32_e32 v26, 0xf0f0f0f, v21
	v_lshrrev_b32_e32 v21, 4, v21
	s_waitcnt vmcnt(0)
	v_perm_b32 v23, v22, v23, 0x1000706
	s_delay_alu instid0(VALU_DEP_2) | instskip(NEXT) | instid1(VALU_DEP_2)
	v_and_b32_e32 v21, 0xf0f0f0f, v21
	v_ashrrev_i32_e32 v24, v70, v23
	s_delay_alu instid0(VALU_DEP_1) | instskip(SKIP_3) | instid1(VALU_DEP_4)
	v_lshlrev_b32_e32 v25, 4, v24
	v_lshlrev_b32_e32 v27, 11, v24
	;; [unrolled: 1-line block ×4, first 2 shown]
	v_and_b32_e32 v25, 16, v25
	s_delay_alu instid0(VALU_DEP_4) | instskip(NEXT) | instid1(VALU_DEP_4)
	v_and_b32_e32 v27, 0x1000, v27
	v_and_b32_e32 v28, 0x100000, v28
	s_delay_alu instid0(VALU_DEP_4) | instskip(NEXT) | instid1(VALU_DEP_1)
	v_and_b32_e32 v24, 0x10000000, v24
	v_or3_b32 v24, v24, v26, v28
	s_delay_alu instid0(VALU_DEP_1) | instskip(SKIP_1) | instid1(VALU_DEP_2)
	v_or3_b32 v24, v24, v25, v27
	v_ashrrev_i32_e32 v25, v81, v23
	v_dot4_i32_iu8 v24, v24, v51, 0 neg_lo:[1,1,0]
	s_delay_alu instid0(VALU_DEP_2)
	v_lshlrev_b32_e32 v26, 4, v25
	v_lshlrev_b32_e32 v27, 11, v25
	;; [unrolled: 1-line block ×4, first 2 shown]
	v_cvt_f32_i32_e32 v24, v24
	v_and_b32_e32 v26, 16, v26
	v_and_b32_e32 v27, 0x1000, v27
	;; [unrolled: 1-line block ×4, first 2 shown]
	v_fma_f32 v24, v10, v24, -v11
	s_delay_alu instid0(VALU_DEP_1) | instskip(SKIP_3) | instid1(VALU_DEP_1)
	v_fma_mix_f32 v20, v24, v22, v20 op_sel_hi:[0,1,0]
	global_load_b32 v24, v[17:18], off offset:124
	s_waitcnt vmcnt(0)
	v_and_b32_e32 v24, 0xf0f0f0f, v24
	v_or3_b32 v24, v25, v24, v28
	s_delay_alu instid0(VALU_DEP_1) | instskip(NEXT) | instid1(VALU_DEP_1)
	v_or3_b32 v24, v24, v26, v27
	v_dot4_i32_iu8 v24, v24, v52, 0 neg_lo:[1,1,0]
	s_delay_alu instid0(VALU_DEP_1) | instskip(NEXT) | instid1(VALU_DEP_1)
	v_cvt_f32_i32_e32 v24, v24
	v_fma_f32 v24, v10, v24, -v11
	s_delay_alu instid0(VALU_DEP_1) | instskip(SKIP_1) | instid1(VALU_DEP_1)
	v_fma_mix_f32 v20, v24, v22, v20 op_sel_hi:[0,1,0]
	v_ashrrev_i32_e32 v24, v83, v23
	v_lshlrev_b32_e32 v25, 4, v24
	v_lshlrev_b32_e32 v26, 11, v24
	;; [unrolled: 1-line block ×4, first 2 shown]
	s_delay_alu instid0(VALU_DEP_4) | instskip(NEXT) | instid1(VALU_DEP_4)
	v_and_b32_e32 v25, 16, v25
	v_and_b32_e32 v26, 0x1000, v26
	s_delay_alu instid0(VALU_DEP_4) | instskip(NEXT) | instid1(VALU_DEP_4)
	v_and_b32_e32 v27, 0x100000, v27
	v_and_b32_e32 v24, 0x10000000, v24
	s_delay_alu instid0(VALU_DEP_1) | instskip(NEXT) | instid1(VALU_DEP_1)
	v_or3_b32 v21, v24, v21, v27
	v_or3_b32 v21, v21, v25, v26
	s_delay_alu instid0(VALU_DEP_1) | instskip(NEXT) | instid1(VALU_DEP_1)
	v_dot4_i32_iu8 v21, v21, v53, 0 neg_lo:[1,1,0]
	v_cvt_f32_i32_e32 v21, v21
	s_delay_alu instid0(VALU_DEP_1) | instskip(NEXT) | instid1(VALU_DEP_1)
	v_fma_f32 v21, v10, v21, -v11
	v_fma_mix_f32 v24, v21, v22, v20 op_sel_hi:[0,1,0]
	v_add_co_u32 v20, vcc_lo, v15, v97
	v_add_co_ci_u32_e32 v21, vcc_lo, 0, v16, vcc_lo
	global_load_b32 v20, v[20:21], off offset:116
	v_ashrrev_i32_e32 v21, v99, v23
	s_delay_alu instid0(VALU_DEP_1) | instskip(SKIP_3) | instid1(VALU_DEP_4)
	v_lshlrev_b32_e32 v23, 4, v21
	v_lshlrev_b32_e32 v25, 11, v21
	;; [unrolled: 1-line block ×4, first 2 shown]
	v_and_b32_e32 v23, 16, v23
	s_delay_alu instid0(VALU_DEP_4) | instskip(NEXT) | instid1(VALU_DEP_4)
	v_and_b32_e32 v25, 0x1000, v25
	v_and_b32_e32 v26, 0x100000, v26
	s_delay_alu instid0(VALU_DEP_4) | instskip(NEXT) | instid1(VALU_DEP_1)
	v_and_b32_e32 v21, 0x10000000, v21
	v_or3_b32 v21, v26, v21, v23
	s_waitcnt vmcnt(0)
	v_lshrrev_b32_e32 v20, 4, v20
	s_delay_alu instid0(VALU_DEP_1) | instskip(NEXT) | instid1(VALU_DEP_1)
	v_and_b32_e32 v20, 0xf0f0f0f, v20
	v_or3_b32 v20, v21, v25, v20
	s_delay_alu instid0(VALU_DEP_1) | instskip(NEXT) | instid1(VALU_DEP_1)
	v_dot4_i32_iu8 v20, v20, v54, 0 neg_lo:[1,1,0]
	v_cvt_f32_i32_e32 v20, v20
	s_delay_alu instid0(VALU_DEP_1) | instskip(NEXT) | instid1(VALU_DEP_1)
	v_fma_f32 v20, v10, v20, -v11
	v_fma_mix_f32 v20, v20, v22, v24 op_sel_hi:[0,1,0]
	s_clause 0x2
	global_load_b32 v21, v[17:18], off offset:138
	global_load_b32 v22, v[15:16], off offset:132
	global_load_u16 v23, v[15:16], off offset:136
	s_waitcnt vmcnt(2)
	v_and_b32_e32 v26, 0xf0f0f0f, v21
	v_lshrrev_b32_e32 v21, 4, v21
	s_waitcnt vmcnt(0)
	v_perm_b32 v23, v22, v23, 0x1000706
	s_delay_alu instid0(VALU_DEP_2) | instskip(NEXT) | instid1(VALU_DEP_2)
	v_and_b32_e32 v21, 0xf0f0f0f, v21
	v_ashrrev_i32_e32 v24, v70, v23
	s_delay_alu instid0(VALU_DEP_1) | instskip(SKIP_3) | instid1(VALU_DEP_4)
	v_lshlrev_b32_e32 v25, 4, v24
	v_lshlrev_b32_e32 v27, 11, v24
	;; [unrolled: 1-line block ×4, first 2 shown]
	v_and_b32_e32 v25, 16, v25
	s_delay_alu instid0(VALU_DEP_4) | instskip(NEXT) | instid1(VALU_DEP_4)
	v_and_b32_e32 v27, 0x1000, v27
	v_and_b32_e32 v28, 0x100000, v28
	s_delay_alu instid0(VALU_DEP_4) | instskip(NEXT) | instid1(VALU_DEP_1)
	v_and_b32_e32 v24, 0x10000000, v24
	v_or3_b32 v24, v24, v26, v28
	s_delay_alu instid0(VALU_DEP_1) | instskip(SKIP_1) | instid1(VALU_DEP_2)
	v_or3_b32 v24, v24, v25, v27
	v_ashrrev_i32_e32 v25, v81, v23
	v_dot4_i32_iu8 v24, v24, v55, 0 neg_lo:[1,1,0]
	s_delay_alu instid0(VALU_DEP_2)
	v_lshlrev_b32_e32 v26, 4, v25
	v_lshlrev_b32_e32 v27, 11, v25
	;; [unrolled: 1-line block ×4, first 2 shown]
	v_cvt_f32_i32_e32 v24, v24
	v_and_b32_e32 v26, 16, v26
	v_and_b32_e32 v27, 0x1000, v27
	;; [unrolled: 1-line block ×4, first 2 shown]
	v_fma_f32 v24, v12, v24, -v13
	s_delay_alu instid0(VALU_DEP_1) | instskip(SKIP_3) | instid1(VALU_DEP_1)
	v_fma_mix_f32 v20, v24, v22, v20 op_sel_hi:[0,1,0]
	global_load_b32 v24, v[17:18], off offset:146
	s_waitcnt vmcnt(0)
	v_and_b32_e32 v24, 0xf0f0f0f, v24
	v_or3_b32 v24, v25, v24, v28
	s_delay_alu instid0(VALU_DEP_1) | instskip(NEXT) | instid1(VALU_DEP_1)
	v_or3_b32 v24, v24, v26, v27
	v_dot4_i32_iu8 v24, v24, v56, 0 neg_lo:[1,1,0]
	s_delay_alu instid0(VALU_DEP_1) | instskip(NEXT) | instid1(VALU_DEP_1)
	v_cvt_f32_i32_e32 v24, v24
	v_fma_f32 v24, v12, v24, -v13
	s_delay_alu instid0(VALU_DEP_1) | instskip(SKIP_1) | instid1(VALU_DEP_1)
	v_fma_mix_f32 v20, v24, v22, v20 op_sel_hi:[0,1,0]
	v_ashrrev_i32_e32 v24, v83, v23
	v_lshlrev_b32_e32 v25, 4, v24
	v_lshlrev_b32_e32 v26, 11, v24
	;; [unrolled: 1-line block ×4, first 2 shown]
	s_delay_alu instid0(VALU_DEP_4) | instskip(NEXT) | instid1(VALU_DEP_4)
	v_and_b32_e32 v25, 16, v25
	v_and_b32_e32 v26, 0x1000, v26
	s_delay_alu instid0(VALU_DEP_4) | instskip(NEXT) | instid1(VALU_DEP_4)
	v_and_b32_e32 v27, 0x100000, v27
	v_and_b32_e32 v24, 0x10000000, v24
	s_delay_alu instid0(VALU_DEP_1) | instskip(NEXT) | instid1(VALU_DEP_1)
	v_or3_b32 v21, v24, v21, v27
	v_or3_b32 v21, v21, v25, v26
	s_delay_alu instid0(VALU_DEP_1) | instskip(NEXT) | instid1(VALU_DEP_1)
	v_dot4_i32_iu8 v21, v21, v57, 0 neg_lo:[1,1,0]
	v_cvt_f32_i32_e32 v21, v21
	s_delay_alu instid0(VALU_DEP_1) | instskip(NEXT) | instid1(VALU_DEP_1)
	v_fma_f32 v21, v12, v21, -v13
	v_fma_mix_f32 v24, v21, v22, v20 op_sel_hi:[0,1,0]
	v_add_co_u32 v20, vcc_lo, v15, v101
	v_add_co_ci_u32_e32 v21, vcc_lo, 0, v16, vcc_lo
	global_load_b32 v20, v[20:21], off offset:138
	v_ashrrev_i32_e32 v21, v102, v23
	s_delay_alu instid0(VALU_DEP_1) | instskip(SKIP_3) | instid1(VALU_DEP_4)
	v_lshlrev_b32_e32 v23, 4, v21
	v_lshlrev_b32_e32 v25, 11, v21
	;; [unrolled: 1-line block ×4, first 2 shown]
	v_and_b32_e32 v23, 16, v23
	s_delay_alu instid0(VALU_DEP_4) | instskip(NEXT) | instid1(VALU_DEP_4)
	v_and_b32_e32 v25, 0x1000, v25
	v_and_b32_e32 v26, 0x100000, v26
	s_delay_alu instid0(VALU_DEP_4) | instskip(NEXT) | instid1(VALU_DEP_1)
	v_and_b32_e32 v21, 0x10000000, v21
	v_or3_b32 v21, v26, v21, v23
	s_waitcnt vmcnt(0)
	v_lshrrev_b32_e32 v20, 4, v20
	s_delay_alu instid0(VALU_DEP_1) | instskip(NEXT) | instid1(VALU_DEP_1)
	v_and_b32_e32 v20, 0xf0f0f0f, v20
	v_or3_b32 v20, v21, v25, v20
	s_delay_alu instid0(VALU_DEP_1) | instskip(NEXT) | instid1(VALU_DEP_1)
	v_dot4_i32_iu8 v20, v20, v58, 0 neg_lo:[1,1,0]
	v_cvt_f32_i32_e32 v20, v20
	s_delay_alu instid0(VALU_DEP_1) | instskip(NEXT) | instid1(VALU_DEP_1)
	v_fma_f32 v20, v12, v20, -v13
	v_fma_mix_f32 v22, v20, v22, v24 op_sel_hi:[0,1,0]
	s_clause 0x3
	global_load_b32 v23, v[17:18], off offset:160
	global_load_b32 v20, v[15:16], off offset:154
	global_load_u16 v21, v[15:16], off offset:158
	global_load_b32 v17, v[17:18], off offset:168
	v_add_co_u32 v15, vcc_lo, v15, v106
	v_add_co_ci_u32_e32 v16, vcc_lo, 0, v16, vcc_lo
	global_load_b32 v15, v[15:16], off offset:160
	s_waitcnt vmcnt(4)
	v_and_b32_e32 v26, 0xf0f0f0f, v23
	s_waitcnt vmcnt(2)
	v_perm_b32 v21, v20, v21, 0x1000706
	s_waitcnt vmcnt(1)
	v_and_b32_e32 v17, 0xf0f0f0f, v17
	s_delay_alu instid0(VALU_DEP_2)
	v_ashrrev_i32_e32 v24, v70, v21
	v_ashrrev_i32_e32 v18, v81, v21
	;; [unrolled: 1-line block ×3, first 2 shown]
	s_waitcnt vmcnt(0)
	v_lshrrev_b32_e32 v15, 4, v15
	v_lshlrev_b32_e32 v25, 4, v24
	v_lshlrev_b32_e32 v27, 11, v24
	;; [unrolled: 1-line block ×4, first 2 shown]
	v_and_b32_e32 v15, 0xf0f0f0f, v15
	v_and_b32_e32 v25, 16, v25
	;; [unrolled: 1-line block ×5, first 2 shown]
	s_delay_alu instid0(VALU_DEP_1) | instskip(SKIP_1) | instid1(VALU_DEP_2)
	v_or3_b32 v24, v24, v26, v28
	v_lshlrev_b32_e32 v26, 18, v18
	v_or3_b32 v24, v24, v25, v27
	v_lshlrev_b32_e32 v25, 11, v18
	s_delay_alu instid0(VALU_DEP_3) | instskip(NEXT) | instid1(VALU_DEP_3)
	v_and_b32_e32 v26, 0x100000, v26
	v_dot4_i32_iu8 v24, v24, v59, 0 neg_lo:[1,1,0]
	s_delay_alu instid0(VALU_DEP_3) | instskip(NEXT) | instid1(VALU_DEP_2)
	v_and_b32_e32 v25, 0x1000, v25
	v_cvt_f32_i32_e32 v24, v24
	s_delay_alu instid0(VALU_DEP_1) | instskip(NEXT) | instid1(VALU_DEP_1)
	v_fma_f32 v24, v14, v24, -v104
	v_fma_mix_f32 v22, v24, v20, v22 op_sel_hi:[0,1,0]
	v_lshlrev_b32_e32 v24, 4, v18
	v_lshlrev_b32_e32 v18, 25, v18
	s_delay_alu instid0(VALU_DEP_2) | instskip(NEXT) | instid1(VALU_DEP_2)
	v_and_b32_e32 v24, 16, v24
	v_and_b32_e32 v18, 0x10000000, v18
	s_delay_alu instid0(VALU_DEP_1) | instskip(SKIP_1) | instid1(VALU_DEP_2)
	v_or3_b32 v17, v18, v17, v26
	v_lshrrev_b32_e32 v18, 4, v23
	v_or3_b32 v17, v17, v24, v25
	s_delay_alu instid0(VALU_DEP_2) | instskip(NEXT) | instid1(VALU_DEP_2)
	v_and_b32_e32 v18, 0xf0f0f0f, v18
	v_dot4_i32_iu8 v17, v17, v60, 0 neg_lo:[1,1,0]
	s_delay_alu instid0(VALU_DEP_1) | instskip(NEXT) | instid1(VALU_DEP_1)
	v_cvt_f32_i32_e32 v17, v17
	v_fma_f32 v17, v14, v17, -v104
	s_delay_alu instid0(VALU_DEP_1) | instskip(SKIP_2) | instid1(VALU_DEP_2)
	v_fma_mix_f32 v17, v17, v20, v22 op_sel_hi:[0,1,0]
	v_ashrrev_i32_e32 v22, v83, v21
	v_lshlrev_b32_e32 v21, 11, v16
	v_lshlrev_b32_e32 v23, 4, v22
	;; [unrolled: 1-line block ×5, first 2 shown]
	v_and_b32_e32 v21, 0x1000, v21
	v_and_b32_e32 v23, 16, v23
	;; [unrolled: 1-line block ×5, first 2 shown]
	s_delay_alu instid0(VALU_DEP_1) | instskip(SKIP_1) | instid1(VALU_DEP_2)
	v_or3_b32 v18, v22, v18, v25
	v_lshlrev_b32_e32 v22, 18, v16
	v_or3_b32 v18, v18, v23, v24
	s_delay_alu instid0(VALU_DEP_2) | instskip(NEXT) | instid1(VALU_DEP_2)
	v_and_b32_e32 v22, 0x100000, v22
	v_dot4_i32_iu8 v18, v18, v61, 0 neg_lo:[1,1,0]
	s_delay_alu instid0(VALU_DEP_1) | instskip(NEXT) | instid1(VALU_DEP_1)
	v_cvt_f32_i32_e32 v18, v18
	v_fma_f32 v18, v14, v18, -v104
	s_delay_alu instid0(VALU_DEP_1) | instskip(SKIP_2) | instid1(VALU_DEP_2)
	v_fma_mix_f32 v17, v18, v20, v17 op_sel_hi:[0,1,0]
	v_lshlrev_b32_e32 v18, 4, v16
	v_lshlrev_b32_e32 v16, 25, v16
	v_and_b32_e32 v18, 16, v18
	s_delay_alu instid0(VALU_DEP_2) | instskip(NEXT) | instid1(VALU_DEP_1)
	v_and_b32_e32 v16, 0x10000000, v16
	v_or3_b32 v16, v22, v16, v18
	s_delay_alu instid0(VALU_DEP_1) | instskip(NEXT) | instid1(VALU_DEP_1)
	v_or3_b32 v15, v16, v21, v15
	v_dot4_i32_iu8 v15, v15, v62, 0 neg_lo:[1,1,0]
	s_delay_alu instid0(VALU_DEP_1) | instskip(NEXT) | instid1(VALU_DEP_1)
	v_cvt_f32_i32_e32 v15, v15
	v_fma_f32 v15, v14, v15, -v104
	s_delay_alu instid0(VALU_DEP_1) | instskip(SKIP_3) | instid1(VALU_DEP_1)
	v_fma_mix_f32 v15, v15, v20, v17 op_sel_hi:[0,1,0]
	ds_bpermute_b32 v16, v110, v15
	s_waitcnt lgkmcnt(0)
	v_add_f32_e32 v15, v15, v16
                                        ; implicit-def: $vgpr16
	v_cmp_ngt_f32_e64 s20, 0x3f200000, |v15|
	s_delay_alu instid0(VALU_DEP_1) | instskip(NEXT) | instid1(SALU_CYCLE_1)
	s_and_saveexec_b32 s21, s20
	s_xor_b32 s20, exec_lo, s21
	s_cbranch_execz .LBB27_17
; %bb.16:                               ;   in Loop: Header=BB27_15 Depth=1
	v_add_f32_e64 v16, |v15|, |v15|
	s_delay_alu instid0(VALU_DEP_1) | instskip(SKIP_1) | instid1(VALU_DEP_2)
	v_mul_f32_e32 v17, 0x3fb8aa3b, v16
	v_cmp_ngt_f32_e32 vcc_lo, 0xc2ce8ed0, v16
	v_rndne_f32_e32 v18, v17
	v_fma_f32 v20, 0x3fb8aa3b, v16, -v17
	s_delay_alu instid0(VALU_DEP_1) | instskip(SKIP_1) | instid1(VALU_DEP_2)
	v_dual_sub_f32 v17, v17, v18 :: v_dual_fmac_f32 v20, 0x32a5705f, v16
	v_cvt_i32_f32_e32 v18, v18
	v_add_f32_e32 v17, v17, v20
	s_delay_alu instid0(VALU_DEP_1) | instskip(SKIP_2) | instid1(VALU_DEP_1)
	v_exp_f32_e32 v17, v17
	s_waitcnt_depctr 0xfff
	v_ldexp_f32 v17, v17, v18
	v_cndmask_b32_e32 v17, 0, v17, vcc_lo
	v_cmp_nlt_f32_e32 vcc_lo, 0x42b17218, v16
	s_delay_alu instid0(VALU_DEP_2) | instskip(NEXT) | instid1(VALU_DEP_1)
	v_cndmask_b32_e32 v16, 0x7f800000, v17, vcc_lo
	v_add_f32_e32 v16, 1.0, v16
	s_delay_alu instid0(VALU_DEP_1)
	v_rcp_f32_e32 v16, v16
	s_waitcnt_depctr 0xfff
	v_fma_f32 v16, v16, -2.0, 1.0
.LBB27_17:                              ;   in Loop: Header=BB27_15 Depth=1
	s_and_not1_saveexec_b32 s20, s20
; %bb.18:                               ;   in Loop: Header=BB27_15 Depth=1
	v_mul_f32_e32 v16, v15, v15
	s_delay_alu instid0(VALU_DEP_1) | instskip(NEXT) | instid1(VALU_DEP_1)
	v_fmaak_f32 v17, s19, v16, 0x3ca908c9
	v_fmaak_f32 v17, v16, v17, 0xbd5c1c4e
	s_delay_alu instid0(VALU_DEP_1) | instskip(NEXT) | instid1(VALU_DEP_1)
	v_fmaak_f32 v17, v16, v17, 0x3e088382
	v_fmaak_f32 v17, v16, v17, 0xbeaaaa99
	s_delay_alu instid0(VALU_DEP_1) | instskip(NEXT) | instid1(VALU_DEP_1)
	v_mul_f32_e64 v17, |v15|, v17
	v_fma_f32 v16, v16, v17, |v15|
; %bb.19:                               ;   in Loop: Header=BB27_15 Depth=1
	s_or_b32 exec_lo, exec_lo, s20
	s_delay_alu instid0(VALU_DEP_1) | instskip(SKIP_1) | instid1(VALU_DEP_1)
	v_bfi_b32 v15, 0x7fffffff, v16, v15
	s_and_not1_b32 vcc_lo, exec_lo, s18
	v_dual_mul_f32 v20, s41, v15 :: v_dual_lshlrev_b32 v21, 1, v78
	s_cbranch_vccnz .LBB27_21
; %bb.20:                               ;   in Loop: Header=BB27_15 Depth=1
	global_load_u16 v15, v21, s[4:5]
	s_waitcnt vmcnt(0)
	v_fma_mix_f32 v20, v66, v15, v20 op_sel_hi:[0,1,0]
.LBB27_21:                              ;   in Loop: Header=BB27_15 Depth=1
	v_add_co_u32 v15, vcc_lo, s15, v113
	v_add_co_ci_u32_e32 v16, vcc_lo, s17, v116, vcc_lo
	s_delay_alu instid0(VALU_DEP_2) | instskip(NEXT) | instid1(VALU_DEP_2)
	v_add_co_u32 v17, vcc_lo, v15, v70
	v_add_co_ci_u32_e32 v18, vcc_lo, 0, v16, vcc_lo
	s_clause 0x2
	global_load_b32 v22, v[17:18], off offset:6
	global_load_b32 v24, v[15:16], off
	global_load_u16 v23, v[15:16], off offset:4
	s_waitcnt vmcnt(2)
	v_and_b32_e32 v27, 0xf0f0f0f, v22
	v_lshrrev_b32_e32 v22, 4, v22
	s_waitcnt vmcnt(0)
	v_perm_b32 v25, v24, v23, 0x1000706
	s_delay_alu instid0(VALU_DEP_2) | instskip(NEXT) | instid1(VALU_DEP_2)
	v_and_b32_e32 v22, 0xf0f0f0f, v22
	v_ashrrev_i32_e32 v23, v70, v25
	s_delay_alu instid0(VALU_DEP_1) | instskip(SKIP_3) | instid1(VALU_DEP_4)
	v_lshlrev_b32_e32 v26, 4, v23
	v_lshlrev_b32_e32 v28, 11, v23
	v_lshlrev_b32_e32 v29, 18, v23
	v_lshlrev_b32_e32 v23, 25, v23
	v_and_b32_e32 v26, 16, v26
	s_delay_alu instid0(VALU_DEP_4) | instskip(NEXT) | instid1(VALU_DEP_4)
	v_and_b32_e32 v28, 0x1000, v28
	v_and_b32_e32 v29, 0x100000, v29
	s_delay_alu instid0(VALU_DEP_4) | instskip(NEXT) | instid1(VALU_DEP_1)
	v_and_b32_e32 v23, 0x10000000, v23
	v_or3_b32 v23, v23, v27, v29
	v_ashrrev_i32_e32 v27, v81, v25
	s_delay_alu instid0(VALU_DEP_2)
	v_or3_b32 v23, v23, v26, v28
	global_load_b32 v26, v[17:18], off offset:14
	v_lshlrev_b32_e32 v28, 4, v27
	v_lshlrev_b32_e32 v29, 11, v27
	;; [unrolled: 1-line block ×4, first 2 shown]
	v_dot4_i32_iu8 v23, v23, v31, 0 neg_lo:[1,1,0]
	v_and_b32_e32 v28, 16, v28
	v_and_b32_e32 v29, 0x1000, v29
	;; [unrolled: 1-line block ×4, first 2 shown]
	v_cvt_f32_i32_e32 v23, v23
	s_delay_alu instid0(VALU_DEP_1) | instskip(NEXT) | instid1(VALU_DEP_1)
	v_fma_f32 v23, v0, v23, -v1
	v_fma_mix_f32 v23, v23, v24, 0 op_sel_hi:[0,1,0]
	s_waitcnt vmcnt(0)
	v_and_b32_e32 v26, 0xf0f0f0f, v26
	s_delay_alu instid0(VALU_DEP_1) | instskip(NEXT) | instid1(VALU_DEP_1)
	v_or3_b32 v26, v27, v26, v30
	v_or3_b32 v26, v26, v28, v29
	s_delay_alu instid0(VALU_DEP_1) | instskip(NEXT) | instid1(VALU_DEP_1)
	v_dot4_i32_iu8 v26, v26, v32, 0 neg_lo:[1,1,0]
	v_cvt_f32_i32_e32 v26, v26
	s_delay_alu instid0(VALU_DEP_1) | instskip(NEXT) | instid1(VALU_DEP_1)
	v_fma_f32 v26, v0, v26, -v1
	v_fma_mix_f32 v23, v26, v24, v23 op_sel_hi:[0,1,0]
	v_ashrrev_i32_e32 v26, v83, v25
	s_delay_alu instid0(VALU_DEP_1) | instskip(SKIP_3) | instid1(VALU_DEP_4)
	v_lshlrev_b32_e32 v27, 4, v26
	v_lshlrev_b32_e32 v28, 11, v26
	;; [unrolled: 1-line block ×4, first 2 shown]
	v_and_b32_e32 v27, 16, v27
	s_delay_alu instid0(VALU_DEP_4) | instskip(NEXT) | instid1(VALU_DEP_4)
	v_and_b32_e32 v28, 0x1000, v28
	v_and_b32_e32 v29, 0x100000, v29
	s_delay_alu instid0(VALU_DEP_4) | instskip(NEXT) | instid1(VALU_DEP_1)
	v_and_b32_e32 v26, 0x10000000, v26
	v_or3_b32 v22, v26, v22, v29
	s_delay_alu instid0(VALU_DEP_1) | instskip(NEXT) | instid1(VALU_DEP_1)
	v_or3_b32 v22, v22, v27, v28
	v_dot4_i32_iu8 v22, v22, v33, 0 neg_lo:[1,1,0]
	s_delay_alu instid0(VALU_DEP_1) | instskip(NEXT) | instid1(VALU_DEP_1)
	v_cvt_f32_i32_e32 v22, v22
	v_fma_f32 v22, v0, v22, -v1
	s_delay_alu instid0(VALU_DEP_1) | instskip(SKIP_4) | instid1(VALU_DEP_1)
	v_fma_mix_f32 v26, v22, v24, v23 op_sel_hi:[0,1,0]
	v_add_co_u32 v22, vcc_lo, v15, v84
	v_add_co_ci_u32_e32 v23, vcc_lo, 0, v16, vcc_lo
	global_load_b32 v22, v[22:23], off offset:6
	v_ashrrev_i32_e32 v23, v80, v25
	v_lshlrev_b32_e32 v25, 4, v23
	v_lshlrev_b32_e32 v27, 11, v23
	;; [unrolled: 1-line block ×4, first 2 shown]
	s_delay_alu instid0(VALU_DEP_4) | instskip(NEXT) | instid1(VALU_DEP_4)
	v_and_b32_e32 v25, 16, v25
	v_and_b32_e32 v27, 0x1000, v27
	s_delay_alu instid0(VALU_DEP_4) | instskip(NEXT) | instid1(VALU_DEP_4)
	v_and_b32_e32 v28, 0x100000, v28
	v_and_b32_e32 v23, 0x10000000, v23
	s_delay_alu instid0(VALU_DEP_1) | instskip(SKIP_2) | instid1(VALU_DEP_1)
	v_or3_b32 v23, v28, v23, v25
	s_waitcnt vmcnt(0)
	v_lshrrev_b32_e32 v22, 4, v22
	v_and_b32_e32 v22, 0xf0f0f0f, v22
	s_delay_alu instid0(VALU_DEP_1) | instskip(NEXT) | instid1(VALU_DEP_1)
	v_or3_b32 v22, v23, v27, v22
	v_dot4_i32_iu8 v22, v22, v34, 0 neg_lo:[1,1,0]
	s_delay_alu instid0(VALU_DEP_1) | instskip(NEXT) | instid1(VALU_DEP_1)
	v_cvt_f32_i32_e32 v22, v22
	v_fma_f32 v22, v0, v22, -v1
	s_delay_alu instid0(VALU_DEP_1)
	v_fma_mix_f32 v22, v22, v24, v26 op_sel_hi:[0,1,0]
	s_clause 0x2
	global_load_b32 v23, v[17:18], off offset:28
	global_load_b32 v24, v[15:16], off offset:22
	global_load_u16 v25, v[15:16], off offset:26
	s_waitcnt vmcnt(2)
	v_and_b32_e32 v28, 0xf0f0f0f, v23
	v_lshrrev_b32_e32 v23, 4, v23
	s_waitcnt vmcnt(0)
	v_perm_b32 v25, v24, v25, 0x1000706
	s_delay_alu instid0(VALU_DEP_2) | instskip(NEXT) | instid1(VALU_DEP_2)
	v_and_b32_e32 v23, 0xf0f0f0f, v23
	v_ashrrev_i32_e32 v26, v70, v25
	s_delay_alu instid0(VALU_DEP_1) | instskip(SKIP_3) | instid1(VALU_DEP_4)
	v_lshlrev_b32_e32 v27, 4, v26
	v_lshlrev_b32_e32 v29, 11, v26
	;; [unrolled: 1-line block ×4, first 2 shown]
	v_and_b32_e32 v27, 16, v27
	s_delay_alu instid0(VALU_DEP_4) | instskip(NEXT) | instid1(VALU_DEP_4)
	v_and_b32_e32 v29, 0x1000, v29
	v_and_b32_e32 v30, 0x100000, v30
	s_delay_alu instid0(VALU_DEP_4) | instskip(NEXT) | instid1(VALU_DEP_1)
	v_and_b32_e32 v26, 0x10000000, v26
	v_or3_b32 v26, v26, v28, v30
	s_delay_alu instid0(VALU_DEP_1) | instskip(SKIP_1) | instid1(VALU_DEP_2)
	v_or3_b32 v26, v26, v27, v29
	v_ashrrev_i32_e32 v27, v81, v25
	v_dot4_i32_iu8 v26, v26, v35, 0 neg_lo:[1,1,0]
	s_delay_alu instid0(VALU_DEP_2)
	v_lshlrev_b32_e32 v28, 4, v27
	v_lshlrev_b32_e32 v29, 11, v27
	;; [unrolled: 1-line block ×4, first 2 shown]
	v_cvt_f32_i32_e32 v26, v26
	v_and_b32_e32 v28, 16, v28
	v_and_b32_e32 v29, 0x1000, v29
	;; [unrolled: 1-line block ×4, first 2 shown]
	v_fma_f32 v26, v2, v26, -v3
	s_delay_alu instid0(VALU_DEP_1) | instskip(SKIP_3) | instid1(VALU_DEP_1)
	v_fma_mix_f32 v22, v26, v24, v22 op_sel_hi:[0,1,0]
	global_load_b32 v26, v[17:18], off offset:36
	s_waitcnt vmcnt(0)
	v_and_b32_e32 v26, 0xf0f0f0f, v26
	v_or3_b32 v26, v27, v26, v30
	s_delay_alu instid0(VALU_DEP_1) | instskip(NEXT) | instid1(VALU_DEP_1)
	v_or3_b32 v26, v26, v28, v29
	v_dot4_i32_iu8 v26, v26, v36, 0 neg_lo:[1,1,0]
	s_delay_alu instid0(VALU_DEP_1) | instskip(NEXT) | instid1(VALU_DEP_1)
	v_cvt_f32_i32_e32 v26, v26
	v_fma_f32 v26, v2, v26, -v3
	s_delay_alu instid0(VALU_DEP_1) | instskip(SKIP_1) | instid1(VALU_DEP_1)
	v_fma_mix_f32 v22, v26, v24, v22 op_sel_hi:[0,1,0]
	v_ashrrev_i32_e32 v26, v83, v25
	v_lshlrev_b32_e32 v27, 4, v26
	v_lshlrev_b32_e32 v28, 11, v26
	;; [unrolled: 1-line block ×4, first 2 shown]
	s_delay_alu instid0(VALU_DEP_4) | instskip(NEXT) | instid1(VALU_DEP_4)
	v_and_b32_e32 v27, 16, v27
	v_and_b32_e32 v28, 0x1000, v28
	s_delay_alu instid0(VALU_DEP_4) | instskip(NEXT) | instid1(VALU_DEP_4)
	v_and_b32_e32 v29, 0x100000, v29
	v_and_b32_e32 v26, 0x10000000, v26
	s_delay_alu instid0(VALU_DEP_1) | instskip(NEXT) | instid1(VALU_DEP_1)
	v_or3_b32 v23, v26, v23, v29
	v_or3_b32 v23, v23, v27, v28
	s_delay_alu instid0(VALU_DEP_1) | instskip(NEXT) | instid1(VALU_DEP_1)
	v_dot4_i32_iu8 v23, v23, v37, 0 neg_lo:[1,1,0]
	v_cvt_f32_i32_e32 v23, v23
	s_delay_alu instid0(VALU_DEP_1) | instskip(NEXT) | instid1(VALU_DEP_1)
	v_fma_f32 v23, v2, v23, -v3
	v_fma_mix_f32 v26, v23, v24, v22 op_sel_hi:[0,1,0]
	v_add_co_u32 v22, vcc_lo, v15, v85
	v_add_co_ci_u32_e32 v23, vcc_lo, 0, v16, vcc_lo
	global_load_b32 v22, v[22:23], off offset:28
	v_ashrrev_i32_e32 v23, v87, v25
	s_delay_alu instid0(VALU_DEP_1) | instskip(SKIP_3) | instid1(VALU_DEP_4)
	v_lshlrev_b32_e32 v25, 4, v23
	v_lshlrev_b32_e32 v27, 11, v23
	;; [unrolled: 1-line block ×4, first 2 shown]
	v_and_b32_e32 v25, 16, v25
	s_delay_alu instid0(VALU_DEP_4) | instskip(NEXT) | instid1(VALU_DEP_4)
	v_and_b32_e32 v27, 0x1000, v27
	v_and_b32_e32 v28, 0x100000, v28
	s_delay_alu instid0(VALU_DEP_4) | instskip(NEXT) | instid1(VALU_DEP_1)
	v_and_b32_e32 v23, 0x10000000, v23
	v_or3_b32 v23, v28, v23, v25
	s_waitcnt vmcnt(0)
	v_lshrrev_b32_e32 v22, 4, v22
	s_delay_alu instid0(VALU_DEP_1) | instskip(NEXT) | instid1(VALU_DEP_1)
	v_and_b32_e32 v22, 0xf0f0f0f, v22
	v_or3_b32 v22, v23, v27, v22
	s_delay_alu instid0(VALU_DEP_1) | instskip(NEXT) | instid1(VALU_DEP_1)
	v_dot4_i32_iu8 v22, v22, v38, 0 neg_lo:[1,1,0]
	v_cvt_f32_i32_e32 v22, v22
	s_delay_alu instid0(VALU_DEP_1) | instskip(NEXT) | instid1(VALU_DEP_1)
	v_fma_f32 v22, v2, v22, -v3
	v_fma_mix_f32 v22, v22, v24, v26 op_sel_hi:[0,1,0]
	s_clause 0x2
	global_load_b32 v23, v[17:18], off offset:50
	global_load_b32 v24, v[15:16], off offset:44
	global_load_u16 v25, v[15:16], off offset:48
	s_waitcnt vmcnt(2)
	v_and_b32_e32 v28, 0xf0f0f0f, v23
	v_lshrrev_b32_e32 v23, 4, v23
	s_waitcnt vmcnt(0)
	v_perm_b32 v25, v24, v25, 0x1000706
	s_delay_alu instid0(VALU_DEP_2) | instskip(NEXT) | instid1(VALU_DEP_2)
	v_and_b32_e32 v23, 0xf0f0f0f, v23
	v_ashrrev_i32_e32 v26, v70, v25
	s_delay_alu instid0(VALU_DEP_1) | instskip(SKIP_3) | instid1(VALU_DEP_4)
	v_lshlrev_b32_e32 v27, 4, v26
	v_lshlrev_b32_e32 v29, 11, v26
	;; [unrolled: 1-line block ×4, first 2 shown]
	v_and_b32_e32 v27, 16, v27
	s_delay_alu instid0(VALU_DEP_4) | instskip(NEXT) | instid1(VALU_DEP_4)
	v_and_b32_e32 v29, 0x1000, v29
	v_and_b32_e32 v30, 0x100000, v30
	s_delay_alu instid0(VALU_DEP_4) | instskip(NEXT) | instid1(VALU_DEP_1)
	v_and_b32_e32 v26, 0x10000000, v26
	v_or3_b32 v26, v26, v28, v30
	s_delay_alu instid0(VALU_DEP_1) | instskip(SKIP_1) | instid1(VALU_DEP_2)
	v_or3_b32 v26, v26, v27, v29
	v_ashrrev_i32_e32 v27, v81, v25
	v_dot4_i32_iu8 v26, v26, v39, 0 neg_lo:[1,1,0]
	s_delay_alu instid0(VALU_DEP_2)
	v_lshlrev_b32_e32 v28, 4, v27
	v_lshlrev_b32_e32 v29, 11, v27
	v_lshlrev_b32_e32 v30, 18, v27
	v_lshlrev_b32_e32 v27, 25, v27
	v_cvt_f32_i32_e32 v26, v26
	v_and_b32_e32 v28, 16, v28
	v_and_b32_e32 v29, 0x1000, v29
	;; [unrolled: 1-line block ×4, first 2 shown]
	v_fma_f32 v26, v4, v26, -v5
	s_delay_alu instid0(VALU_DEP_1) | instskip(SKIP_3) | instid1(VALU_DEP_1)
	v_fma_mix_f32 v22, v26, v24, v22 op_sel_hi:[0,1,0]
	global_load_b32 v26, v[17:18], off offset:58
	s_waitcnt vmcnt(0)
	v_and_b32_e32 v26, 0xf0f0f0f, v26
	v_or3_b32 v26, v27, v26, v30
	s_delay_alu instid0(VALU_DEP_1) | instskip(NEXT) | instid1(VALU_DEP_1)
	v_or3_b32 v26, v26, v28, v29
	v_dot4_i32_iu8 v26, v26, v40, 0 neg_lo:[1,1,0]
	s_delay_alu instid0(VALU_DEP_1) | instskip(NEXT) | instid1(VALU_DEP_1)
	v_cvt_f32_i32_e32 v26, v26
	v_fma_f32 v26, v4, v26, -v5
	s_delay_alu instid0(VALU_DEP_1) | instskip(SKIP_1) | instid1(VALU_DEP_1)
	v_fma_mix_f32 v22, v26, v24, v22 op_sel_hi:[0,1,0]
	v_ashrrev_i32_e32 v26, v83, v25
	v_lshlrev_b32_e32 v27, 4, v26
	v_lshlrev_b32_e32 v28, 11, v26
	;; [unrolled: 1-line block ×4, first 2 shown]
	s_delay_alu instid0(VALU_DEP_4) | instskip(NEXT) | instid1(VALU_DEP_4)
	v_and_b32_e32 v27, 16, v27
	v_and_b32_e32 v28, 0x1000, v28
	s_delay_alu instid0(VALU_DEP_4) | instskip(NEXT) | instid1(VALU_DEP_4)
	v_and_b32_e32 v29, 0x100000, v29
	v_and_b32_e32 v26, 0x10000000, v26
	s_delay_alu instid0(VALU_DEP_1) | instskip(NEXT) | instid1(VALU_DEP_1)
	v_or3_b32 v23, v26, v23, v29
	v_or3_b32 v23, v23, v27, v28
	s_delay_alu instid0(VALU_DEP_1) | instskip(NEXT) | instid1(VALU_DEP_1)
	v_dot4_i32_iu8 v23, v23, v41, 0 neg_lo:[1,1,0]
	v_cvt_f32_i32_e32 v23, v23
	s_delay_alu instid0(VALU_DEP_1) | instskip(NEXT) | instid1(VALU_DEP_1)
	v_fma_f32 v23, v4, v23, -v5
	v_fma_mix_f32 v26, v23, v24, v22 op_sel_hi:[0,1,0]
	v_add_co_u32 v22, vcc_lo, v15, v89
	v_add_co_ci_u32_e32 v23, vcc_lo, 0, v16, vcc_lo
	global_load_b32 v22, v[22:23], off offset:50
	v_ashrrev_i32_e32 v23, v90, v25
	s_delay_alu instid0(VALU_DEP_1) | instskip(SKIP_3) | instid1(VALU_DEP_4)
	v_lshlrev_b32_e32 v25, 4, v23
	v_lshlrev_b32_e32 v27, 11, v23
	;; [unrolled: 1-line block ×4, first 2 shown]
	v_and_b32_e32 v25, 16, v25
	s_delay_alu instid0(VALU_DEP_4) | instskip(NEXT) | instid1(VALU_DEP_4)
	v_and_b32_e32 v27, 0x1000, v27
	v_and_b32_e32 v28, 0x100000, v28
	s_delay_alu instid0(VALU_DEP_4) | instskip(NEXT) | instid1(VALU_DEP_1)
	v_and_b32_e32 v23, 0x10000000, v23
	v_or3_b32 v23, v28, v23, v25
	s_waitcnt vmcnt(0)
	v_lshrrev_b32_e32 v22, 4, v22
	s_delay_alu instid0(VALU_DEP_1) | instskip(NEXT) | instid1(VALU_DEP_1)
	v_and_b32_e32 v22, 0xf0f0f0f, v22
	v_or3_b32 v22, v23, v27, v22
	s_delay_alu instid0(VALU_DEP_1) | instskip(NEXT) | instid1(VALU_DEP_1)
	v_dot4_i32_iu8 v22, v22, v42, 0 neg_lo:[1,1,0]
	v_cvt_f32_i32_e32 v22, v22
	s_delay_alu instid0(VALU_DEP_1) | instskip(NEXT) | instid1(VALU_DEP_1)
	v_fma_f32 v22, v4, v22, -v5
	v_fma_mix_f32 v22, v22, v24, v26 op_sel_hi:[0,1,0]
	s_clause 0x2
	global_load_b32 v23, v[17:18], off offset:72
	global_load_b32 v24, v[15:16], off offset:66
	global_load_u16 v25, v[15:16], off offset:70
	s_waitcnt vmcnt(2)
	v_and_b32_e32 v28, 0xf0f0f0f, v23
	v_lshrrev_b32_e32 v23, 4, v23
	s_waitcnt vmcnt(0)
	v_perm_b32 v25, v24, v25, 0x1000706
	s_delay_alu instid0(VALU_DEP_2) | instskip(NEXT) | instid1(VALU_DEP_2)
	v_and_b32_e32 v23, 0xf0f0f0f, v23
	v_ashrrev_i32_e32 v26, v70, v25
	s_delay_alu instid0(VALU_DEP_1) | instskip(SKIP_3) | instid1(VALU_DEP_4)
	v_lshlrev_b32_e32 v27, 4, v26
	v_lshlrev_b32_e32 v29, 11, v26
	;; [unrolled: 1-line block ×4, first 2 shown]
	v_and_b32_e32 v27, 16, v27
	s_delay_alu instid0(VALU_DEP_4) | instskip(NEXT) | instid1(VALU_DEP_4)
	v_and_b32_e32 v29, 0x1000, v29
	v_and_b32_e32 v30, 0x100000, v30
	s_delay_alu instid0(VALU_DEP_4) | instskip(NEXT) | instid1(VALU_DEP_1)
	v_and_b32_e32 v26, 0x10000000, v26
	v_or3_b32 v26, v26, v28, v30
	s_delay_alu instid0(VALU_DEP_1) | instskip(SKIP_1) | instid1(VALU_DEP_2)
	v_or3_b32 v26, v26, v27, v29
	v_ashrrev_i32_e32 v27, v81, v25
	v_dot4_i32_iu8 v26, v26, v43, 0 neg_lo:[1,1,0]
	s_delay_alu instid0(VALU_DEP_2)
	v_lshlrev_b32_e32 v28, 4, v27
	v_lshlrev_b32_e32 v29, 11, v27
	;; [unrolled: 1-line block ×4, first 2 shown]
	v_cvt_f32_i32_e32 v26, v26
	v_and_b32_e32 v28, 16, v28
	v_and_b32_e32 v29, 0x1000, v29
	;; [unrolled: 1-line block ×4, first 2 shown]
	v_fma_f32 v26, v6, v26, -v7
	s_delay_alu instid0(VALU_DEP_1) | instskip(SKIP_3) | instid1(VALU_DEP_1)
	v_fma_mix_f32 v22, v26, v24, v22 op_sel_hi:[0,1,0]
	global_load_b32 v26, v[17:18], off offset:80
	s_waitcnt vmcnt(0)
	v_and_b32_e32 v26, 0xf0f0f0f, v26
	v_or3_b32 v26, v27, v26, v30
	s_delay_alu instid0(VALU_DEP_1) | instskip(NEXT) | instid1(VALU_DEP_1)
	v_or3_b32 v26, v26, v28, v29
	v_dot4_i32_iu8 v26, v26, v44, 0 neg_lo:[1,1,0]
	s_delay_alu instid0(VALU_DEP_1) | instskip(NEXT) | instid1(VALU_DEP_1)
	v_cvt_f32_i32_e32 v26, v26
	v_fma_f32 v26, v6, v26, -v7
	s_delay_alu instid0(VALU_DEP_1) | instskip(SKIP_1) | instid1(VALU_DEP_1)
	v_fma_mix_f32 v22, v26, v24, v22 op_sel_hi:[0,1,0]
	v_ashrrev_i32_e32 v26, v83, v25
	v_lshlrev_b32_e32 v27, 4, v26
	v_lshlrev_b32_e32 v28, 11, v26
	;; [unrolled: 1-line block ×4, first 2 shown]
	s_delay_alu instid0(VALU_DEP_4) | instskip(NEXT) | instid1(VALU_DEP_4)
	v_and_b32_e32 v27, 16, v27
	v_and_b32_e32 v28, 0x1000, v28
	s_delay_alu instid0(VALU_DEP_4) | instskip(NEXT) | instid1(VALU_DEP_4)
	v_and_b32_e32 v29, 0x100000, v29
	v_and_b32_e32 v26, 0x10000000, v26
	s_delay_alu instid0(VALU_DEP_1) | instskip(NEXT) | instid1(VALU_DEP_1)
	v_or3_b32 v23, v26, v23, v29
	v_or3_b32 v23, v23, v27, v28
	s_delay_alu instid0(VALU_DEP_1) | instskip(NEXT) | instid1(VALU_DEP_1)
	v_dot4_i32_iu8 v23, v23, v45, 0 neg_lo:[1,1,0]
	v_cvt_f32_i32_e32 v23, v23
	s_delay_alu instid0(VALU_DEP_1) | instskip(NEXT) | instid1(VALU_DEP_1)
	v_fma_f32 v23, v6, v23, -v7
	v_fma_mix_f32 v26, v23, v24, v22 op_sel_hi:[0,1,0]
	v_add_co_u32 v22, vcc_lo, v15, v91
	v_add_co_ci_u32_e32 v23, vcc_lo, 0, v16, vcc_lo
	global_load_b32 v22, v[22:23], off offset:72
	v_ashrrev_i32_e32 v23, v93, v25
	s_delay_alu instid0(VALU_DEP_1) | instskip(SKIP_3) | instid1(VALU_DEP_4)
	v_lshlrev_b32_e32 v25, 4, v23
	v_lshlrev_b32_e32 v27, 11, v23
	;; [unrolled: 1-line block ×4, first 2 shown]
	v_and_b32_e32 v25, 16, v25
	s_delay_alu instid0(VALU_DEP_4) | instskip(NEXT) | instid1(VALU_DEP_4)
	v_and_b32_e32 v27, 0x1000, v27
	v_and_b32_e32 v28, 0x100000, v28
	s_delay_alu instid0(VALU_DEP_4) | instskip(NEXT) | instid1(VALU_DEP_1)
	v_and_b32_e32 v23, 0x10000000, v23
	v_or3_b32 v23, v28, v23, v25
	s_waitcnt vmcnt(0)
	v_lshrrev_b32_e32 v22, 4, v22
	s_delay_alu instid0(VALU_DEP_1) | instskip(NEXT) | instid1(VALU_DEP_1)
	v_and_b32_e32 v22, 0xf0f0f0f, v22
	v_or3_b32 v22, v23, v27, v22
	s_delay_alu instid0(VALU_DEP_1) | instskip(NEXT) | instid1(VALU_DEP_1)
	v_dot4_i32_iu8 v22, v22, v46, 0 neg_lo:[1,1,0]
	v_cvt_f32_i32_e32 v22, v22
	s_delay_alu instid0(VALU_DEP_1) | instskip(NEXT) | instid1(VALU_DEP_1)
	v_fma_f32 v22, v6, v22, -v7
	v_fma_mix_f32 v22, v22, v24, v26 op_sel_hi:[0,1,0]
	s_clause 0x2
	global_load_b32 v23, v[17:18], off offset:94
	global_load_b32 v24, v[15:16], off offset:88
	global_load_u16 v25, v[15:16], off offset:92
	s_waitcnt vmcnt(2)
	v_and_b32_e32 v28, 0xf0f0f0f, v23
	v_lshrrev_b32_e32 v23, 4, v23
	s_waitcnt vmcnt(0)
	v_perm_b32 v25, v24, v25, 0x1000706
	s_delay_alu instid0(VALU_DEP_2) | instskip(NEXT) | instid1(VALU_DEP_2)
	v_and_b32_e32 v23, 0xf0f0f0f, v23
	v_ashrrev_i32_e32 v26, v70, v25
	s_delay_alu instid0(VALU_DEP_1) | instskip(SKIP_3) | instid1(VALU_DEP_4)
	v_lshlrev_b32_e32 v27, 4, v26
	v_lshlrev_b32_e32 v29, 11, v26
	;; [unrolled: 1-line block ×4, first 2 shown]
	v_and_b32_e32 v27, 16, v27
	s_delay_alu instid0(VALU_DEP_4) | instskip(NEXT) | instid1(VALU_DEP_4)
	v_and_b32_e32 v29, 0x1000, v29
	v_and_b32_e32 v30, 0x100000, v30
	s_delay_alu instid0(VALU_DEP_4) | instskip(NEXT) | instid1(VALU_DEP_1)
	v_and_b32_e32 v26, 0x10000000, v26
	v_or3_b32 v26, v26, v28, v30
	s_delay_alu instid0(VALU_DEP_1) | instskip(SKIP_1) | instid1(VALU_DEP_2)
	v_or3_b32 v26, v26, v27, v29
	v_ashrrev_i32_e32 v27, v81, v25
	v_dot4_i32_iu8 v26, v26, v47, 0 neg_lo:[1,1,0]
	s_delay_alu instid0(VALU_DEP_2)
	v_lshlrev_b32_e32 v28, 4, v27
	v_lshlrev_b32_e32 v29, 11, v27
	;; [unrolled: 1-line block ×4, first 2 shown]
	v_cvt_f32_i32_e32 v26, v26
	v_and_b32_e32 v28, 16, v28
	v_and_b32_e32 v29, 0x1000, v29
	;; [unrolled: 1-line block ×4, first 2 shown]
	v_fma_f32 v26, v8, v26, -v9
	s_delay_alu instid0(VALU_DEP_1) | instskip(SKIP_3) | instid1(VALU_DEP_1)
	v_fma_mix_f32 v22, v26, v24, v22 op_sel_hi:[0,1,0]
	global_load_b32 v26, v[17:18], off offset:102
	s_waitcnt vmcnt(0)
	v_and_b32_e32 v26, 0xf0f0f0f, v26
	v_or3_b32 v26, v27, v26, v30
	s_delay_alu instid0(VALU_DEP_1) | instskip(NEXT) | instid1(VALU_DEP_1)
	v_or3_b32 v26, v26, v28, v29
	v_dot4_i32_iu8 v26, v26, v48, 0 neg_lo:[1,1,0]
	s_delay_alu instid0(VALU_DEP_1) | instskip(NEXT) | instid1(VALU_DEP_1)
	v_cvt_f32_i32_e32 v26, v26
	v_fma_f32 v26, v8, v26, -v9
	s_delay_alu instid0(VALU_DEP_1) | instskip(SKIP_1) | instid1(VALU_DEP_1)
	v_fma_mix_f32 v22, v26, v24, v22 op_sel_hi:[0,1,0]
	v_ashrrev_i32_e32 v26, v83, v25
	v_lshlrev_b32_e32 v27, 4, v26
	v_lshlrev_b32_e32 v28, 11, v26
	;; [unrolled: 1-line block ×4, first 2 shown]
	s_delay_alu instid0(VALU_DEP_4) | instskip(NEXT) | instid1(VALU_DEP_4)
	v_and_b32_e32 v27, 16, v27
	v_and_b32_e32 v28, 0x1000, v28
	s_delay_alu instid0(VALU_DEP_4) | instskip(NEXT) | instid1(VALU_DEP_4)
	v_and_b32_e32 v29, 0x100000, v29
	v_and_b32_e32 v26, 0x10000000, v26
	s_delay_alu instid0(VALU_DEP_1) | instskip(NEXT) | instid1(VALU_DEP_1)
	v_or3_b32 v23, v26, v23, v29
	v_or3_b32 v23, v23, v27, v28
	s_delay_alu instid0(VALU_DEP_1) | instskip(NEXT) | instid1(VALU_DEP_1)
	v_dot4_i32_iu8 v23, v23, v49, 0 neg_lo:[1,1,0]
	v_cvt_f32_i32_e32 v23, v23
	s_delay_alu instid0(VALU_DEP_1) | instskip(NEXT) | instid1(VALU_DEP_1)
	v_fma_f32 v23, v8, v23, -v9
	v_fma_mix_f32 v26, v23, v24, v22 op_sel_hi:[0,1,0]
	v_add_co_u32 v22, vcc_lo, v15, v95
	v_add_co_ci_u32_e32 v23, vcc_lo, 0, v16, vcc_lo
	global_load_b32 v22, v[22:23], off offset:94
	v_ashrrev_i32_e32 v23, v96, v25
	s_delay_alu instid0(VALU_DEP_1) | instskip(SKIP_3) | instid1(VALU_DEP_4)
	v_lshlrev_b32_e32 v25, 4, v23
	v_lshlrev_b32_e32 v27, 11, v23
	;; [unrolled: 1-line block ×4, first 2 shown]
	v_and_b32_e32 v25, 16, v25
	s_delay_alu instid0(VALU_DEP_4) | instskip(NEXT) | instid1(VALU_DEP_4)
	v_and_b32_e32 v27, 0x1000, v27
	v_and_b32_e32 v28, 0x100000, v28
	s_delay_alu instid0(VALU_DEP_4) | instskip(NEXT) | instid1(VALU_DEP_1)
	v_and_b32_e32 v23, 0x10000000, v23
	v_or3_b32 v23, v28, v23, v25
	s_waitcnt vmcnt(0)
	v_lshrrev_b32_e32 v22, 4, v22
	s_delay_alu instid0(VALU_DEP_1) | instskip(NEXT) | instid1(VALU_DEP_1)
	v_and_b32_e32 v22, 0xf0f0f0f, v22
	v_or3_b32 v22, v23, v27, v22
	s_delay_alu instid0(VALU_DEP_1) | instskip(NEXT) | instid1(VALU_DEP_1)
	v_dot4_i32_iu8 v22, v22, v50, 0 neg_lo:[1,1,0]
	v_cvt_f32_i32_e32 v22, v22
	s_delay_alu instid0(VALU_DEP_1) | instskip(NEXT) | instid1(VALU_DEP_1)
	v_fma_f32 v22, v8, v22, -v9
	v_fma_mix_f32 v22, v22, v24, v26 op_sel_hi:[0,1,0]
	s_clause 0x2
	global_load_b32 v23, v[17:18], off offset:116
	global_load_b32 v24, v[15:16], off offset:110
	global_load_u16 v25, v[15:16], off offset:114
	s_waitcnt vmcnt(2)
	v_and_b32_e32 v28, 0xf0f0f0f, v23
	v_lshrrev_b32_e32 v23, 4, v23
	s_waitcnt vmcnt(0)
	v_perm_b32 v25, v24, v25, 0x1000706
	s_delay_alu instid0(VALU_DEP_2) | instskip(NEXT) | instid1(VALU_DEP_2)
	v_and_b32_e32 v23, 0xf0f0f0f, v23
	v_ashrrev_i32_e32 v26, v70, v25
	s_delay_alu instid0(VALU_DEP_1) | instskip(SKIP_3) | instid1(VALU_DEP_4)
	v_lshlrev_b32_e32 v27, 4, v26
	v_lshlrev_b32_e32 v29, 11, v26
	;; [unrolled: 1-line block ×4, first 2 shown]
	v_and_b32_e32 v27, 16, v27
	s_delay_alu instid0(VALU_DEP_4) | instskip(NEXT) | instid1(VALU_DEP_4)
	v_and_b32_e32 v29, 0x1000, v29
	v_and_b32_e32 v30, 0x100000, v30
	s_delay_alu instid0(VALU_DEP_4) | instskip(NEXT) | instid1(VALU_DEP_1)
	v_and_b32_e32 v26, 0x10000000, v26
	v_or3_b32 v26, v26, v28, v30
	s_delay_alu instid0(VALU_DEP_1) | instskip(SKIP_1) | instid1(VALU_DEP_2)
	v_or3_b32 v26, v26, v27, v29
	v_ashrrev_i32_e32 v27, v81, v25
	v_dot4_i32_iu8 v26, v26, v51, 0 neg_lo:[1,1,0]
	s_delay_alu instid0(VALU_DEP_2)
	v_lshlrev_b32_e32 v28, 4, v27
	v_lshlrev_b32_e32 v29, 11, v27
	;; [unrolled: 1-line block ×4, first 2 shown]
	v_cvt_f32_i32_e32 v26, v26
	v_and_b32_e32 v28, 16, v28
	v_and_b32_e32 v29, 0x1000, v29
	;; [unrolled: 1-line block ×4, first 2 shown]
	v_fma_f32 v26, v10, v26, -v11
	s_delay_alu instid0(VALU_DEP_1) | instskip(SKIP_3) | instid1(VALU_DEP_1)
	v_fma_mix_f32 v22, v26, v24, v22 op_sel_hi:[0,1,0]
	global_load_b32 v26, v[17:18], off offset:124
	s_waitcnt vmcnt(0)
	v_and_b32_e32 v26, 0xf0f0f0f, v26
	v_or3_b32 v26, v27, v26, v30
	s_delay_alu instid0(VALU_DEP_1) | instskip(NEXT) | instid1(VALU_DEP_1)
	v_or3_b32 v26, v26, v28, v29
	v_dot4_i32_iu8 v26, v26, v52, 0 neg_lo:[1,1,0]
	s_delay_alu instid0(VALU_DEP_1) | instskip(NEXT) | instid1(VALU_DEP_1)
	v_cvt_f32_i32_e32 v26, v26
	v_fma_f32 v26, v10, v26, -v11
	s_delay_alu instid0(VALU_DEP_1) | instskip(SKIP_1) | instid1(VALU_DEP_1)
	v_fma_mix_f32 v22, v26, v24, v22 op_sel_hi:[0,1,0]
	v_ashrrev_i32_e32 v26, v83, v25
	v_lshlrev_b32_e32 v27, 4, v26
	v_lshlrev_b32_e32 v28, 11, v26
	;; [unrolled: 1-line block ×4, first 2 shown]
	s_delay_alu instid0(VALU_DEP_4) | instskip(NEXT) | instid1(VALU_DEP_4)
	v_and_b32_e32 v27, 16, v27
	v_and_b32_e32 v28, 0x1000, v28
	s_delay_alu instid0(VALU_DEP_4) | instskip(NEXT) | instid1(VALU_DEP_4)
	v_and_b32_e32 v29, 0x100000, v29
	v_and_b32_e32 v26, 0x10000000, v26
	s_delay_alu instid0(VALU_DEP_1) | instskip(NEXT) | instid1(VALU_DEP_1)
	v_or3_b32 v23, v26, v23, v29
	v_or3_b32 v23, v23, v27, v28
	s_delay_alu instid0(VALU_DEP_1) | instskip(NEXT) | instid1(VALU_DEP_1)
	v_dot4_i32_iu8 v23, v23, v53, 0 neg_lo:[1,1,0]
	v_cvt_f32_i32_e32 v23, v23
	s_delay_alu instid0(VALU_DEP_1) | instskip(NEXT) | instid1(VALU_DEP_1)
	v_fma_f32 v23, v10, v23, -v11
	v_fma_mix_f32 v26, v23, v24, v22 op_sel_hi:[0,1,0]
	v_add_co_u32 v22, vcc_lo, v15, v97
	v_add_co_ci_u32_e32 v23, vcc_lo, 0, v16, vcc_lo
	global_load_b32 v22, v[22:23], off offset:116
	v_ashrrev_i32_e32 v23, v99, v25
	s_delay_alu instid0(VALU_DEP_1) | instskip(SKIP_3) | instid1(VALU_DEP_4)
	v_lshlrev_b32_e32 v25, 4, v23
	v_lshlrev_b32_e32 v27, 11, v23
	v_lshlrev_b32_e32 v28, 18, v23
	v_lshlrev_b32_e32 v23, 25, v23
	v_and_b32_e32 v25, 16, v25
	s_delay_alu instid0(VALU_DEP_4) | instskip(NEXT) | instid1(VALU_DEP_4)
	v_and_b32_e32 v27, 0x1000, v27
	v_and_b32_e32 v28, 0x100000, v28
	s_delay_alu instid0(VALU_DEP_4) | instskip(NEXT) | instid1(VALU_DEP_1)
	v_and_b32_e32 v23, 0x10000000, v23
	v_or3_b32 v23, v28, v23, v25
	s_waitcnt vmcnt(0)
	v_lshrrev_b32_e32 v22, 4, v22
	s_delay_alu instid0(VALU_DEP_1) | instskip(NEXT) | instid1(VALU_DEP_1)
	v_and_b32_e32 v22, 0xf0f0f0f, v22
	v_or3_b32 v22, v23, v27, v22
	s_delay_alu instid0(VALU_DEP_1) | instskip(NEXT) | instid1(VALU_DEP_1)
	v_dot4_i32_iu8 v22, v22, v54, 0 neg_lo:[1,1,0]
	v_cvt_f32_i32_e32 v22, v22
	s_delay_alu instid0(VALU_DEP_1) | instskip(NEXT) | instid1(VALU_DEP_1)
	v_fma_f32 v22, v10, v22, -v11
	v_fma_mix_f32 v22, v22, v24, v26 op_sel_hi:[0,1,0]
	s_clause 0x2
	global_load_b32 v23, v[17:18], off offset:138
	global_load_b32 v24, v[15:16], off offset:132
	global_load_u16 v25, v[15:16], off offset:136
	s_waitcnt vmcnt(2)
	v_and_b32_e32 v28, 0xf0f0f0f, v23
	v_lshrrev_b32_e32 v23, 4, v23
	s_waitcnt vmcnt(0)
	v_perm_b32 v25, v24, v25, 0x1000706
	s_delay_alu instid0(VALU_DEP_2) | instskip(NEXT) | instid1(VALU_DEP_2)
	v_and_b32_e32 v23, 0xf0f0f0f, v23
	v_ashrrev_i32_e32 v26, v70, v25
	s_delay_alu instid0(VALU_DEP_1) | instskip(SKIP_3) | instid1(VALU_DEP_4)
	v_lshlrev_b32_e32 v27, 4, v26
	v_lshlrev_b32_e32 v29, 11, v26
	;; [unrolled: 1-line block ×4, first 2 shown]
	v_and_b32_e32 v27, 16, v27
	s_delay_alu instid0(VALU_DEP_4) | instskip(NEXT) | instid1(VALU_DEP_4)
	v_and_b32_e32 v29, 0x1000, v29
	v_and_b32_e32 v30, 0x100000, v30
	s_delay_alu instid0(VALU_DEP_4) | instskip(NEXT) | instid1(VALU_DEP_1)
	v_and_b32_e32 v26, 0x10000000, v26
	v_or3_b32 v26, v26, v28, v30
	s_delay_alu instid0(VALU_DEP_1) | instskip(SKIP_1) | instid1(VALU_DEP_2)
	v_or3_b32 v26, v26, v27, v29
	v_ashrrev_i32_e32 v27, v81, v25
	v_dot4_i32_iu8 v26, v26, v55, 0 neg_lo:[1,1,0]
	s_delay_alu instid0(VALU_DEP_2)
	v_lshlrev_b32_e32 v28, 4, v27
	v_lshlrev_b32_e32 v29, 11, v27
	;; [unrolled: 1-line block ×4, first 2 shown]
	v_cvt_f32_i32_e32 v26, v26
	v_and_b32_e32 v28, 16, v28
	v_and_b32_e32 v29, 0x1000, v29
	;; [unrolled: 1-line block ×4, first 2 shown]
	v_fma_f32 v26, v12, v26, -v13
	s_delay_alu instid0(VALU_DEP_1) | instskip(SKIP_3) | instid1(VALU_DEP_1)
	v_fma_mix_f32 v22, v26, v24, v22 op_sel_hi:[0,1,0]
	global_load_b32 v26, v[17:18], off offset:146
	s_waitcnt vmcnt(0)
	v_and_b32_e32 v26, 0xf0f0f0f, v26
	v_or3_b32 v26, v27, v26, v30
	s_delay_alu instid0(VALU_DEP_1) | instskip(NEXT) | instid1(VALU_DEP_1)
	v_or3_b32 v26, v26, v28, v29
	v_dot4_i32_iu8 v26, v26, v56, 0 neg_lo:[1,1,0]
	s_delay_alu instid0(VALU_DEP_1) | instskip(NEXT) | instid1(VALU_DEP_1)
	v_cvt_f32_i32_e32 v26, v26
	v_fma_f32 v26, v12, v26, -v13
	s_delay_alu instid0(VALU_DEP_1) | instskip(SKIP_1) | instid1(VALU_DEP_1)
	v_fma_mix_f32 v22, v26, v24, v22 op_sel_hi:[0,1,0]
	v_ashrrev_i32_e32 v26, v83, v25
	v_lshlrev_b32_e32 v27, 4, v26
	v_lshlrev_b32_e32 v28, 11, v26
	v_lshlrev_b32_e32 v29, 18, v26
	v_lshlrev_b32_e32 v26, 25, v26
	s_delay_alu instid0(VALU_DEP_4) | instskip(NEXT) | instid1(VALU_DEP_4)
	v_and_b32_e32 v27, 16, v27
	v_and_b32_e32 v28, 0x1000, v28
	s_delay_alu instid0(VALU_DEP_4) | instskip(NEXT) | instid1(VALU_DEP_4)
	v_and_b32_e32 v29, 0x100000, v29
	v_and_b32_e32 v26, 0x10000000, v26
	s_delay_alu instid0(VALU_DEP_1) | instskip(NEXT) | instid1(VALU_DEP_1)
	v_or3_b32 v23, v26, v23, v29
	v_or3_b32 v23, v23, v27, v28
	s_delay_alu instid0(VALU_DEP_1) | instskip(NEXT) | instid1(VALU_DEP_1)
	v_dot4_i32_iu8 v23, v23, v57, 0 neg_lo:[1,1,0]
	v_cvt_f32_i32_e32 v23, v23
	s_delay_alu instid0(VALU_DEP_1) | instskip(NEXT) | instid1(VALU_DEP_1)
	v_fma_f32 v23, v12, v23, -v13
	v_fma_mix_f32 v26, v23, v24, v22 op_sel_hi:[0,1,0]
	v_add_co_u32 v22, vcc_lo, v15, v101
	v_add_co_ci_u32_e32 v23, vcc_lo, 0, v16, vcc_lo
	global_load_b32 v22, v[22:23], off offset:138
	v_ashrrev_i32_e32 v23, v102, v25
	s_delay_alu instid0(VALU_DEP_1) | instskip(SKIP_3) | instid1(VALU_DEP_4)
	v_lshlrev_b32_e32 v25, 4, v23
	v_lshlrev_b32_e32 v27, 11, v23
	v_lshlrev_b32_e32 v28, 18, v23
	v_lshlrev_b32_e32 v23, 25, v23
	v_and_b32_e32 v25, 16, v25
	s_delay_alu instid0(VALU_DEP_4) | instskip(NEXT) | instid1(VALU_DEP_4)
	v_and_b32_e32 v27, 0x1000, v27
	v_and_b32_e32 v28, 0x100000, v28
	s_delay_alu instid0(VALU_DEP_4) | instskip(NEXT) | instid1(VALU_DEP_1)
	v_and_b32_e32 v23, 0x10000000, v23
	v_or3_b32 v23, v28, v23, v25
	s_waitcnt vmcnt(0)
	v_lshrrev_b32_e32 v22, 4, v22
	s_delay_alu instid0(VALU_DEP_1) | instskip(NEXT) | instid1(VALU_DEP_1)
	v_and_b32_e32 v22, 0xf0f0f0f, v22
	v_or3_b32 v22, v23, v27, v22
	s_delay_alu instid0(VALU_DEP_1) | instskip(NEXT) | instid1(VALU_DEP_1)
	v_dot4_i32_iu8 v22, v22, v58, 0 neg_lo:[1,1,0]
	v_cvt_f32_i32_e32 v22, v22
	s_delay_alu instid0(VALU_DEP_1) | instskip(NEXT) | instid1(VALU_DEP_1)
	v_fma_f32 v22, v12, v22, -v13
	v_fma_mix_f32 v24, v22, v24, v26 op_sel_hi:[0,1,0]
	s_clause 0x3
	global_load_b32 v25, v[17:18], off offset:160
	global_load_b32 v22, v[15:16], off offset:154
	global_load_u16 v23, v[15:16], off offset:158
	global_load_b32 v17, v[17:18], off offset:168
	v_add_co_u32 v15, vcc_lo, v15, v106
	v_add_co_ci_u32_e32 v16, vcc_lo, 0, v16, vcc_lo
	global_load_b32 v15, v[15:16], off offset:160
	s_waitcnt vmcnt(4)
	v_and_b32_e32 v28, 0xf0f0f0f, v25
	s_waitcnt vmcnt(2)
	v_perm_b32 v23, v22, v23, 0x1000706
	s_waitcnt vmcnt(1)
	v_and_b32_e32 v17, 0xf0f0f0f, v17
	s_delay_alu instid0(VALU_DEP_2)
	v_ashrrev_i32_e32 v26, v70, v23
	v_ashrrev_i32_e32 v18, v81, v23
	;; [unrolled: 1-line block ×3, first 2 shown]
	s_waitcnt vmcnt(0)
	v_lshrrev_b32_e32 v15, 4, v15
	v_lshlrev_b32_e32 v27, 4, v26
	v_lshlrev_b32_e32 v29, 11, v26
	;; [unrolled: 1-line block ×4, first 2 shown]
	v_and_b32_e32 v15, 0xf0f0f0f, v15
	v_and_b32_e32 v27, 16, v27
	;; [unrolled: 1-line block ×5, first 2 shown]
	s_delay_alu instid0(VALU_DEP_1) | instskip(SKIP_1) | instid1(VALU_DEP_2)
	v_or3_b32 v26, v26, v28, v30
	v_lshlrev_b32_e32 v28, 18, v18
	v_or3_b32 v26, v26, v27, v29
	v_lshlrev_b32_e32 v27, 11, v18
	s_delay_alu instid0(VALU_DEP_3) | instskip(NEXT) | instid1(VALU_DEP_3)
	v_and_b32_e32 v28, 0x100000, v28
	v_dot4_i32_iu8 v26, v26, v59, 0 neg_lo:[1,1,0]
	s_delay_alu instid0(VALU_DEP_3) | instskip(NEXT) | instid1(VALU_DEP_2)
	v_and_b32_e32 v27, 0x1000, v27
	v_cvt_f32_i32_e32 v26, v26
	s_delay_alu instid0(VALU_DEP_1) | instskip(NEXT) | instid1(VALU_DEP_1)
	v_fma_f32 v26, v14, v26, -v104
	v_fma_mix_f32 v24, v26, v22, v24 op_sel_hi:[0,1,0]
	v_lshlrev_b32_e32 v26, 4, v18
	v_lshlrev_b32_e32 v18, 25, v18
	s_delay_alu instid0(VALU_DEP_2) | instskip(NEXT) | instid1(VALU_DEP_2)
	v_and_b32_e32 v26, 16, v26
	v_and_b32_e32 v18, 0x10000000, v18
	s_delay_alu instid0(VALU_DEP_1) | instskip(SKIP_1) | instid1(VALU_DEP_2)
	v_or3_b32 v17, v18, v17, v28
	v_lshrrev_b32_e32 v18, 4, v25
	v_or3_b32 v17, v17, v26, v27
	s_delay_alu instid0(VALU_DEP_2) | instskip(NEXT) | instid1(VALU_DEP_2)
	v_and_b32_e32 v18, 0xf0f0f0f, v18
	v_dot4_i32_iu8 v17, v17, v60, 0 neg_lo:[1,1,0]
	s_delay_alu instid0(VALU_DEP_1) | instskip(NEXT) | instid1(VALU_DEP_1)
	v_cvt_f32_i32_e32 v17, v17
	v_fma_f32 v17, v14, v17, -v104
	s_delay_alu instid0(VALU_DEP_1) | instskip(SKIP_2) | instid1(VALU_DEP_2)
	v_fma_mix_f32 v17, v17, v22, v24 op_sel_hi:[0,1,0]
	v_ashrrev_i32_e32 v24, v83, v23
	v_lshlrev_b32_e32 v23, 11, v16
	v_lshlrev_b32_e32 v25, 4, v24
	;; [unrolled: 1-line block ×5, first 2 shown]
	v_and_b32_e32 v23, 0x1000, v23
	v_and_b32_e32 v25, 16, v25
	;; [unrolled: 1-line block ×5, first 2 shown]
	s_delay_alu instid0(VALU_DEP_1) | instskip(SKIP_1) | instid1(VALU_DEP_2)
	v_or3_b32 v18, v24, v18, v27
	v_lshlrev_b32_e32 v24, 18, v16
	v_or3_b32 v18, v18, v25, v26
	s_delay_alu instid0(VALU_DEP_2) | instskip(NEXT) | instid1(VALU_DEP_2)
	v_and_b32_e32 v24, 0x100000, v24
	v_dot4_i32_iu8 v18, v18, v61, 0 neg_lo:[1,1,0]
	s_delay_alu instid0(VALU_DEP_1) | instskip(NEXT) | instid1(VALU_DEP_1)
	v_cvt_f32_i32_e32 v18, v18
	v_fma_f32 v18, v14, v18, -v104
	s_delay_alu instid0(VALU_DEP_1) | instskip(SKIP_2) | instid1(VALU_DEP_2)
	v_fma_mix_f32 v17, v18, v22, v17 op_sel_hi:[0,1,0]
	v_lshlrev_b32_e32 v18, 4, v16
	v_lshlrev_b32_e32 v16, 25, v16
	v_and_b32_e32 v18, 16, v18
	s_delay_alu instid0(VALU_DEP_2) | instskip(NEXT) | instid1(VALU_DEP_1)
	v_and_b32_e32 v16, 0x10000000, v16
	v_or3_b32 v16, v24, v16, v18
	s_delay_alu instid0(VALU_DEP_1) | instskip(NEXT) | instid1(VALU_DEP_1)
	v_or3_b32 v15, v16, v23, v15
	v_dot4_i32_iu8 v15, v15, v62, 0 neg_lo:[1,1,0]
	s_delay_alu instid0(VALU_DEP_1) | instskip(NEXT) | instid1(VALU_DEP_1)
	v_cvt_f32_i32_e32 v15, v15
	v_fma_f32 v15, v14, v15, -v104
	s_delay_alu instid0(VALU_DEP_1) | instskip(SKIP_3) | instid1(VALU_DEP_1)
	v_fma_mix_f32 v15, v15, v22, v17 op_sel_hi:[0,1,0]
	ds_bpermute_b32 v16, v110, v15
	s_waitcnt lgkmcnt(0)
	v_add_f32_e32 v15, v15, v16
                                        ; implicit-def: $vgpr16
	v_cmp_ngt_f32_e64 s20, 0x3f200000, |v15|
	s_delay_alu instid0(VALU_DEP_1) | instskip(NEXT) | instid1(SALU_CYCLE_1)
	s_and_saveexec_b32 s21, s20
	s_xor_b32 s20, exec_lo, s21
	s_cbranch_execz .LBB27_23
; %bb.22:                               ;   in Loop: Header=BB27_15 Depth=1
	v_add_f32_e64 v16, |v15|, |v15|
	s_delay_alu instid0(VALU_DEP_1) | instskip(SKIP_1) | instid1(VALU_DEP_2)
	v_mul_f32_e32 v17, 0x3fb8aa3b, v16
	v_cmp_ngt_f32_e32 vcc_lo, 0xc2ce8ed0, v16
	v_rndne_f32_e32 v18, v17
	v_fma_f32 v22, 0x3fb8aa3b, v16, -v17
	s_delay_alu instid0(VALU_DEP_1) | instskip(SKIP_1) | instid1(VALU_DEP_2)
	v_dual_sub_f32 v17, v17, v18 :: v_dual_fmac_f32 v22, 0x32a5705f, v16
	v_cvt_i32_f32_e32 v18, v18
	v_add_f32_e32 v17, v17, v22
	s_delay_alu instid0(VALU_DEP_1) | instskip(SKIP_2) | instid1(VALU_DEP_1)
	v_exp_f32_e32 v17, v17
	s_waitcnt_depctr 0xfff
	v_ldexp_f32 v17, v17, v18
	v_cndmask_b32_e32 v17, 0, v17, vcc_lo
	v_cmp_nlt_f32_e32 vcc_lo, 0x42b17218, v16
	s_delay_alu instid0(VALU_DEP_2) | instskip(NEXT) | instid1(VALU_DEP_1)
	v_cndmask_b32_e32 v16, 0x7f800000, v17, vcc_lo
	v_add_f32_e32 v16, 1.0, v16
	s_delay_alu instid0(VALU_DEP_1)
	v_rcp_f32_e32 v16, v16
	s_waitcnt_depctr 0xfff
	v_fma_f32 v16, v16, -2.0, 1.0
.LBB27_23:                              ;   in Loop: Header=BB27_15 Depth=1
	s_and_not1_saveexec_b32 s20, s20
; %bb.24:                               ;   in Loop: Header=BB27_15 Depth=1
	v_mul_f32_e32 v16, v15, v15
	s_delay_alu instid0(VALU_DEP_1) | instskip(NEXT) | instid1(VALU_DEP_1)
	v_fmaak_f32 v17, s19, v16, 0x3ca908c9
	v_fmaak_f32 v17, v16, v17, 0xbd5c1c4e
	s_delay_alu instid0(VALU_DEP_1) | instskip(NEXT) | instid1(VALU_DEP_1)
	v_fmaak_f32 v17, v16, v17, 0x3e088382
	v_fmaak_f32 v17, v16, v17, 0xbeaaaa99
	s_delay_alu instid0(VALU_DEP_1) | instskip(NEXT) | instid1(VALU_DEP_1)
	v_mul_f32_e64 v17, |v15|, v17
	v_fma_f32 v16, v16, v17, |v15|
; %bb.25:                               ;   in Loop: Header=BB27_15 Depth=1
	s_or_b32 exec_lo, exec_lo, s20
	s_delay_alu instid0(VALU_DEP_1) | instskip(SKIP_1) | instid1(VALU_DEP_1)
	v_bfi_b32 v15, 0x7fffffff, v16, v15
	s_and_not1_b32 vcc_lo, exec_lo, s18
	v_mul_f32_e32 v15, s41, v15
	s_cbranch_vccnz .LBB27_27
; %bb.26:                               ;   in Loop: Header=BB27_15 Depth=1
	global_load_u16 v16, v21, s[4:5] offset:2
	s_waitcnt vmcnt(0)
	v_fma_mix_f32 v15, v66, v16, v15 op_sel_hi:[0,1,0]
.LBB27_27:                              ;   in Loop: Header=BB27_15 Depth=1
	s_delay_alu instid0(VALU_DEP_1)
	v_dual_add_f32 v16, 0x40051340, v20 :: v_dual_add_f32 v17, 0x40051340, v15
	v_cndmask_b32_e64 v15, v15, v20, s3
	v_mul_u32_u24_e32 v180, 20, v127
	v_mul_hi_u32_u24_e32 v178, 20, v127
	s_add_i32 s8, s10, s8
	v_max3_f32 v16, v19, v16, v17
	s_add_u32 s15, s15, s16
	s_addc_u32 s17, s17, 0
	ds_bpermute_b32 v17, v119, v16
	s_waitcnt lgkmcnt(0)
	v_max_f32_e32 v17, v17, v17
	s_delay_alu instid0(VALU_DEP_1) | instskip(SKIP_3) | instid1(VALU_DEP_1)
	v_max_f32_e32 v16, v16, v17
	ds_bpermute_b32 v17, v121, v16
	s_waitcnt lgkmcnt(0)
	v_max_f32_e32 v17, v17, v17
	v_max_f32_e32 v16, v16, v17
	ds_bpermute_b32 v17, v122, v16
	s_waitcnt lgkmcnt(0)
	v_max_f32_e32 v17, v17, v17
	s_delay_alu instid0(VALU_DEP_1) | instskip(SKIP_3) | instid1(VALU_DEP_1)
	v_max_f32_e32 v16, v16, v17
	ds_bpermute_b32 v17, v123, v16
	s_waitcnt lgkmcnt(0)
	v_max_f32_e32 v17, v17, v17
	v_max_f32_e32 v176, v16, v17
	s_delay_alu instid0(VALU_DEP_1) | instskip(NEXT) | instid1(VALU_DEP_1)
	v_sub_f32_e32 v16, v19, v176
	v_mul_f32_e32 v17, 0x3fb8aa3b, v16
	v_cmp_ngt_f32_e32 vcc_lo, 0xc2ce8ed0, v16
	v_sub_f32_e32 v15, v15, v176
	s_delay_alu instid0(VALU_DEP_3) | instskip(SKIP_1) | instid1(VALU_DEP_1)
	v_fma_f32 v18, 0x3fb8aa3b, v16, -v17
	v_rndne_f32_e32 v19, v17
	v_dual_fmac_f32 v18, 0x32a5705f, v16 :: v_dual_sub_f32 v17, v17, v19
	s_delay_alu instid0(VALU_DEP_1) | instskip(SKIP_1) | instid1(VALU_DEP_2)
	v_add_f32_e32 v17, v17, v18
	v_cvt_i32_f32_e32 v18, v19
	v_exp_f32_e32 v17, v17
	s_waitcnt_depctr 0xfff
	v_ldexp_f32 v17, v17, v18
	s_delay_alu instid0(VALU_DEP_1) | instskip(SKIP_2) | instid1(VALU_DEP_3)
	v_cndmask_b32_e32 v17, 0, v17, vcc_lo
	v_cmp_nlt_f32_e32 vcc_lo, 0x42b17218, v16
	v_mul_f32_e32 v16, 0x3fb8aa3b, v15
	v_cndmask_b32_e32 v177, 0x7f800000, v17, vcc_lo
	s_delay_alu instid0(VALU_DEP_2) | instskip(SKIP_2) | instid1(VALU_DEP_2)
	v_fma_f32 v17, 0x3fb8aa3b, v15, -v16
	v_rndne_f32_e32 v18, v16
	v_cmp_ngt_f32_e32 vcc_lo, 0xc2ce8ed0, v15
	v_dual_fmac_f32 v17, 0x32a5705f, v15 :: v_dual_sub_f32 v16, v16, v18
	s_delay_alu instid0(VALU_DEP_1) | instskip(SKIP_1) | instid1(VALU_DEP_2)
	v_add_f32_e32 v16, v16, v17
	v_cvt_i32_f32_e32 v17, v18
	v_exp_f32_e32 v16, v16
	s_waitcnt_depctr 0xfff
	v_ldexp_f32 v16, v16, v17
	s_delay_alu instid0(VALU_DEP_1) | instskip(SKIP_1) | instid1(VALU_DEP_2)
	v_cndmask_b32_e32 v16, 0, v16, vcc_lo
	v_cmp_nlt_f32_e32 vcc_lo, 0x42b17218, v15
	v_cndmask_b32_e32 v175, 0x7f800000, v16, vcc_lo
	v_add_co_u32 v186, vcc_lo, s7, v71
	v_add_co_ci_u32_e32 v187, vcc_lo, s9, v126, vcc_lo
	s_delay_alu instid0(VALU_DEP_3) | instskip(NEXT) | instid1(VALU_DEP_3)
	v_cvt_f16_f32_e64 v15, v175
	v_add_co_u32 v181, vcc_lo, v186, v180
	s_delay_alu instid0(VALU_DEP_3)
	v_add_co_ci_u32_e32 v182, vcc_lo, v187, v178, vcc_lo
	ds_store_b16 v68, v15
	v_add_co_u32 v183, vcc_lo, v181, v128
	v_add_co_ci_u32_e32 v184, vcc_lo, 0, v182, vcc_lo
	ds_load_b128 v[27:30], v124
	ds_load_b128 v[23:26], v124 offset:16
	ds_load_b128 v[19:22], v124 offset:32
	ds_load_b128 v[15:18], v124 offset:48
	s_clause 0x1
	global_load_b32 v181, v[181:182], off
	global_load_b32 v179, v[183:184], off offset:4
	s_waitcnt vmcnt(0)
	v_ashrrev_i32_e32 v179, v111, v179
	s_delay_alu instid0(VALU_DEP_1) | instskip(SKIP_3) | instid1(VALU_DEP_4)
	v_lshrrev_b32_e32 v184, 8, v179
	v_and_b32_e32 v183, 15, v179
	v_lshrrev_b32_e32 v188, 16, v179
	v_bfe_u32 v179, v179, 24, 4
	v_and_b32_e32 v184, 15, v184
	s_delay_alu instid0(VALU_DEP_4) | instskip(NEXT) | instid1(VALU_DEP_4)
	v_cvt_f16_u16_e64 v182, v183
	v_and_b32_e32 v188, 15, v188
	s_delay_alu instid0(VALU_DEP_4) | instskip(SKIP_2) | instid1(VALU_DEP_1)
	v_cvt_f16_u16_e64 v179, v179
	v_cvt_f16_f32_e64 v185, v177
	v_cvt_f16_u16_e64 v183, v184
	v_pack_b32_f16 v182, v182, v183
	v_cvt_f16_u16_e64 v183, v188
	s_delay_alu instid0(VALU_DEP_2) | instskip(NEXT) | instid1(VALU_DEP_2)
	v_pk_fma_f16 v182, v181, v182, v181 op_sel:[0,0,1] op_sel_hi:[0,1,1]
	v_pack_b32_f16 v179, v183, v179
	s_delay_alu instid0(VALU_DEP_1) | instskip(SKIP_1) | instid1(VALU_DEP_3)
	v_pk_fma_f16 v179, v181, v179, v181 op_sel:[0,0,1] op_sel_hi:[0,1,1]
	s_waitcnt lgkmcnt(3)
	v_pk_mul_f16 v181, v27, v182 op_sel_hi:[0,1]
	s_delay_alu instid0(VALU_DEP_1) | instskip(NEXT) | instid1(VALU_DEP_3)
	v_pk_fma_f16 v184, v185, v171, v181 op_sel_hi:[0,1,1]
	v_pk_mul_f16 v171, v27, v179 op_sel_hi:[0,1]
	v_mul_u32_u24_e32 v181, 20, v130
	v_mul_hi_u32_u24_e32 v179, 20, v130
	s_delay_alu instid0(VALU_DEP_3) | instskip(NEXT) | instid1(VALU_DEP_3)
	v_pk_fma_f16 v188, v185, v172, v171 op_sel_hi:[0,1,1]
	v_add_co_u32 v171, vcc_lo, v186, v181
	s_delay_alu instid0(VALU_DEP_3) | instskip(NEXT) | instid1(VALU_DEP_2)
	v_add_co_ci_u32_e32 v172, vcc_lo, v187, v179, vcc_lo
	v_add_co_u32 v182, vcc_lo, v171, v131
	s_delay_alu instid0(VALU_DEP_2)
	v_add_co_ci_u32_e32 v183, vcc_lo, 0, v172, vcc_lo
	s_clause 0x1
	global_load_b32 v171, v[171:172], off
	global_load_b32 v182, v[182:183], off offset:4
	s_waitcnt vmcnt(0)
	v_ashrrev_i32_e32 v182, v111, v182
	s_delay_alu instid0(VALU_DEP_1) | instskip(SKIP_3) | instid1(VALU_DEP_4)
	v_lshrrev_b32_e32 v186, 8, v182
	v_and_b32_e32 v183, 15, v182
	v_lshrrev_b32_e32 v187, 16, v182
	v_bfe_u32 v182, v182, 24, 4
	v_and_b32_e32 v186, 15, v186
	s_delay_alu instid0(VALU_DEP_4) | instskip(NEXT) | instid1(VALU_DEP_4)
	v_cvt_f16_u16_e64 v172, v183
	v_and_b32_e32 v187, 15, v187
	s_delay_alu instid0(VALU_DEP_4) | instskip(SKIP_2) | instid1(VALU_DEP_1)
	v_cvt_f16_u16_e64 v182, v182
	v_fmac_f32_e32 v175, v170, v177
	v_cvt_f16_u16_e64 v183, v186
	v_pack_b32_f16 v172, v172, v183
	v_cvt_f16_u16_e64 v183, v187
	s_delay_alu instid0(VALU_DEP_2) | instskip(NEXT) | instid1(VALU_DEP_2)
	v_pk_fma_f16 v172, v171, v172, v171 op_sel:[0,0,1] op_sel_hi:[0,1,1]
	v_pack_b32_f16 v182, v183, v182
	s_delay_alu instid0(VALU_DEP_2) | instskip(NEXT) | instid1(VALU_DEP_2)
	v_pk_mul_f16 v172, v27, v172 op_sel_hi:[0,1]
	v_pk_fma_f16 v171, v171, v182, v171 op_sel:[0,0,1] op_sel_hi:[0,1,1]
	s_delay_alu instid0(VALU_DEP_2) | instskip(NEXT) | instid1(VALU_DEP_2)
	v_pk_fma_f16 v182, v185, v174, v172 op_sel_hi:[0,1,1]
	v_pk_mul_f16 v171, v27, v171 op_sel_hi:[0,1]
	s_delay_alu instid0(VALU_DEP_1) | instskip(SKIP_2) | instid1(VALU_DEP_2)
	v_pk_fma_f16 v183, v185, v173, v171 op_sel_hi:[0,1,1]
	v_add_co_u32 v185, vcc_lo, s7, v72
	v_add_co_ci_u32_e32 v186, vcc_lo, s9, v132, vcc_lo
	v_add_co_u32 v171, vcc_lo, v185, v180
	s_delay_alu instid0(VALU_DEP_2) | instskip(NEXT) | instid1(VALU_DEP_2)
	v_add_co_ci_u32_e32 v172, vcc_lo, v186, v178, vcc_lo
	v_add_co_u32 v173, vcc_lo, v171, v128
	s_delay_alu instid0(VALU_DEP_2)
	v_add_co_ci_u32_e32 v174, vcc_lo, 0, v172, vcc_lo
	s_clause 0x1
	global_load_b32 v171, v[171:172], off
	global_load_b32 v173, v[173:174], off offset:4
	s_waitcnt vmcnt(0)
	v_ashrrev_i32_e32 v173, v111, v173
	s_delay_alu instid0(VALU_DEP_1) | instskip(SKIP_3) | instid1(VALU_DEP_4)
	v_lshrrev_b32_e32 v187, 8, v173
	v_and_b32_e32 v174, 15, v173
	v_lshrrev_b32_e32 v189, 16, v173
	v_bfe_u32 v173, v173, 24, 4
	v_and_b32_e32 v187, 15, v187
	s_delay_alu instid0(VALU_DEP_4) | instskip(NEXT) | instid1(VALU_DEP_4)
	v_cvt_f16_u16_e64 v172, v174
	v_and_b32_e32 v189, 15, v189
	s_delay_alu instid0(VALU_DEP_4) | instskip(NEXT) | instid1(VALU_DEP_4)
	v_cvt_f16_u16_e64 v173, v173
	v_cvt_f16_u16_e64 v174, v187
	s_delay_alu instid0(VALU_DEP_1) | instskip(NEXT) | instid1(VALU_DEP_4)
	v_pack_b32_f16 v172, v172, v174
	v_cvt_f16_u16_e64 v174, v189
	s_delay_alu instid0(VALU_DEP_2) | instskip(NEXT) | instid1(VALU_DEP_2)
	v_pk_fma_f16 v172, v171, v172, v171 op_sel:[0,0,1] op_sel_hi:[0,1,1]
	v_pack_b32_f16 v173, v174, v173
	s_delay_alu instid0(VALU_DEP_2) | instskip(NEXT) | instid1(VALU_DEP_2)
	v_pk_fma_f16 v184, v27, v172, v184 op_sel:[1,0,0]
	v_pk_fma_f16 v171, v171, v173, v171 op_sel:[0,0,1] op_sel_hi:[0,1,1]
	s_delay_alu instid0(VALU_DEP_1) | instskip(SKIP_2) | instid1(VALU_DEP_2)
	v_pk_fma_f16 v187, v27, v171, v188 op_sel:[1,0,0]
	v_add_co_u32 v171, vcc_lo, v185, v181
	v_add_co_ci_u32_e32 v172, vcc_lo, v186, v179, vcc_lo
	v_add_co_u32 v173, vcc_lo, v171, v131
	s_delay_alu instid0(VALU_DEP_2)
	v_add_co_ci_u32_e32 v174, vcc_lo, 0, v172, vcc_lo
	s_clause 0x1
	global_load_b32 v171, v[171:172], off
	global_load_b32 v173, v[173:174], off offset:4
	s_waitcnt vmcnt(0)
	v_ashrrev_i32_e32 v173, v111, v173
	s_delay_alu instid0(VALU_DEP_1) | instskip(SKIP_3) | instid1(VALU_DEP_4)
	v_lshrrev_b32_e32 v185, 8, v173
	v_and_b32_e32 v174, 15, v173
	v_lshrrev_b32_e32 v186, 16, v173
	v_bfe_u32 v173, v173, 24, 4
	v_and_b32_e32 v185, 15, v185
	s_delay_alu instid0(VALU_DEP_4) | instskip(NEXT) | instid1(VALU_DEP_4)
	v_cvt_f16_u16_e64 v172, v174
	v_and_b32_e32 v186, 15, v186
	s_delay_alu instid0(VALU_DEP_4) | instskip(NEXT) | instid1(VALU_DEP_4)
	v_cvt_f16_u16_e64 v173, v173
	v_cvt_f16_u16_e64 v174, v185
	s_delay_alu instid0(VALU_DEP_1) | instskip(NEXT) | instid1(VALU_DEP_4)
	v_pack_b32_f16 v172, v172, v174
	v_cvt_f16_u16_e64 v174, v186
	s_delay_alu instid0(VALU_DEP_2) | instskip(NEXT) | instid1(VALU_DEP_2)
	v_pk_fma_f16 v172, v171, v172, v171 op_sel:[0,0,1] op_sel_hi:[0,1,1]
	v_pack_b32_f16 v173, v174, v173
	s_delay_alu instid0(VALU_DEP_2) | instskip(NEXT) | instid1(VALU_DEP_2)
	v_pk_fma_f16 v182, v27, v172, v182 op_sel:[1,0,0]
	v_pk_fma_f16 v171, v171, v173, v171 op_sel:[0,0,1] op_sel_hi:[0,1,1]
	s_delay_alu instid0(VALU_DEP_1) | instskip(SKIP_2) | instid1(VALU_DEP_2)
	v_pk_fma_f16 v27, v27, v171, v183 op_sel:[1,0,0]
	v_add_co_u32 v183, vcc_lo, s7, v73
	v_add_co_ci_u32_e32 v185, vcc_lo, s9, v133, vcc_lo
	v_add_co_u32 v171, vcc_lo, v183, v180
	s_delay_alu instid0(VALU_DEP_2) | instskip(NEXT) | instid1(VALU_DEP_2)
	v_add_co_ci_u32_e32 v172, vcc_lo, v185, v178, vcc_lo
	v_add_co_u32 v173, vcc_lo, v171, v128
	s_delay_alu instid0(VALU_DEP_2)
	v_add_co_ci_u32_e32 v174, vcc_lo, 0, v172, vcc_lo
	s_clause 0x1
	global_load_b32 v171, v[171:172], off
	global_load_b32 v173, v[173:174], off offset:4
	s_waitcnt vmcnt(0)
	v_ashrrev_i32_e32 v173, v111, v173
	s_delay_alu instid0(VALU_DEP_1) | instskip(SKIP_3) | instid1(VALU_DEP_4)
	v_lshrrev_b32_e32 v186, 8, v173
	v_and_b32_e32 v174, 15, v173
	v_lshrrev_b32_e32 v188, 16, v173
	v_bfe_u32 v173, v173, 24, 4
	v_and_b32_e32 v186, 15, v186
	s_delay_alu instid0(VALU_DEP_4) | instskip(NEXT) | instid1(VALU_DEP_4)
	v_cvt_f16_u16_e64 v172, v174
	v_and_b32_e32 v188, 15, v188
	s_delay_alu instid0(VALU_DEP_4) | instskip(NEXT) | instid1(VALU_DEP_4)
	v_cvt_f16_u16_e64 v173, v173
	v_cvt_f16_u16_e64 v174, v186
	s_delay_alu instid0(VALU_DEP_1) | instskip(NEXT) | instid1(VALU_DEP_4)
	v_pack_b32_f16 v172, v172, v174
	v_cvt_f16_u16_e64 v174, v188
	s_delay_alu instid0(VALU_DEP_2) | instskip(NEXT) | instid1(VALU_DEP_2)
	v_pk_fma_f16 v172, v171, v172, v171 op_sel:[0,0,1] op_sel_hi:[0,1,1]
	v_pack_b32_f16 v173, v174, v173
	s_delay_alu instid0(VALU_DEP_2) | instskip(NEXT) | instid1(VALU_DEP_2)
	v_pk_fma_f16 v184, v28, v172, v184 op_sel_hi:[0,1,1]
	v_pk_fma_f16 v171, v171, v173, v171 op_sel:[0,0,1] op_sel_hi:[0,1,1]
	s_delay_alu instid0(VALU_DEP_1) | instskip(SKIP_2) | instid1(VALU_DEP_2)
	v_pk_fma_f16 v186, v28, v171, v187 op_sel_hi:[0,1,1]
	v_add_co_u32 v171, vcc_lo, v183, v181
	v_add_co_ci_u32_e32 v172, vcc_lo, v185, v179, vcc_lo
	v_add_co_u32 v173, vcc_lo, v171, v131
	s_delay_alu instid0(VALU_DEP_2)
	v_add_co_ci_u32_e32 v174, vcc_lo, 0, v172, vcc_lo
	s_clause 0x1
	global_load_b32 v171, v[171:172], off
	global_load_b32 v173, v[173:174], off offset:4
	s_waitcnt vmcnt(0)
	v_ashrrev_i32_e32 v173, v111, v173
	s_delay_alu instid0(VALU_DEP_1) | instskip(SKIP_3) | instid1(VALU_DEP_4)
	v_lshrrev_b32_e32 v183, 8, v173
	v_and_b32_e32 v174, 15, v173
	v_lshrrev_b32_e32 v185, 16, v173
	v_bfe_u32 v173, v173, 24, 4
	v_and_b32_e32 v183, 15, v183
	s_delay_alu instid0(VALU_DEP_4) | instskip(NEXT) | instid1(VALU_DEP_4)
	v_cvt_f16_u16_e64 v172, v174
	v_and_b32_e32 v185, 15, v185
	s_delay_alu instid0(VALU_DEP_4) | instskip(NEXT) | instid1(VALU_DEP_4)
	v_cvt_f16_u16_e64 v173, v173
	v_cvt_f16_u16_e64 v174, v183
	v_add_co_u32 v183, vcc_lo, s7, v74
	s_delay_alu instid0(VALU_DEP_2) | instskip(SKIP_2) | instid1(VALU_DEP_3)
	v_pack_b32_f16 v172, v172, v174
	v_cvt_f16_u16_e64 v174, v185
	v_add_co_ci_u32_e32 v185, vcc_lo, s9, v135, vcc_lo
	v_pk_fma_f16 v172, v171, v172, v171 op_sel:[0,0,1] op_sel_hi:[0,1,1]
	s_delay_alu instid0(VALU_DEP_3) | instskip(NEXT) | instid1(VALU_DEP_2)
	v_pack_b32_f16 v173, v174, v173
	v_pk_fma_f16 v182, v28, v172, v182 op_sel_hi:[0,1,1]
	s_delay_alu instid0(VALU_DEP_2) | instskip(NEXT) | instid1(VALU_DEP_1)
	v_pk_fma_f16 v171, v171, v173, v171 op_sel:[0,0,1] op_sel_hi:[0,1,1]
	v_pk_fma_f16 v27, v28, v171, v27 op_sel_hi:[0,1,1]
	v_add_co_u32 v171, vcc_lo, v183, v180
	v_add_co_ci_u32_e32 v172, vcc_lo, v185, v178, vcc_lo
	s_delay_alu instid0(VALU_DEP_2) | instskip(NEXT) | instid1(VALU_DEP_2)
	v_add_co_u32 v173, vcc_lo, v171, v128
	v_add_co_ci_u32_e32 v174, vcc_lo, 0, v172, vcc_lo
	s_clause 0x1
	global_load_b32 v171, v[171:172], off
	global_load_b32 v173, v[173:174], off offset:4
	s_waitcnt vmcnt(0)
	v_ashrrev_i32_e32 v173, v111, v173
	s_delay_alu instid0(VALU_DEP_1) | instskip(SKIP_3) | instid1(VALU_DEP_4)
	v_lshrrev_b32_e32 v187, 8, v173
	v_and_b32_e32 v174, 15, v173
	v_lshrrev_b32_e32 v188, 16, v173
	v_bfe_u32 v173, v173, 24, 4
	v_and_b32_e32 v187, 15, v187
	s_delay_alu instid0(VALU_DEP_4) | instskip(NEXT) | instid1(VALU_DEP_4)
	v_cvt_f16_u16_e64 v172, v174
	v_and_b32_e32 v188, 15, v188
	s_delay_alu instid0(VALU_DEP_4) | instskip(NEXT) | instid1(VALU_DEP_4)
	v_cvt_f16_u16_e64 v173, v173
	v_cvt_f16_u16_e64 v174, v187
	s_delay_alu instid0(VALU_DEP_1) | instskip(NEXT) | instid1(VALU_DEP_4)
	v_pack_b32_f16 v172, v172, v174
	v_cvt_f16_u16_e64 v174, v188
	s_delay_alu instid0(VALU_DEP_2) | instskip(NEXT) | instid1(VALU_DEP_2)
	v_pk_fma_f16 v172, v171, v172, v171 op_sel:[0,0,1] op_sel_hi:[0,1,1]
	v_pack_b32_f16 v173, v174, v173
	s_delay_alu instid0(VALU_DEP_2) | instskip(NEXT) | instid1(VALU_DEP_2)
	v_pk_fma_f16 v184, v28, v172, v184 op_sel:[1,0,0]
	v_pk_fma_f16 v171, v171, v173, v171 op_sel:[0,0,1] op_sel_hi:[0,1,1]
	s_delay_alu instid0(VALU_DEP_1) | instskip(SKIP_2) | instid1(VALU_DEP_2)
	v_pk_fma_f16 v186, v28, v171, v186 op_sel:[1,0,0]
	v_add_co_u32 v171, vcc_lo, v183, v181
	v_add_co_ci_u32_e32 v172, vcc_lo, v185, v179, vcc_lo
	v_add_co_u32 v173, vcc_lo, v171, v131
	s_delay_alu instid0(VALU_DEP_2)
	v_add_co_ci_u32_e32 v174, vcc_lo, 0, v172, vcc_lo
	s_clause 0x1
	global_load_b32 v171, v[171:172], off
	global_load_b32 v173, v[173:174], off offset:4
	s_waitcnt vmcnt(0)
	v_ashrrev_i32_e32 v173, v111, v173
	s_delay_alu instid0(VALU_DEP_1) | instskip(SKIP_3) | instid1(VALU_DEP_4)
	v_lshrrev_b32_e32 v183, 8, v173
	v_and_b32_e32 v174, 15, v173
	v_lshrrev_b32_e32 v185, 16, v173
	v_bfe_u32 v173, v173, 24, 4
	v_and_b32_e32 v183, 15, v183
	s_delay_alu instid0(VALU_DEP_4) | instskip(NEXT) | instid1(VALU_DEP_4)
	v_cvt_f16_u16_e64 v172, v174
	v_and_b32_e32 v185, 15, v185
	s_delay_alu instid0(VALU_DEP_4) | instskip(NEXT) | instid1(VALU_DEP_4)
	v_cvt_f16_u16_e64 v173, v173
	v_cvt_f16_u16_e64 v174, v183
	s_delay_alu instid0(VALU_DEP_1) | instskip(NEXT) | instid1(VALU_DEP_4)
	v_pack_b32_f16 v172, v172, v174
	v_cvt_f16_u16_e64 v174, v185
	s_delay_alu instid0(VALU_DEP_2) | instskip(NEXT) | instid1(VALU_DEP_2)
	v_pk_fma_f16 v172, v171, v172, v171 op_sel:[0,0,1] op_sel_hi:[0,1,1]
	v_pack_b32_f16 v173, v174, v173
	s_delay_alu instid0(VALU_DEP_1) | instskip(NEXT) | instid1(VALU_DEP_3)
	v_pk_fma_f16 v171, v171, v173, v171 op_sel:[0,0,1] op_sel_hi:[0,1,1]
	v_pk_fma_f16 v173, v28, v172, v182 op_sel:[1,0,0]
	v_add_co_u32 v182, vcc_lo, s7, v75
	v_add_co_ci_u32_e32 v183, vcc_lo, s9, v136, vcc_lo
	s_delay_alu instid0(VALU_DEP_4) | instskip(NEXT) | instid1(VALU_DEP_3)
	v_pk_fma_f16 v174, v28, v171, v27 op_sel:[1,0,0]
	v_add_co_u32 v27, vcc_lo, v182, v180
	s_delay_alu instid0(VALU_DEP_3) | instskip(NEXT) | instid1(VALU_DEP_2)
	v_add_co_ci_u32_e32 v28, vcc_lo, v183, v178, vcc_lo
	v_add_co_u32 v171, vcc_lo, v27, v128
	s_delay_alu instid0(VALU_DEP_2)
	v_add_co_ci_u32_e32 v172, vcc_lo, 0, v28, vcc_lo
	s_clause 0x1
	global_load_b32 v27, v[27:28], off
	global_load_b32 v171, v[171:172], off offset:4
	s_waitcnt vmcnt(0)
	v_ashrrev_i32_e32 v171, v111, v171
	s_delay_alu instid0(VALU_DEP_1) | instskip(SKIP_3) | instid1(VALU_DEP_4)
	v_lshrrev_b32_e32 v185, 8, v171
	v_and_b32_e32 v172, 15, v171
	v_lshrrev_b32_e32 v187, 16, v171
	v_bfe_u32 v171, v171, 24, 4
	v_and_b32_e32 v185, 15, v185
	s_delay_alu instid0(VALU_DEP_4) | instskip(NEXT) | instid1(VALU_DEP_4)
	v_cvt_f16_u16_e64 v28, v172
	v_and_b32_e32 v187, 15, v187
	s_delay_alu instid0(VALU_DEP_4) | instskip(NEXT) | instid1(VALU_DEP_4)
	v_cvt_f16_u16_e64 v171, v171
	v_cvt_f16_u16_e64 v172, v185
	s_delay_alu instid0(VALU_DEP_1) | instskip(NEXT) | instid1(VALU_DEP_4)
	v_pack_b32_f16 v28, v28, v172
	v_cvt_f16_u16_e64 v172, v187
	s_delay_alu instid0(VALU_DEP_2) | instskip(NEXT) | instid1(VALU_DEP_2)
	v_pk_fma_f16 v28, v27, v28, v27 op_sel:[0,0,1] op_sel_hi:[0,1,1]
	v_pack_b32_f16 v171, v172, v171
	s_delay_alu instid0(VALU_DEP_2) | instskip(NEXT) | instid1(VALU_DEP_2)
	v_pk_fma_f16 v184, v29, v28, v184 op_sel_hi:[0,1,1]
	v_pk_fma_f16 v27, v27, v171, v27 op_sel:[0,0,1] op_sel_hi:[0,1,1]
	s_delay_alu instid0(VALU_DEP_1) | instskip(SKIP_2) | instid1(VALU_DEP_2)
	v_pk_fma_f16 v185, v29, v27, v186 op_sel_hi:[0,1,1]
	v_add_co_u32 v27, vcc_lo, v182, v181
	v_add_co_ci_u32_e32 v28, vcc_lo, v183, v179, vcc_lo
	v_add_co_u32 v171, vcc_lo, v27, v131
	s_delay_alu instid0(VALU_DEP_2)
	v_add_co_ci_u32_e32 v172, vcc_lo, 0, v28, vcc_lo
	s_clause 0x1
	global_load_b32 v27, v[27:28], off
	global_load_b32 v171, v[171:172], off offset:4
	s_waitcnt vmcnt(0)
	v_ashrrev_i32_e32 v171, v111, v171
	s_delay_alu instid0(VALU_DEP_1) | instskip(SKIP_3) | instid1(VALU_DEP_4)
	v_lshrrev_b32_e32 v182, 8, v171
	v_and_b32_e32 v172, 15, v171
	v_lshrrev_b32_e32 v183, 16, v171
	v_bfe_u32 v171, v171, 24, 4
	v_and_b32_e32 v182, 15, v182
	s_delay_alu instid0(VALU_DEP_4) | instskip(NEXT) | instid1(VALU_DEP_4)
	v_cvt_f16_u16_e64 v28, v172
	v_and_b32_e32 v183, 15, v183
	s_delay_alu instid0(VALU_DEP_4) | instskip(NEXT) | instid1(VALU_DEP_4)
	v_cvt_f16_u16_e64 v171, v171
	v_cvt_f16_u16_e64 v172, v182
	v_add_co_u32 v182, vcc_lo, s7, v76
	s_delay_alu instid0(VALU_DEP_2) | instskip(SKIP_2) | instid1(VALU_DEP_3)
	v_pack_b32_f16 v28, v28, v172
	v_cvt_f16_u16_e64 v172, v183
	v_add_co_ci_u32_e32 v183, vcc_lo, s9, v137, vcc_lo
	v_pk_fma_f16 v28, v27, v28, v27 op_sel:[0,0,1] op_sel_hi:[0,1,1]
	s_delay_alu instid0(VALU_DEP_3) | instskip(NEXT) | instid1(VALU_DEP_2)
	v_pack_b32_f16 v171, v172, v171
	v_pk_fma_f16 v173, v29, v28, v173 op_sel_hi:[0,1,1]
	s_delay_alu instid0(VALU_DEP_2) | instskip(NEXT) | instid1(VALU_DEP_1)
	v_pk_fma_f16 v27, v27, v171, v27 op_sel:[0,0,1] op_sel_hi:[0,1,1]
	v_pk_fma_f16 v174, v29, v27, v174 op_sel_hi:[0,1,1]
	v_add_co_u32 v27, vcc_lo, v182, v180
	v_add_co_ci_u32_e32 v28, vcc_lo, v183, v178, vcc_lo
	s_delay_alu instid0(VALU_DEP_2) | instskip(NEXT) | instid1(VALU_DEP_2)
	v_add_co_u32 v171, vcc_lo, v27, v128
	v_add_co_ci_u32_e32 v172, vcc_lo, 0, v28, vcc_lo
	s_clause 0x1
	global_load_b32 v27, v[27:28], off
	global_load_b32 v171, v[171:172], off offset:4
	s_waitcnt vmcnt(0)
	v_ashrrev_i32_e32 v171, v111, v171
	s_delay_alu instid0(VALU_DEP_1) | instskip(SKIP_3) | instid1(VALU_DEP_4)
	v_lshrrev_b32_e32 v186, 8, v171
	v_and_b32_e32 v172, 15, v171
	v_lshrrev_b32_e32 v187, 16, v171
	v_bfe_u32 v171, v171, 24, 4
	v_and_b32_e32 v186, 15, v186
	s_delay_alu instid0(VALU_DEP_4) | instskip(NEXT) | instid1(VALU_DEP_4)
	v_cvt_f16_u16_e64 v28, v172
	v_and_b32_e32 v187, 15, v187
	s_delay_alu instid0(VALU_DEP_4) | instskip(NEXT) | instid1(VALU_DEP_4)
	v_cvt_f16_u16_e64 v171, v171
	v_cvt_f16_u16_e64 v172, v186
	s_delay_alu instid0(VALU_DEP_1) | instskip(NEXT) | instid1(VALU_DEP_4)
	v_pack_b32_f16 v28, v28, v172
	v_cvt_f16_u16_e64 v172, v187
	s_delay_alu instid0(VALU_DEP_2) | instskip(NEXT) | instid1(VALU_DEP_2)
	v_pk_fma_f16 v28, v27, v28, v27 op_sel:[0,0,1] op_sel_hi:[0,1,1]
	v_pack_b32_f16 v171, v172, v171
	s_delay_alu instid0(VALU_DEP_2) | instskip(NEXT) | instid1(VALU_DEP_2)
	v_pk_fma_f16 v184, v29, v28, v184 op_sel:[1,0,0]
	v_pk_fma_f16 v27, v27, v171, v27 op_sel:[0,0,1] op_sel_hi:[0,1,1]
	s_delay_alu instid0(VALU_DEP_1) | instskip(SKIP_2) | instid1(VALU_DEP_2)
	v_pk_fma_f16 v185, v29, v27, v185 op_sel:[1,0,0]
	v_add_co_u32 v27, vcc_lo, v182, v181
	v_add_co_ci_u32_e32 v28, vcc_lo, v183, v179, vcc_lo
	v_add_co_u32 v171, vcc_lo, v27, v131
	s_delay_alu instid0(VALU_DEP_2)
	v_add_co_ci_u32_e32 v172, vcc_lo, 0, v28, vcc_lo
	s_clause 0x1
	global_load_b32 v27, v[27:28], off
	global_load_b32 v171, v[171:172], off offset:4
	s_waitcnt vmcnt(0)
	v_ashrrev_i32_e32 v171, v111, v171
	s_delay_alu instid0(VALU_DEP_1) | instskip(SKIP_3) | instid1(VALU_DEP_4)
	v_lshrrev_b32_e32 v182, 8, v171
	v_and_b32_e32 v172, 15, v171
	v_lshrrev_b32_e32 v183, 16, v171
	v_bfe_u32 v171, v171, 24, 4
	v_and_b32_e32 v182, 15, v182
	s_delay_alu instid0(VALU_DEP_4) | instskip(NEXT) | instid1(VALU_DEP_4)
	v_cvt_f16_u16_e64 v28, v172
	v_and_b32_e32 v183, 15, v183
	s_delay_alu instid0(VALU_DEP_4) | instskip(NEXT) | instid1(VALU_DEP_4)
	v_cvt_f16_u16_e64 v171, v171
	v_cvt_f16_u16_e64 v172, v182
	s_delay_alu instid0(VALU_DEP_1) | instskip(NEXT) | instid1(VALU_DEP_4)
	v_pack_b32_f16 v28, v28, v172
	v_cvt_f16_u16_e64 v172, v183
	s_delay_alu instid0(VALU_DEP_2) | instskip(NEXT) | instid1(VALU_DEP_2)
	v_pk_fma_f16 v28, v27, v28, v27 op_sel:[0,0,1] op_sel_hi:[0,1,1]
	v_pack_b32_f16 v171, v172, v171
	s_delay_alu instid0(VALU_DEP_2) | instskip(NEXT) | instid1(VALU_DEP_2)
	v_pk_fma_f16 v173, v29, v28, v173 op_sel:[1,0,0]
	v_pk_fma_f16 v27, v27, v171, v27 op_sel:[0,0,1] op_sel_hi:[0,1,1]
	s_delay_alu instid0(VALU_DEP_1) | instskip(SKIP_2) | instid1(VALU_DEP_2)
	v_pk_fma_f16 v29, v29, v27, v174 op_sel:[1,0,0]
	v_add_co_u32 v174, vcc_lo, s7, v77
	v_add_co_ci_u32_e32 v182, vcc_lo, s9, v138, vcc_lo
	v_add_co_u32 v27, vcc_lo, v174, v180
	s_delay_alu instid0(VALU_DEP_2) | instskip(NEXT) | instid1(VALU_DEP_2)
	v_add_co_ci_u32_e32 v28, vcc_lo, v182, v178, vcc_lo
	v_add_co_u32 v171, vcc_lo, v27, v128
	s_delay_alu instid0(VALU_DEP_2)
	v_add_co_ci_u32_e32 v172, vcc_lo, 0, v28, vcc_lo
	s_clause 0x1
	global_load_b32 v27, v[27:28], off
	global_load_b32 v171, v[171:172], off offset:4
	s_waitcnt vmcnt(0)
	v_ashrrev_i32_e32 v171, v111, v171
	s_delay_alu instid0(VALU_DEP_1) | instskip(SKIP_3) | instid1(VALU_DEP_4)
	v_lshrrev_b32_e32 v183, 8, v171
	v_and_b32_e32 v172, 15, v171
	v_lshrrev_b32_e32 v186, 16, v171
	v_bfe_u32 v171, v171, 24, 4
	v_and_b32_e32 v183, 15, v183
	s_delay_alu instid0(VALU_DEP_4) | instskip(NEXT) | instid1(VALU_DEP_4)
	v_cvt_f16_u16_e64 v28, v172
	v_and_b32_e32 v186, 15, v186
	s_delay_alu instid0(VALU_DEP_4) | instskip(NEXT) | instid1(VALU_DEP_4)
	v_cvt_f16_u16_e64 v171, v171
	v_cvt_f16_u16_e64 v172, v183
	s_delay_alu instid0(VALU_DEP_1) | instskip(NEXT) | instid1(VALU_DEP_4)
	v_pack_b32_f16 v28, v28, v172
	v_cvt_f16_u16_e64 v172, v186
	s_delay_alu instid0(VALU_DEP_2) | instskip(NEXT) | instid1(VALU_DEP_2)
	v_pk_fma_f16 v28, v27, v28, v27 op_sel:[0,0,1] op_sel_hi:[0,1,1]
	v_pack_b32_f16 v171, v172, v171
	s_delay_alu instid0(VALU_DEP_2) | instskip(NEXT) | instid1(VALU_DEP_2)
	v_pk_fma_f16 v183, v30, v28, v184 op_sel_hi:[0,1,1]
	v_pk_fma_f16 v27, v27, v171, v27 op_sel:[0,0,1] op_sel_hi:[0,1,1]
	s_delay_alu instid0(VALU_DEP_1) | instskip(SKIP_2) | instid1(VALU_DEP_2)
	v_pk_fma_f16 v184, v30, v27, v185 op_sel_hi:[0,1,1]
	v_add_co_u32 v27, vcc_lo, v174, v181
	v_add_co_ci_u32_e32 v28, vcc_lo, v182, v179, vcc_lo
	v_add_co_u32 v171, vcc_lo, v27, v131
	s_delay_alu instid0(VALU_DEP_2)
	v_add_co_ci_u32_e32 v172, vcc_lo, 0, v28, vcc_lo
	s_clause 0x1
	global_load_b32 v27, v[27:28], off
	global_load_b32 v171, v[171:172], off offset:4
	s_waitcnt vmcnt(0)
	v_ashrrev_i32_e32 v171, v111, v171
	s_delay_alu instid0(VALU_DEP_1) | instskip(SKIP_3) | instid1(VALU_DEP_4)
	v_lshrrev_b32_e32 v174, 8, v171
	v_and_b32_e32 v172, 15, v171
	v_lshrrev_b32_e32 v182, 16, v171
	v_bfe_u32 v171, v171, 24, 4
	v_and_b32_e32 v174, 15, v174
	s_delay_alu instid0(VALU_DEP_4) | instskip(NEXT) | instid1(VALU_DEP_4)
	v_cvt_f16_u16_e64 v28, v172
	v_and_b32_e32 v182, 15, v182
	s_delay_alu instid0(VALU_DEP_4) | instskip(NEXT) | instid1(VALU_DEP_4)
	v_cvt_f16_u16_e64 v171, v171
	v_cvt_f16_u16_e64 v172, v174
	v_add_co_u32 v174, vcc_lo, s7, v79
	s_delay_alu instid0(VALU_DEP_2) | instskip(SKIP_2) | instid1(VALU_DEP_3)
	v_pack_b32_f16 v28, v28, v172
	v_cvt_f16_u16_e64 v172, v182
	v_add_co_ci_u32_e32 v182, vcc_lo, s9, v140, vcc_lo
	v_pk_fma_f16 v28, v27, v28, v27 op_sel:[0,0,1] op_sel_hi:[0,1,1]
	s_delay_alu instid0(VALU_DEP_3) | instskip(NEXT) | instid1(VALU_DEP_2)
	v_pack_b32_f16 v171, v172, v171
	v_pk_fma_f16 v173, v30, v28, v173 op_sel_hi:[0,1,1]
	s_delay_alu instid0(VALU_DEP_2) | instskip(NEXT) | instid1(VALU_DEP_1)
	v_pk_fma_f16 v27, v27, v171, v27 op_sel:[0,0,1] op_sel_hi:[0,1,1]
	v_pk_fma_f16 v29, v30, v27, v29 op_sel_hi:[0,1,1]
	v_add_co_u32 v27, vcc_lo, v174, v180
	v_add_co_ci_u32_e32 v28, vcc_lo, v182, v178, vcc_lo
	s_delay_alu instid0(VALU_DEP_2) | instskip(NEXT) | instid1(VALU_DEP_2)
	v_add_co_u32 v171, vcc_lo, v27, v128
	v_add_co_ci_u32_e32 v172, vcc_lo, 0, v28, vcc_lo
	s_clause 0x1
	global_load_b32 v27, v[27:28], off
	global_load_b32 v171, v[171:172], off offset:4
	s_waitcnt vmcnt(0)
	v_ashrrev_i32_e32 v171, v111, v171
	s_delay_alu instid0(VALU_DEP_1) | instskip(SKIP_3) | instid1(VALU_DEP_4)
	v_lshrrev_b32_e32 v185, 8, v171
	v_and_b32_e32 v172, 15, v171
	v_lshrrev_b32_e32 v186, 16, v171
	v_bfe_u32 v171, v171, 24, 4
	v_and_b32_e32 v185, 15, v185
	s_delay_alu instid0(VALU_DEP_4) | instskip(NEXT) | instid1(VALU_DEP_4)
	v_cvt_f16_u16_e64 v28, v172
	v_and_b32_e32 v186, 15, v186
	s_delay_alu instid0(VALU_DEP_4) | instskip(NEXT) | instid1(VALU_DEP_4)
	v_cvt_f16_u16_e64 v171, v171
	v_cvt_f16_u16_e64 v172, v185
	s_delay_alu instid0(VALU_DEP_1) | instskip(NEXT) | instid1(VALU_DEP_4)
	v_pack_b32_f16 v28, v28, v172
	v_cvt_f16_u16_e64 v172, v186
	s_delay_alu instid0(VALU_DEP_2) | instskip(NEXT) | instid1(VALU_DEP_2)
	v_pk_fma_f16 v28, v27, v28, v27 op_sel:[0,0,1] op_sel_hi:[0,1,1]
	v_pack_b32_f16 v171, v172, v171
	s_delay_alu instid0(VALU_DEP_2) | instskip(NEXT) | instid1(VALU_DEP_2)
	v_pk_fma_f16 v183, v30, v28, v183 op_sel:[1,0,0]
	v_pk_fma_f16 v27, v27, v171, v27 op_sel:[0,0,1] op_sel_hi:[0,1,1]
	s_delay_alu instid0(VALU_DEP_1) | instskip(SKIP_2) | instid1(VALU_DEP_2)
	v_pk_fma_f16 v184, v30, v27, v184 op_sel:[1,0,0]
	v_add_co_u32 v27, vcc_lo, v174, v181
	v_add_co_ci_u32_e32 v28, vcc_lo, v182, v179, vcc_lo
	v_add_co_u32 v171, vcc_lo, v27, v131
	s_delay_alu instid0(VALU_DEP_2)
	v_add_co_ci_u32_e32 v172, vcc_lo, 0, v28, vcc_lo
	s_clause 0x1
	global_load_b32 v27, v[27:28], off
	global_load_b32 v171, v[171:172], off offset:4
	s_waitcnt vmcnt(0)
	v_ashrrev_i32_e32 v171, v111, v171
	s_delay_alu instid0(VALU_DEP_1) | instskip(SKIP_3) | instid1(VALU_DEP_4)
	v_lshrrev_b32_e32 v174, 8, v171
	v_and_b32_e32 v172, 15, v171
	v_lshrrev_b32_e32 v182, 16, v171
	v_bfe_u32 v171, v171, 24, 4
	v_and_b32_e32 v174, 15, v174
	s_delay_alu instid0(VALU_DEP_4) | instskip(NEXT) | instid1(VALU_DEP_4)
	v_cvt_f16_u16_e64 v28, v172
	v_and_b32_e32 v182, 15, v182
	s_delay_alu instid0(VALU_DEP_4) | instskip(NEXT) | instid1(VALU_DEP_4)
	v_cvt_f16_u16_e64 v171, v171
	v_cvt_f16_u16_e64 v172, v174
	s_delay_alu instid0(VALU_DEP_1) | instskip(NEXT) | instid1(VALU_DEP_4)
	v_pack_b32_f16 v28, v28, v172
	v_cvt_f16_u16_e64 v172, v182
	s_delay_alu instid0(VALU_DEP_2) | instskip(NEXT) | instid1(VALU_DEP_2)
	v_pk_fma_f16 v28, v27, v28, v27 op_sel:[0,0,1] op_sel_hi:[0,1,1]
	v_pack_b32_f16 v171, v172, v171
	s_delay_alu instid0(VALU_DEP_1) | instskip(NEXT) | instid1(VALU_DEP_3)
	v_pk_fma_f16 v27, v27, v171, v27 op_sel:[0,0,1] op_sel_hi:[0,1,1]
	v_pk_fma_f16 v171, v30, v28, v173 op_sel:[1,0,0]
	v_add_co_u32 v173, vcc_lo, s7, v82
	v_add_co_ci_u32_e32 v174, vcc_lo, s9, v141, vcc_lo
	s_delay_alu instid0(VALU_DEP_4) | instskip(NEXT) | instid1(VALU_DEP_3)
	v_pk_fma_f16 v172, v30, v27, v29 op_sel:[1,0,0]
	v_add_co_u32 v27, vcc_lo, v173, v180
	s_delay_alu instid0(VALU_DEP_3) | instskip(NEXT) | instid1(VALU_DEP_2)
	v_add_co_ci_u32_e32 v28, vcc_lo, v174, v178, vcc_lo
	v_add_co_u32 v29, vcc_lo, v27, v128
	s_delay_alu instid0(VALU_DEP_2)
	v_add_co_ci_u32_e32 v30, vcc_lo, 0, v28, vcc_lo
	s_clause 0x1
	global_load_b32 v27, v[27:28], off
	global_load_b32 v29, v[29:30], off offset:4
	s_waitcnt vmcnt(0)
	v_ashrrev_i32_e32 v29, v111, v29
	s_delay_alu instid0(VALU_DEP_1) | instskip(SKIP_3) | instid1(VALU_DEP_4)
	v_lshrrev_b32_e32 v182, 8, v29
	v_and_b32_e32 v30, 15, v29
	v_lshrrev_b32_e32 v185, 16, v29
	v_bfe_u32 v29, v29, 24, 4
	v_and_b32_e32 v182, 15, v182
	s_delay_alu instid0(VALU_DEP_4) | instskip(NEXT) | instid1(VALU_DEP_4)
	v_cvt_f16_u16_e32 v28, v30
	v_and_b32_e32 v185, 15, v185
	s_delay_alu instid0(VALU_DEP_4) | instskip(NEXT) | instid1(VALU_DEP_4)
	v_cvt_f16_u16_e32 v29, v29
	v_cvt_f16_u16_e64 v30, v182
	s_delay_alu instid0(VALU_DEP_1) | instskip(NEXT) | instid1(VALU_DEP_4)
	v_pack_b32_f16 v28, v28, v30
	v_cvt_f16_u16_e64 v30, v185
	s_delay_alu instid0(VALU_DEP_2) | instskip(NEXT) | instid1(VALU_DEP_2)
	v_pk_fma_f16 v28, v27, v28, v27 op_sel:[0,0,1] op_sel_hi:[0,1,1]
	v_pack_b32_f16 v29, v30, v29
	s_waitcnt lgkmcnt(2)
	s_delay_alu instid0(VALU_DEP_2) | instskip(NEXT) | instid1(VALU_DEP_2)
	v_pk_fma_f16 v182, v23, v28, v183 op_sel_hi:[0,1,1]
	v_pk_fma_f16 v27, v27, v29, v27 op_sel:[0,0,1] op_sel_hi:[0,1,1]
	s_delay_alu instid0(VALU_DEP_1) | instskip(SKIP_2) | instid1(VALU_DEP_2)
	v_pk_fma_f16 v183, v23, v27, v184 op_sel_hi:[0,1,1]
	v_add_co_u32 v27, vcc_lo, v173, v181
	v_add_co_ci_u32_e32 v28, vcc_lo, v174, v179, vcc_lo
	v_add_co_u32 v29, vcc_lo, v27, v131
	s_delay_alu instid0(VALU_DEP_2)
	v_add_co_ci_u32_e32 v30, vcc_lo, 0, v28, vcc_lo
	s_clause 0x1
	global_load_b32 v27, v[27:28], off
	global_load_b32 v29, v[29:30], off offset:4
	s_waitcnt vmcnt(0)
	v_ashrrev_i32_e32 v29, v111, v29
	s_delay_alu instid0(VALU_DEP_1) | instskip(SKIP_3) | instid1(VALU_DEP_4)
	v_lshrrev_b32_e32 v173, 8, v29
	v_and_b32_e32 v30, 15, v29
	v_lshrrev_b32_e32 v174, 16, v29
	v_bfe_u32 v29, v29, 24, 4
	v_and_b32_e32 v173, 15, v173
	s_delay_alu instid0(VALU_DEP_4) | instskip(NEXT) | instid1(VALU_DEP_4)
	v_cvt_f16_u16_e32 v28, v30
	v_and_b32_e32 v174, 15, v174
	s_delay_alu instid0(VALU_DEP_4) | instskip(NEXT) | instid1(VALU_DEP_4)
	v_cvt_f16_u16_e32 v29, v29
	v_cvt_f16_u16_e64 v30, v173
	v_add_co_u32 v173, vcc_lo, s7, v86
	s_delay_alu instid0(VALU_DEP_2) | instskip(SKIP_2) | instid1(VALU_DEP_3)
	v_pack_b32_f16 v28, v28, v30
	v_cvt_f16_u16_e64 v30, v174
	v_add_co_ci_u32_e32 v174, vcc_lo, s9, v142, vcc_lo
	v_pk_fma_f16 v28, v27, v28, v27 op_sel:[0,0,1] op_sel_hi:[0,1,1]
	s_delay_alu instid0(VALU_DEP_3) | instskip(NEXT) | instid1(VALU_DEP_2)
	v_pack_b32_f16 v29, v30, v29
	v_pk_fma_f16 v171, v23, v28, v171 op_sel_hi:[0,1,1]
	s_delay_alu instid0(VALU_DEP_2) | instskip(NEXT) | instid1(VALU_DEP_1)
	v_pk_fma_f16 v27, v27, v29, v27 op_sel:[0,0,1] op_sel_hi:[0,1,1]
	v_pk_fma_f16 v172, v23, v27, v172 op_sel_hi:[0,1,1]
	v_add_co_u32 v27, vcc_lo, v173, v180
	v_add_co_ci_u32_e32 v28, vcc_lo, v174, v178, vcc_lo
	s_delay_alu instid0(VALU_DEP_2) | instskip(NEXT) | instid1(VALU_DEP_2)
	v_add_co_u32 v29, vcc_lo, v27, v128
	v_add_co_ci_u32_e32 v30, vcc_lo, 0, v28, vcc_lo
	s_clause 0x1
	global_load_b32 v27, v[27:28], off
	global_load_b32 v29, v[29:30], off offset:4
	s_waitcnt vmcnt(0)
	v_ashrrev_i32_e32 v29, v111, v29
	s_delay_alu instid0(VALU_DEP_1) | instskip(SKIP_3) | instid1(VALU_DEP_4)
	v_lshrrev_b32_e32 v184, 8, v29
	v_and_b32_e32 v30, 15, v29
	v_lshrrev_b32_e32 v185, 16, v29
	v_bfe_u32 v29, v29, 24, 4
	v_and_b32_e32 v184, 15, v184
	s_delay_alu instid0(VALU_DEP_4) | instskip(NEXT) | instid1(VALU_DEP_4)
	v_cvt_f16_u16_e32 v28, v30
	v_and_b32_e32 v185, 15, v185
	s_delay_alu instid0(VALU_DEP_4) | instskip(NEXT) | instid1(VALU_DEP_4)
	v_cvt_f16_u16_e32 v29, v29
	v_cvt_f16_u16_e64 v30, v184
	s_delay_alu instid0(VALU_DEP_1) | instskip(NEXT) | instid1(VALU_DEP_4)
	v_pack_b32_f16 v28, v28, v30
	v_cvt_f16_u16_e64 v30, v185
	s_delay_alu instid0(VALU_DEP_2) | instskip(NEXT) | instid1(VALU_DEP_2)
	v_pk_fma_f16 v28, v27, v28, v27 op_sel:[0,0,1] op_sel_hi:[0,1,1]
	v_pack_b32_f16 v29, v30, v29
	s_delay_alu instid0(VALU_DEP_2) | instskip(NEXT) | instid1(VALU_DEP_2)
	v_pk_fma_f16 v182, v23, v28, v182 op_sel:[1,0,0]
	v_pk_fma_f16 v27, v27, v29, v27 op_sel:[0,0,1] op_sel_hi:[0,1,1]
	s_delay_alu instid0(VALU_DEP_1) | instskip(SKIP_2) | instid1(VALU_DEP_2)
	v_pk_fma_f16 v183, v23, v27, v183 op_sel:[1,0,0]
	v_add_co_u32 v27, vcc_lo, v173, v181
	v_add_co_ci_u32_e32 v28, vcc_lo, v174, v179, vcc_lo
	v_add_co_u32 v29, vcc_lo, v27, v131
	s_delay_alu instid0(VALU_DEP_2)
	v_add_co_ci_u32_e32 v30, vcc_lo, 0, v28, vcc_lo
	s_clause 0x1
	global_load_b32 v27, v[27:28], off
	global_load_b32 v29, v[29:30], off offset:4
	s_waitcnt vmcnt(0)
	v_ashrrev_i32_e32 v29, v111, v29
	s_delay_alu instid0(VALU_DEP_1) | instskip(SKIP_3) | instid1(VALU_DEP_4)
	v_lshrrev_b32_e32 v173, 8, v29
	v_and_b32_e32 v30, 15, v29
	v_lshrrev_b32_e32 v174, 16, v29
	v_bfe_u32 v29, v29, 24, 4
	v_and_b32_e32 v173, 15, v173
	s_delay_alu instid0(VALU_DEP_4) | instskip(NEXT) | instid1(VALU_DEP_4)
	v_cvt_f16_u16_e32 v28, v30
	v_and_b32_e32 v174, 15, v174
	s_delay_alu instid0(VALU_DEP_4) | instskip(NEXT) | instid1(VALU_DEP_4)
	v_cvt_f16_u16_e32 v29, v29
	v_cvt_f16_u16_e64 v30, v173
	s_delay_alu instid0(VALU_DEP_1) | instskip(NEXT) | instid1(VALU_DEP_4)
	v_pack_b32_f16 v28, v28, v30
	v_cvt_f16_u16_e64 v30, v174
	s_delay_alu instid0(VALU_DEP_2) | instskip(NEXT) | instid1(VALU_DEP_2)
	v_pk_fma_f16 v28, v27, v28, v27 op_sel:[0,0,1] op_sel_hi:[0,1,1]
	v_pack_b32_f16 v29, v30, v29
	s_delay_alu instid0(VALU_DEP_2) | instskip(NEXT) | instid1(VALU_DEP_2)
	v_pk_fma_f16 v171, v23, v28, v171 op_sel:[1,0,0]
	v_pk_fma_f16 v27, v27, v29, v27 op_sel:[0,0,1] op_sel_hi:[0,1,1]
	s_delay_alu instid0(VALU_DEP_1) | instskip(SKIP_2) | instid1(VALU_DEP_2)
	v_pk_fma_f16 v23, v23, v27, v172 op_sel:[1,0,0]
	v_add_co_u32 v172, vcc_lo, s7, v88
	v_add_co_ci_u32_e32 v173, vcc_lo, s9, v143, vcc_lo
	v_add_co_u32 v27, vcc_lo, v172, v180
	s_delay_alu instid0(VALU_DEP_2) | instskip(NEXT) | instid1(VALU_DEP_2)
	v_add_co_ci_u32_e32 v28, vcc_lo, v173, v178, vcc_lo
	v_add_co_u32 v29, vcc_lo, v27, v128
	s_delay_alu instid0(VALU_DEP_2)
	v_add_co_ci_u32_e32 v30, vcc_lo, 0, v28, vcc_lo
	s_clause 0x1
	global_load_b32 v27, v[27:28], off
	global_load_b32 v29, v[29:30], off offset:4
	s_waitcnt vmcnt(0)
	v_ashrrev_i32_e32 v29, v111, v29
	s_delay_alu instid0(VALU_DEP_1) | instskip(SKIP_3) | instid1(VALU_DEP_4)
	v_lshrrev_b32_e32 v174, 8, v29
	v_and_b32_e32 v30, 15, v29
	v_lshrrev_b32_e32 v184, 16, v29
	v_bfe_u32 v29, v29, 24, 4
	v_and_b32_e32 v174, 15, v174
	s_delay_alu instid0(VALU_DEP_4) | instskip(NEXT) | instid1(VALU_DEP_4)
	v_cvt_f16_u16_e32 v28, v30
	v_and_b32_e32 v184, 15, v184
	s_delay_alu instid0(VALU_DEP_4) | instskip(NEXT) | instid1(VALU_DEP_4)
	v_cvt_f16_u16_e32 v29, v29
	v_cvt_f16_u16_e64 v30, v174
	s_delay_alu instid0(VALU_DEP_1) | instskip(NEXT) | instid1(VALU_DEP_4)
	v_pack_b32_f16 v28, v28, v30
	v_cvt_f16_u16_e64 v30, v184
	s_delay_alu instid0(VALU_DEP_2) | instskip(NEXT) | instid1(VALU_DEP_2)
	v_pk_fma_f16 v28, v27, v28, v27 op_sel:[0,0,1] op_sel_hi:[0,1,1]
	v_pack_b32_f16 v29, v30, v29
	s_delay_alu instid0(VALU_DEP_2) | instskip(NEXT) | instid1(VALU_DEP_2)
	v_pk_fma_f16 v174, v24, v28, v182 op_sel_hi:[0,1,1]
	v_pk_fma_f16 v27, v27, v29, v27 op_sel:[0,0,1] op_sel_hi:[0,1,1]
	s_delay_alu instid0(VALU_DEP_1) | instskip(SKIP_2) | instid1(VALU_DEP_2)
	v_pk_fma_f16 v182, v24, v27, v183 op_sel_hi:[0,1,1]
	v_add_co_u32 v27, vcc_lo, v172, v181
	v_add_co_ci_u32_e32 v28, vcc_lo, v173, v179, vcc_lo
	v_add_co_u32 v29, vcc_lo, v27, v131
	s_delay_alu instid0(VALU_DEP_2)
	v_add_co_ci_u32_e32 v30, vcc_lo, 0, v28, vcc_lo
	s_clause 0x1
	global_load_b32 v27, v[27:28], off
	global_load_b32 v29, v[29:30], off offset:4
	s_waitcnt vmcnt(0)
	v_ashrrev_i32_e32 v29, v111, v29
	s_delay_alu instid0(VALU_DEP_1) | instskip(SKIP_3) | instid1(VALU_DEP_4)
	v_lshrrev_b32_e32 v172, 8, v29
	v_and_b32_e32 v30, 15, v29
	v_lshrrev_b32_e32 v173, 16, v29
	v_bfe_u32 v29, v29, 24, 4
	v_and_b32_e32 v172, 15, v172
	s_delay_alu instid0(VALU_DEP_4) | instskip(NEXT) | instid1(VALU_DEP_4)
	v_cvt_f16_u16_e32 v28, v30
	v_and_b32_e32 v173, 15, v173
	s_delay_alu instid0(VALU_DEP_4) | instskip(NEXT) | instid1(VALU_DEP_4)
	v_cvt_f16_u16_e32 v29, v29
	v_cvt_f16_u16_e64 v30, v172
	v_add_co_u32 v172, vcc_lo, s7, v92
	s_delay_alu instid0(VALU_DEP_2) | instskip(SKIP_2) | instid1(VALU_DEP_3)
	v_pack_b32_f16 v28, v28, v30
	v_cvt_f16_u16_e64 v30, v173
	v_add_co_ci_u32_e32 v173, vcc_lo, s9, v145, vcc_lo
	v_pk_fma_f16 v28, v27, v28, v27 op_sel:[0,0,1] op_sel_hi:[0,1,1]
	s_delay_alu instid0(VALU_DEP_3) | instskip(NEXT) | instid1(VALU_DEP_2)
	v_pack_b32_f16 v29, v30, v29
	v_pk_fma_f16 v171, v24, v28, v171 op_sel_hi:[0,1,1]
	s_delay_alu instid0(VALU_DEP_2) | instskip(NEXT) | instid1(VALU_DEP_1)
	v_pk_fma_f16 v27, v27, v29, v27 op_sel:[0,0,1] op_sel_hi:[0,1,1]
	v_pk_fma_f16 v23, v24, v27, v23 op_sel_hi:[0,1,1]
	v_add_co_u32 v27, vcc_lo, v172, v180
	v_add_co_ci_u32_e32 v28, vcc_lo, v173, v178, vcc_lo
	s_delay_alu instid0(VALU_DEP_2) | instskip(NEXT) | instid1(VALU_DEP_2)
	v_add_co_u32 v29, vcc_lo, v27, v128
	v_add_co_ci_u32_e32 v30, vcc_lo, 0, v28, vcc_lo
	s_clause 0x1
	global_load_b32 v27, v[27:28], off
	global_load_b32 v29, v[29:30], off offset:4
	s_waitcnt vmcnt(0)
	v_ashrrev_i32_e32 v29, v111, v29
	s_delay_alu instid0(VALU_DEP_1) | instskip(SKIP_3) | instid1(VALU_DEP_4)
	v_lshrrev_b32_e32 v183, 8, v29
	v_and_b32_e32 v30, 15, v29
	v_lshrrev_b32_e32 v184, 16, v29
	v_bfe_u32 v29, v29, 24, 4
	v_and_b32_e32 v183, 15, v183
	s_delay_alu instid0(VALU_DEP_4) | instskip(NEXT) | instid1(VALU_DEP_4)
	v_cvt_f16_u16_e32 v28, v30
	v_and_b32_e32 v184, 15, v184
	s_delay_alu instid0(VALU_DEP_4) | instskip(NEXT) | instid1(VALU_DEP_4)
	v_cvt_f16_u16_e32 v29, v29
	v_cvt_f16_u16_e64 v30, v183
	s_delay_alu instid0(VALU_DEP_1) | instskip(NEXT) | instid1(VALU_DEP_4)
	v_pack_b32_f16 v28, v28, v30
	v_cvt_f16_u16_e64 v30, v184
	s_delay_alu instid0(VALU_DEP_2) | instskip(NEXT) | instid1(VALU_DEP_2)
	v_pk_fma_f16 v28, v27, v28, v27 op_sel:[0,0,1] op_sel_hi:[0,1,1]
	v_pack_b32_f16 v29, v30, v29
	s_delay_alu instid0(VALU_DEP_2) | instskip(NEXT) | instid1(VALU_DEP_2)
	v_pk_fma_f16 v174, v24, v28, v174 op_sel:[1,0,0]
	v_pk_fma_f16 v27, v27, v29, v27 op_sel:[0,0,1] op_sel_hi:[0,1,1]
	s_delay_alu instid0(VALU_DEP_1) | instskip(SKIP_2) | instid1(VALU_DEP_2)
	v_pk_fma_f16 v182, v24, v27, v182 op_sel:[1,0,0]
	v_add_co_u32 v27, vcc_lo, v172, v181
	v_add_co_ci_u32_e32 v28, vcc_lo, v173, v179, vcc_lo
	v_add_co_u32 v29, vcc_lo, v27, v131
	s_delay_alu instid0(VALU_DEP_2)
	v_add_co_ci_u32_e32 v30, vcc_lo, 0, v28, vcc_lo
	s_clause 0x1
	global_load_b32 v27, v[27:28], off
	global_load_b32 v29, v[29:30], off offset:4
	s_waitcnt vmcnt(0)
	v_ashrrev_i32_e32 v29, v111, v29
	s_delay_alu instid0(VALU_DEP_1) | instskip(SKIP_3) | instid1(VALU_DEP_4)
	v_lshrrev_b32_e32 v172, 8, v29
	v_and_b32_e32 v30, 15, v29
	v_lshrrev_b32_e32 v173, 16, v29
	v_bfe_u32 v29, v29, 24, 4
	v_and_b32_e32 v172, 15, v172
	s_delay_alu instid0(VALU_DEP_4) | instskip(NEXT) | instid1(VALU_DEP_4)
	v_cvt_f16_u16_e32 v28, v30
	v_and_b32_e32 v173, 15, v173
	s_delay_alu instid0(VALU_DEP_4) | instskip(NEXT) | instid1(VALU_DEP_4)
	v_cvt_f16_u16_e32 v29, v29
	v_cvt_f16_u16_e64 v30, v172
	s_delay_alu instid0(VALU_DEP_1) | instskip(NEXT) | instid1(VALU_DEP_4)
	v_pack_b32_f16 v28, v28, v30
	v_cvt_f16_u16_e64 v30, v173
	s_delay_alu instid0(VALU_DEP_2) | instskip(NEXT) | instid1(VALU_DEP_2)
	v_pk_fma_f16 v28, v27, v28, v27 op_sel:[0,0,1] op_sel_hi:[0,1,1]
	v_pack_b32_f16 v29, v30, v29
	s_delay_alu instid0(VALU_DEP_1) | instskip(NEXT) | instid1(VALU_DEP_3)
	v_pk_fma_f16 v27, v27, v29, v27 op_sel:[0,0,1] op_sel_hi:[0,1,1]
	v_pk_fma_f16 v29, v24, v28, v171 op_sel:[1,0,0]
	v_add_co_u32 v171, vcc_lo, s7, v94
	v_add_co_ci_u32_e32 v172, vcc_lo, s9, v146, vcc_lo
	s_delay_alu instid0(VALU_DEP_4) | instskip(NEXT) | instid1(VALU_DEP_3)
	v_pk_fma_f16 v30, v24, v27, v23 op_sel:[1,0,0]
	v_add_co_u32 v23, vcc_lo, v171, v180
	s_delay_alu instid0(VALU_DEP_3) | instskip(NEXT) | instid1(VALU_DEP_2)
	v_add_co_ci_u32_e32 v24, vcc_lo, v172, v178, vcc_lo
	v_add_co_u32 v27, vcc_lo, v23, v128
	s_delay_alu instid0(VALU_DEP_2)
	v_add_co_ci_u32_e32 v28, vcc_lo, 0, v24, vcc_lo
	s_clause 0x1
	global_load_b32 v23, v[23:24], off
	global_load_b32 v27, v[27:28], off offset:4
	s_waitcnt vmcnt(0)
	v_ashrrev_i32_e32 v27, v111, v27
	s_delay_alu instid0(VALU_DEP_1) | instskip(SKIP_3) | instid1(VALU_DEP_4)
	v_lshrrev_b32_e32 v173, 8, v27
	v_and_b32_e32 v28, 15, v27
	v_lshrrev_b32_e32 v183, 16, v27
	v_bfe_u32 v27, v27, 24, 4
	v_and_b32_e32 v173, 15, v173
	s_delay_alu instid0(VALU_DEP_4) | instskip(NEXT) | instid1(VALU_DEP_4)
	v_cvt_f16_u16_e32 v24, v28
	v_and_b32_e32 v183, 15, v183
	s_delay_alu instid0(VALU_DEP_4) | instskip(NEXT) | instid1(VALU_DEP_4)
	v_cvt_f16_u16_e32 v27, v27
	v_cvt_f16_u16_e64 v28, v173
	s_delay_alu instid0(VALU_DEP_1) | instskip(NEXT) | instid1(VALU_DEP_4)
	v_pack_b32_f16 v24, v24, v28
	v_cvt_f16_u16_e64 v28, v183
	s_delay_alu instid0(VALU_DEP_2) | instskip(NEXT) | instid1(VALU_DEP_2)
	v_pk_fma_f16 v24, v23, v24, v23 op_sel:[0,0,1] op_sel_hi:[0,1,1]
	v_pack_b32_f16 v27, v28, v27
	s_delay_alu instid0(VALU_DEP_2) | instskip(NEXT) | instid1(VALU_DEP_2)
	v_pk_fma_f16 v173, v25, v24, v174 op_sel_hi:[0,1,1]
	v_pk_fma_f16 v23, v23, v27, v23 op_sel:[0,0,1] op_sel_hi:[0,1,1]
	s_delay_alu instid0(VALU_DEP_1) | instskip(SKIP_2) | instid1(VALU_DEP_2)
	v_pk_fma_f16 v174, v25, v23, v182 op_sel_hi:[0,1,1]
	v_add_co_u32 v23, vcc_lo, v171, v181
	v_add_co_ci_u32_e32 v24, vcc_lo, v172, v179, vcc_lo
	v_add_co_u32 v27, vcc_lo, v23, v131
	s_delay_alu instid0(VALU_DEP_2)
	v_add_co_ci_u32_e32 v28, vcc_lo, 0, v24, vcc_lo
	s_clause 0x1
	global_load_b32 v23, v[23:24], off
	global_load_b32 v27, v[27:28], off offset:4
	s_waitcnt vmcnt(0)
	v_ashrrev_i32_e32 v27, v111, v27
	s_delay_alu instid0(VALU_DEP_1) | instskip(SKIP_3) | instid1(VALU_DEP_4)
	v_lshrrev_b32_e32 v171, 8, v27
	v_and_b32_e32 v28, 15, v27
	v_lshrrev_b32_e32 v172, 16, v27
	v_bfe_u32 v27, v27, 24, 4
	v_and_b32_e32 v171, 15, v171
	s_delay_alu instid0(VALU_DEP_4) | instskip(NEXT) | instid1(VALU_DEP_4)
	v_cvt_f16_u16_e32 v24, v28
	v_and_b32_e32 v172, 15, v172
	s_delay_alu instid0(VALU_DEP_4) | instskip(NEXT) | instid1(VALU_DEP_4)
	v_cvt_f16_u16_e32 v27, v27
	v_cvt_f16_u16_e64 v28, v171
	v_add_co_u32 v171, vcc_lo, s7, v98
	s_delay_alu instid0(VALU_DEP_2) | instskip(SKIP_2) | instid1(VALU_DEP_3)
	v_pack_b32_f16 v24, v24, v28
	v_cvt_f16_u16_e64 v28, v172
	v_add_co_ci_u32_e32 v172, vcc_lo, s9, v147, vcc_lo
	v_pk_fma_f16 v24, v23, v24, v23 op_sel:[0,0,1] op_sel_hi:[0,1,1]
	s_delay_alu instid0(VALU_DEP_3) | instskip(NEXT) | instid1(VALU_DEP_2)
	v_pack_b32_f16 v27, v28, v27
	v_pk_fma_f16 v29, v25, v24, v29 op_sel_hi:[0,1,1]
	s_delay_alu instid0(VALU_DEP_2) | instskip(NEXT) | instid1(VALU_DEP_1)
	v_pk_fma_f16 v23, v23, v27, v23 op_sel:[0,0,1] op_sel_hi:[0,1,1]
	v_pk_fma_f16 v30, v25, v23, v30 op_sel_hi:[0,1,1]
	v_add_co_u32 v23, vcc_lo, v171, v180
	v_add_co_ci_u32_e32 v24, vcc_lo, v172, v178, vcc_lo
	s_delay_alu instid0(VALU_DEP_2) | instskip(NEXT) | instid1(VALU_DEP_2)
	v_add_co_u32 v27, vcc_lo, v23, v128
	v_add_co_ci_u32_e32 v28, vcc_lo, 0, v24, vcc_lo
	s_clause 0x1
	global_load_b32 v23, v[23:24], off
	global_load_b32 v27, v[27:28], off offset:4
	s_waitcnt vmcnt(0)
	v_ashrrev_i32_e32 v27, v111, v27
	s_delay_alu instid0(VALU_DEP_1) | instskip(SKIP_3) | instid1(VALU_DEP_4)
	v_lshrrev_b32_e32 v182, 8, v27
	v_and_b32_e32 v28, 15, v27
	v_lshrrev_b32_e32 v183, 16, v27
	v_bfe_u32 v27, v27, 24, 4
	v_and_b32_e32 v182, 15, v182
	s_delay_alu instid0(VALU_DEP_4) | instskip(NEXT) | instid1(VALU_DEP_4)
	v_cvt_f16_u16_e32 v24, v28
	v_and_b32_e32 v183, 15, v183
	s_delay_alu instid0(VALU_DEP_4) | instskip(NEXT) | instid1(VALU_DEP_4)
	v_cvt_f16_u16_e32 v27, v27
	v_cvt_f16_u16_e64 v28, v182
	s_delay_alu instid0(VALU_DEP_1) | instskip(NEXT) | instid1(VALU_DEP_4)
	v_pack_b32_f16 v24, v24, v28
	v_cvt_f16_u16_e64 v28, v183
	s_delay_alu instid0(VALU_DEP_2) | instskip(NEXT) | instid1(VALU_DEP_2)
	v_pk_fma_f16 v24, v23, v24, v23 op_sel:[0,0,1] op_sel_hi:[0,1,1]
	v_pack_b32_f16 v27, v28, v27
	s_delay_alu instid0(VALU_DEP_2) | instskip(NEXT) | instid1(VALU_DEP_2)
	v_pk_fma_f16 v173, v25, v24, v173 op_sel:[1,0,0]
	v_pk_fma_f16 v23, v23, v27, v23 op_sel:[0,0,1] op_sel_hi:[0,1,1]
	s_delay_alu instid0(VALU_DEP_1) | instskip(SKIP_2) | instid1(VALU_DEP_2)
	v_pk_fma_f16 v174, v25, v23, v174 op_sel:[1,0,0]
	v_add_co_u32 v23, vcc_lo, v171, v181
	v_add_co_ci_u32_e32 v24, vcc_lo, v172, v179, vcc_lo
	v_add_co_u32 v27, vcc_lo, v23, v131
	s_delay_alu instid0(VALU_DEP_2)
	v_add_co_ci_u32_e32 v28, vcc_lo, 0, v24, vcc_lo
	s_clause 0x1
	global_load_b32 v23, v[23:24], off
	global_load_b32 v27, v[27:28], off offset:4
	s_waitcnt vmcnt(0)
	v_ashrrev_i32_e32 v27, v111, v27
	s_delay_alu instid0(VALU_DEP_1) | instskip(SKIP_3) | instid1(VALU_DEP_4)
	v_lshrrev_b32_e32 v171, 8, v27
	v_and_b32_e32 v28, 15, v27
	v_lshrrev_b32_e32 v172, 16, v27
	v_bfe_u32 v27, v27, 24, 4
	v_and_b32_e32 v171, 15, v171
	s_delay_alu instid0(VALU_DEP_4) | instskip(NEXT) | instid1(VALU_DEP_4)
	v_cvt_f16_u16_e32 v24, v28
	v_and_b32_e32 v172, 15, v172
	s_delay_alu instid0(VALU_DEP_4) | instskip(NEXT) | instid1(VALU_DEP_4)
	v_cvt_f16_u16_e32 v27, v27
	v_cvt_f16_u16_e64 v28, v171
	s_delay_alu instid0(VALU_DEP_1) | instskip(NEXT) | instid1(VALU_DEP_4)
	v_pack_b32_f16 v24, v24, v28
	v_cvt_f16_u16_e64 v28, v172
	s_delay_alu instid0(VALU_DEP_2) | instskip(NEXT) | instid1(VALU_DEP_2)
	v_pk_fma_f16 v24, v23, v24, v23 op_sel:[0,0,1] op_sel_hi:[0,1,1]
	v_pack_b32_f16 v27, v28, v27
	s_delay_alu instid0(VALU_DEP_2) | instskip(NEXT) | instid1(VALU_DEP_2)
	v_pk_fma_f16 v29, v25, v24, v29 op_sel:[1,0,0]
	v_pk_fma_f16 v23, v23, v27, v23 op_sel:[0,0,1] op_sel_hi:[0,1,1]
	s_delay_alu instid0(VALU_DEP_1) | instskip(SKIP_2) | instid1(VALU_DEP_2)
	v_pk_fma_f16 v25, v25, v23, v30 op_sel:[1,0,0]
	v_add_co_u32 v30, vcc_lo, s7, v100
	v_add_co_ci_u32_e32 v171, vcc_lo, s9, v148, vcc_lo
	v_add_co_u32 v23, vcc_lo, v30, v180
	s_delay_alu instid0(VALU_DEP_2) | instskip(NEXT) | instid1(VALU_DEP_2)
	v_add_co_ci_u32_e32 v24, vcc_lo, v171, v178, vcc_lo
	v_add_co_u32 v27, vcc_lo, v23, v128
	s_delay_alu instid0(VALU_DEP_2)
	v_add_co_ci_u32_e32 v28, vcc_lo, 0, v24, vcc_lo
	s_clause 0x1
	global_load_b32 v23, v[23:24], off
	global_load_b32 v27, v[27:28], off offset:4
	s_waitcnt vmcnt(0)
	v_ashrrev_i32_e32 v27, v111, v27
	s_delay_alu instid0(VALU_DEP_1) | instskip(SKIP_3) | instid1(VALU_DEP_4)
	v_lshrrev_b32_e32 v172, 8, v27
	v_and_b32_e32 v28, 15, v27
	v_lshrrev_b32_e32 v182, 16, v27
	v_bfe_u32 v27, v27, 24, 4
	v_and_b32_e32 v172, 15, v172
	s_delay_alu instid0(VALU_DEP_4) | instskip(NEXT) | instid1(VALU_DEP_4)
	v_cvt_f16_u16_e32 v24, v28
	v_and_b32_e32 v182, 15, v182
	s_delay_alu instid0(VALU_DEP_4) | instskip(NEXT) | instid1(VALU_DEP_4)
	v_cvt_f16_u16_e32 v27, v27
	v_cvt_f16_u16_e64 v28, v172
	s_delay_alu instid0(VALU_DEP_1) | instskip(NEXT) | instid1(VALU_DEP_4)
	v_pack_b32_f16 v24, v24, v28
	v_cvt_f16_u16_e64 v28, v182
	s_delay_alu instid0(VALU_DEP_2) | instskip(NEXT) | instid1(VALU_DEP_2)
	v_pk_fma_f16 v24, v23, v24, v23 op_sel:[0,0,1] op_sel_hi:[0,1,1]
	v_pack_b32_f16 v27, v28, v27
	s_delay_alu instid0(VALU_DEP_2) | instskip(NEXT) | instid1(VALU_DEP_2)
	v_pk_fma_f16 v172, v26, v24, v173 op_sel_hi:[0,1,1]
	v_pk_fma_f16 v23, v23, v27, v23 op_sel:[0,0,1] op_sel_hi:[0,1,1]
	s_delay_alu instid0(VALU_DEP_1) | instskip(SKIP_2) | instid1(VALU_DEP_2)
	v_pk_fma_f16 v173, v26, v23, v174 op_sel_hi:[0,1,1]
	v_add_co_u32 v23, vcc_lo, v30, v181
	v_add_co_ci_u32_e32 v24, vcc_lo, v171, v179, vcc_lo
	v_add_co_u32 v27, vcc_lo, v23, v131
	s_delay_alu instid0(VALU_DEP_2)
	v_add_co_ci_u32_e32 v28, vcc_lo, 0, v24, vcc_lo
	s_clause 0x1
	global_load_b32 v23, v[23:24], off
	global_load_b32 v27, v[27:28], off offset:4
	s_waitcnt vmcnt(0)
	v_ashrrev_i32_e32 v27, v111, v27
	s_delay_alu instid0(VALU_DEP_1) | instskip(SKIP_3) | instid1(VALU_DEP_4)
	v_lshrrev_b32_e32 v30, 8, v27
	v_and_b32_e32 v28, 15, v27
	v_lshrrev_b32_e32 v171, 16, v27
	v_bfe_u32 v27, v27, 24, 4
	v_and_b32_e32 v30, 15, v30
	s_delay_alu instid0(VALU_DEP_4) | instskip(NEXT) | instid1(VALU_DEP_4)
	v_cvt_f16_u16_e32 v24, v28
	v_and_b32_e32 v171, 15, v171
	s_delay_alu instid0(VALU_DEP_4) | instskip(NEXT) | instid1(VALU_DEP_4)
	v_cvt_f16_u16_e32 v27, v27
	v_cvt_f16_u16_e32 v28, v30
	v_add_co_u32 v30, vcc_lo, s7, v103
	s_delay_alu instid0(VALU_DEP_2) | instskip(SKIP_2) | instid1(VALU_DEP_3)
	v_pack_b32_f16 v24, v24, v28
	v_cvt_f16_u16_e64 v28, v171
	v_add_co_ci_u32_e32 v171, vcc_lo, s9, v150, vcc_lo
	v_pk_fma_f16 v24, v23, v24, v23 op_sel:[0,0,1] op_sel_hi:[0,1,1]
	s_delay_alu instid0(VALU_DEP_3) | instskip(NEXT) | instid1(VALU_DEP_2)
	v_pack_b32_f16 v27, v28, v27
	v_pk_fma_f16 v29, v26, v24, v29 op_sel_hi:[0,1,1]
	s_delay_alu instid0(VALU_DEP_2) | instskip(NEXT) | instid1(VALU_DEP_1)
	v_pk_fma_f16 v23, v23, v27, v23 op_sel:[0,0,1] op_sel_hi:[0,1,1]
	v_pk_fma_f16 v25, v26, v23, v25 op_sel_hi:[0,1,1]
	v_add_co_u32 v23, vcc_lo, v30, v180
	v_add_co_ci_u32_e32 v24, vcc_lo, v171, v178, vcc_lo
	s_delay_alu instid0(VALU_DEP_2) | instskip(NEXT) | instid1(VALU_DEP_2)
	v_add_co_u32 v27, vcc_lo, v23, v128
	v_add_co_ci_u32_e32 v28, vcc_lo, 0, v24, vcc_lo
	s_clause 0x1
	global_load_b32 v23, v[23:24], off
	global_load_b32 v27, v[27:28], off offset:4
	s_waitcnt vmcnt(0)
	v_ashrrev_i32_e32 v27, v111, v27
	s_delay_alu instid0(VALU_DEP_1) | instskip(SKIP_3) | instid1(VALU_DEP_4)
	v_lshrrev_b32_e32 v174, 8, v27
	v_and_b32_e32 v28, 15, v27
	v_lshrrev_b32_e32 v182, 16, v27
	v_bfe_u32 v27, v27, 24, 4
	v_and_b32_e32 v174, 15, v174
	s_delay_alu instid0(VALU_DEP_4) | instskip(NEXT) | instid1(VALU_DEP_4)
	v_cvt_f16_u16_e32 v24, v28
	v_and_b32_e32 v182, 15, v182
	s_delay_alu instid0(VALU_DEP_4) | instskip(NEXT) | instid1(VALU_DEP_4)
	v_cvt_f16_u16_e32 v27, v27
	v_cvt_f16_u16_e64 v28, v174
	s_delay_alu instid0(VALU_DEP_1) | instskip(NEXT) | instid1(VALU_DEP_4)
	v_pack_b32_f16 v24, v24, v28
	v_cvt_f16_u16_e64 v28, v182
	s_delay_alu instid0(VALU_DEP_2) | instskip(NEXT) | instid1(VALU_DEP_2)
	v_pk_fma_f16 v24, v23, v24, v23 op_sel:[0,0,1] op_sel_hi:[0,1,1]
	v_pack_b32_f16 v27, v28, v27
	s_delay_alu instid0(VALU_DEP_2) | instskip(NEXT) | instid1(VALU_DEP_2)
	v_pk_fma_f16 v172, v26, v24, v172 op_sel:[1,0,0]
	v_pk_fma_f16 v23, v23, v27, v23 op_sel:[0,0,1] op_sel_hi:[0,1,1]
	s_delay_alu instid0(VALU_DEP_1) | instskip(SKIP_2) | instid1(VALU_DEP_2)
	v_pk_fma_f16 v173, v26, v23, v173 op_sel:[1,0,0]
	v_add_co_u32 v23, vcc_lo, v30, v181
	v_add_co_ci_u32_e32 v24, vcc_lo, v171, v179, vcc_lo
	v_add_co_u32 v27, vcc_lo, v23, v131
	s_delay_alu instid0(VALU_DEP_2)
	v_add_co_ci_u32_e32 v28, vcc_lo, 0, v24, vcc_lo
	s_clause 0x1
	global_load_b32 v23, v[23:24], off
	global_load_b32 v27, v[27:28], off offset:4
	s_waitcnt vmcnt(0)
	v_ashrrev_i32_e32 v27, v111, v27
	s_delay_alu instid0(VALU_DEP_1) | instskip(SKIP_3) | instid1(VALU_DEP_4)
	v_lshrrev_b32_e32 v30, 8, v27
	v_and_b32_e32 v28, 15, v27
	v_lshrrev_b32_e32 v171, 16, v27
	v_bfe_u32 v27, v27, 24, 4
	v_and_b32_e32 v30, 15, v30
	s_delay_alu instid0(VALU_DEP_4) | instskip(NEXT) | instid1(VALU_DEP_4)
	v_cvt_f16_u16_e32 v24, v28
	v_and_b32_e32 v171, 15, v171
	s_delay_alu instid0(VALU_DEP_4) | instskip(NEXT) | instid1(VALU_DEP_4)
	v_cvt_f16_u16_e32 v27, v27
	v_cvt_f16_u16_e32 v28, v30
	s_delay_alu instid0(VALU_DEP_1) | instskip(NEXT) | instid1(VALU_DEP_4)
	v_pack_b32_f16 v24, v24, v28
	v_cvt_f16_u16_e64 v28, v171
	s_delay_alu instid0(VALU_DEP_2) | instskip(NEXT) | instid1(VALU_DEP_2)
	v_pk_fma_f16 v24, v23, v24, v23 op_sel:[0,0,1] op_sel_hi:[0,1,1]
	v_pack_b32_f16 v27, v28, v27
	s_delay_alu instid0(VALU_DEP_1) | instskip(NEXT) | instid1(VALU_DEP_3)
	v_pk_fma_f16 v23, v23, v27, v23 op_sel:[0,0,1] op_sel_hi:[0,1,1]
	v_pk_fma_f16 v27, v26, v24, v29 op_sel:[1,0,0]
	v_add_co_u32 v29, vcc_lo, s7, v105
	v_add_co_ci_u32_e32 v30, vcc_lo, s9, v151, vcc_lo
	s_delay_alu instid0(VALU_DEP_4) | instskip(NEXT) | instid1(VALU_DEP_3)
	v_pk_fma_f16 v28, v26, v23, v25 op_sel:[1,0,0]
	v_add_co_u32 v23, vcc_lo, v29, v180
	s_delay_alu instid0(VALU_DEP_3) | instskip(NEXT) | instid1(VALU_DEP_2)
	v_add_co_ci_u32_e32 v24, vcc_lo, v30, v178, vcc_lo
	v_add_co_u32 v25, vcc_lo, v23, v128
	s_delay_alu instid0(VALU_DEP_2)
	v_add_co_ci_u32_e32 v26, vcc_lo, 0, v24, vcc_lo
	s_clause 0x1
	global_load_b32 v23, v[23:24], off
	global_load_b32 v25, v[25:26], off offset:4
	s_waitcnt vmcnt(0)
	v_ashrrev_i32_e32 v25, v111, v25
	s_delay_alu instid0(VALU_DEP_1) | instskip(SKIP_3) | instid1(VALU_DEP_4)
	v_lshrrev_b32_e32 v171, 8, v25
	v_and_b32_e32 v26, 15, v25
	v_lshrrev_b32_e32 v174, 16, v25
	v_bfe_u32 v25, v25, 24, 4
	v_and_b32_e32 v171, 15, v171
	s_delay_alu instid0(VALU_DEP_4) | instskip(NEXT) | instid1(VALU_DEP_4)
	v_cvt_f16_u16_e32 v24, v26
	v_and_b32_e32 v174, 15, v174
	s_delay_alu instid0(VALU_DEP_4) | instskip(NEXT) | instid1(VALU_DEP_4)
	v_cvt_f16_u16_e32 v25, v25
	v_cvt_f16_u16_e64 v26, v171
	s_delay_alu instid0(VALU_DEP_1) | instskip(NEXT) | instid1(VALU_DEP_4)
	v_pack_b32_f16 v24, v24, v26
	v_cvt_f16_u16_e64 v26, v174
	s_delay_alu instid0(VALU_DEP_2) | instskip(NEXT) | instid1(VALU_DEP_2)
	v_pk_fma_f16 v24, v23, v24, v23 op_sel:[0,0,1] op_sel_hi:[0,1,1]
	v_pack_b32_f16 v25, v26, v25
	s_waitcnt lgkmcnt(1)
	s_delay_alu instid0(VALU_DEP_2) | instskip(NEXT) | instid1(VALU_DEP_2)
	v_pk_fma_f16 v171, v19, v24, v172 op_sel_hi:[0,1,1]
	v_pk_fma_f16 v23, v23, v25, v23 op_sel:[0,0,1] op_sel_hi:[0,1,1]
	s_delay_alu instid0(VALU_DEP_1) | instskip(SKIP_2) | instid1(VALU_DEP_2)
	v_pk_fma_f16 v172, v19, v23, v173 op_sel_hi:[0,1,1]
	v_add_co_u32 v23, vcc_lo, v29, v181
	v_add_co_ci_u32_e32 v24, vcc_lo, v30, v179, vcc_lo
	v_add_co_u32 v25, vcc_lo, v23, v131
	s_delay_alu instid0(VALU_DEP_2)
	v_add_co_ci_u32_e32 v26, vcc_lo, 0, v24, vcc_lo
	s_clause 0x1
	global_load_b32 v23, v[23:24], off
	global_load_b32 v25, v[25:26], off offset:4
	s_waitcnt vmcnt(0)
	v_ashrrev_i32_e32 v25, v111, v25
	s_delay_alu instid0(VALU_DEP_1) | instskip(SKIP_3) | instid1(VALU_DEP_4)
	v_lshrrev_b32_e32 v29, 8, v25
	v_and_b32_e32 v26, 15, v25
	v_lshrrev_b32_e32 v30, 16, v25
	v_bfe_u32 v25, v25, 24, 4
	v_and_b32_e32 v29, 15, v29
	s_delay_alu instid0(VALU_DEP_4) | instskip(NEXT) | instid1(VALU_DEP_4)
	v_cvt_f16_u16_e32 v24, v26
	v_and_b32_e32 v30, 15, v30
	s_delay_alu instid0(VALU_DEP_4) | instskip(NEXT) | instid1(VALU_DEP_4)
	v_cvt_f16_u16_e32 v25, v25
	v_cvt_f16_u16_e32 v26, v29
	v_add_co_u32 v29, vcc_lo, s7, v109
	s_delay_alu instid0(VALU_DEP_2) | instskip(SKIP_2) | instid1(VALU_DEP_3)
	v_pack_b32_f16 v24, v24, v26
	v_cvt_f16_u16_e32 v26, v30
	v_add_co_ci_u32_e32 v30, vcc_lo, s9, v152, vcc_lo
	v_pk_fma_f16 v24, v23, v24, v23 op_sel:[0,0,1] op_sel_hi:[0,1,1]
	s_delay_alu instid0(VALU_DEP_3) | instskip(NEXT) | instid1(VALU_DEP_2)
	v_pack_b32_f16 v25, v26, v25
	v_pk_fma_f16 v27, v19, v24, v27 op_sel_hi:[0,1,1]
	s_delay_alu instid0(VALU_DEP_2) | instskip(NEXT) | instid1(VALU_DEP_1)
	v_pk_fma_f16 v23, v23, v25, v23 op_sel:[0,0,1] op_sel_hi:[0,1,1]
	v_pk_fma_f16 v28, v19, v23, v28 op_sel_hi:[0,1,1]
	v_add_co_u32 v23, vcc_lo, v29, v180
	v_add_co_ci_u32_e32 v24, vcc_lo, v30, v178, vcc_lo
	s_delay_alu instid0(VALU_DEP_2) | instskip(NEXT) | instid1(VALU_DEP_2)
	v_add_co_u32 v25, vcc_lo, v23, v128
	v_add_co_ci_u32_e32 v26, vcc_lo, 0, v24, vcc_lo
	s_clause 0x1
	global_load_b32 v23, v[23:24], off
	global_load_b32 v25, v[25:26], off offset:4
	s_waitcnt vmcnt(0)
	v_ashrrev_i32_e32 v25, v111, v25
	s_delay_alu instid0(VALU_DEP_1) | instskip(SKIP_3) | instid1(VALU_DEP_4)
	v_lshrrev_b32_e32 v173, 8, v25
	v_and_b32_e32 v26, 15, v25
	v_lshrrev_b32_e32 v174, 16, v25
	v_bfe_u32 v25, v25, 24, 4
	v_and_b32_e32 v173, 15, v173
	s_delay_alu instid0(VALU_DEP_4) | instskip(NEXT) | instid1(VALU_DEP_4)
	v_cvt_f16_u16_e32 v24, v26
	v_and_b32_e32 v174, 15, v174
	s_delay_alu instid0(VALU_DEP_4) | instskip(NEXT) | instid1(VALU_DEP_4)
	v_cvt_f16_u16_e32 v25, v25
	v_cvt_f16_u16_e64 v26, v173
	s_delay_alu instid0(VALU_DEP_1) | instskip(NEXT) | instid1(VALU_DEP_4)
	v_pack_b32_f16 v24, v24, v26
	v_cvt_f16_u16_e64 v26, v174
	s_delay_alu instid0(VALU_DEP_2) | instskip(NEXT) | instid1(VALU_DEP_2)
	v_pk_fma_f16 v24, v23, v24, v23 op_sel:[0,0,1] op_sel_hi:[0,1,1]
	v_pack_b32_f16 v25, v26, v25
	s_delay_alu instid0(VALU_DEP_2) | instskip(NEXT) | instid1(VALU_DEP_2)
	v_pk_fma_f16 v171, v19, v24, v171 op_sel:[1,0,0]
	v_pk_fma_f16 v23, v23, v25, v23 op_sel:[0,0,1] op_sel_hi:[0,1,1]
	s_delay_alu instid0(VALU_DEP_1) | instskip(SKIP_2) | instid1(VALU_DEP_2)
	v_pk_fma_f16 v172, v19, v23, v172 op_sel:[1,0,0]
	v_add_co_u32 v23, vcc_lo, v29, v181
	v_add_co_ci_u32_e32 v24, vcc_lo, v30, v179, vcc_lo
	v_add_co_u32 v25, vcc_lo, v23, v131
	s_delay_alu instid0(VALU_DEP_2)
	v_add_co_ci_u32_e32 v26, vcc_lo, 0, v24, vcc_lo
	s_clause 0x1
	global_load_b32 v23, v[23:24], off
	global_load_b32 v25, v[25:26], off offset:4
	s_waitcnt vmcnt(0)
	v_ashrrev_i32_e32 v25, v111, v25
	s_delay_alu instid0(VALU_DEP_1) | instskip(SKIP_3) | instid1(VALU_DEP_4)
	v_lshrrev_b32_e32 v29, 8, v25
	v_and_b32_e32 v26, 15, v25
	v_lshrrev_b32_e32 v30, 16, v25
	v_bfe_u32 v25, v25, 24, 4
	v_and_b32_e32 v29, 15, v29
	s_delay_alu instid0(VALU_DEP_4) | instskip(NEXT) | instid1(VALU_DEP_4)
	v_cvt_f16_u16_e32 v24, v26
	v_and_b32_e32 v30, 15, v30
	s_delay_alu instid0(VALU_DEP_4) | instskip(NEXT) | instid1(VALU_DEP_4)
	v_cvt_f16_u16_e32 v25, v25
	v_cvt_f16_u16_e32 v26, v29
	s_delay_alu instid0(VALU_DEP_1) | instskip(NEXT) | instid1(VALU_DEP_4)
	v_pack_b32_f16 v24, v24, v26
	v_cvt_f16_u16_e32 v26, v30
	s_delay_alu instid0(VALU_DEP_2) | instskip(NEXT) | instid1(VALU_DEP_2)
	v_pk_fma_f16 v24, v23, v24, v23 op_sel:[0,0,1] op_sel_hi:[0,1,1]
	v_pack_b32_f16 v25, v26, v25
	s_delay_alu instid0(VALU_DEP_2) | instskip(NEXT) | instid1(VALU_DEP_2)
	v_pk_fma_f16 v27, v19, v24, v27 op_sel:[1,0,0]
	v_pk_fma_f16 v23, v23, v25, v23 op_sel:[0,0,1] op_sel_hi:[0,1,1]
	s_delay_alu instid0(VALU_DEP_1) | instskip(SKIP_2) | instid1(VALU_DEP_2)
	v_pk_fma_f16 v19, v19, v23, v28 op_sel:[1,0,0]
	v_add_co_u32 v28, vcc_lo, s7, v112
	v_add_co_ci_u32_e32 v29, vcc_lo, s9, v153, vcc_lo
	v_add_co_u32 v23, vcc_lo, v28, v180
	s_delay_alu instid0(VALU_DEP_2) | instskip(NEXT) | instid1(VALU_DEP_2)
	v_add_co_ci_u32_e32 v24, vcc_lo, v29, v178, vcc_lo
	v_add_co_u32 v25, vcc_lo, v23, v128
	s_delay_alu instid0(VALU_DEP_2)
	v_add_co_ci_u32_e32 v26, vcc_lo, 0, v24, vcc_lo
	s_clause 0x1
	global_load_b32 v23, v[23:24], off
	global_load_b32 v25, v[25:26], off offset:4
	s_waitcnt vmcnt(0)
	v_ashrrev_i32_e32 v25, v111, v25
	s_delay_alu instid0(VALU_DEP_1) | instskip(SKIP_3) | instid1(VALU_DEP_4)
	v_lshrrev_b32_e32 v30, 8, v25
	v_and_b32_e32 v26, 15, v25
	v_lshrrev_b32_e32 v173, 16, v25
	v_bfe_u32 v25, v25, 24, 4
	v_and_b32_e32 v30, 15, v30
	s_delay_alu instid0(VALU_DEP_4) | instskip(NEXT) | instid1(VALU_DEP_4)
	v_cvt_f16_u16_e32 v24, v26
	v_and_b32_e32 v173, 15, v173
	s_delay_alu instid0(VALU_DEP_4) | instskip(NEXT) | instid1(VALU_DEP_4)
	v_cvt_f16_u16_e32 v25, v25
	v_cvt_f16_u16_e32 v26, v30
	s_delay_alu instid0(VALU_DEP_1) | instskip(NEXT) | instid1(VALU_DEP_4)
	v_pack_b32_f16 v24, v24, v26
	v_cvt_f16_u16_e64 v26, v173
	s_delay_alu instid0(VALU_DEP_2) | instskip(NEXT) | instid1(VALU_DEP_2)
	v_pk_fma_f16 v24, v23, v24, v23 op_sel:[0,0,1] op_sel_hi:[0,1,1]
	v_pack_b32_f16 v25, v26, v25
	s_delay_alu instid0(VALU_DEP_2) | instskip(NEXT) | instid1(VALU_DEP_2)
	v_pk_fma_f16 v30, v20, v24, v171 op_sel_hi:[0,1,1]
	v_pk_fma_f16 v23, v23, v25, v23 op_sel:[0,0,1] op_sel_hi:[0,1,1]
	s_delay_alu instid0(VALU_DEP_1) | instskip(SKIP_2) | instid1(VALU_DEP_2)
	v_pk_fma_f16 v171, v20, v23, v172 op_sel_hi:[0,1,1]
	v_add_co_u32 v23, vcc_lo, v28, v181
	v_add_co_ci_u32_e32 v24, vcc_lo, v29, v179, vcc_lo
	v_add_co_u32 v25, vcc_lo, v23, v131
	s_delay_alu instid0(VALU_DEP_2)
	v_add_co_ci_u32_e32 v26, vcc_lo, 0, v24, vcc_lo
	s_clause 0x1
	global_load_b32 v23, v[23:24], off
	global_load_b32 v25, v[25:26], off offset:4
	s_waitcnt vmcnt(0)
	v_ashrrev_i32_e32 v25, v111, v25
	s_delay_alu instid0(VALU_DEP_1) | instskip(SKIP_3) | instid1(VALU_DEP_4)
	v_lshrrev_b32_e32 v28, 8, v25
	v_and_b32_e32 v26, 15, v25
	v_lshrrev_b32_e32 v29, 16, v25
	v_bfe_u32 v25, v25, 24, 4
	v_and_b32_e32 v28, 15, v28
	s_delay_alu instid0(VALU_DEP_4) | instskip(NEXT) | instid1(VALU_DEP_4)
	v_cvt_f16_u16_e32 v24, v26
	v_and_b32_e32 v29, 15, v29
	s_delay_alu instid0(VALU_DEP_4) | instskip(NEXT) | instid1(VALU_DEP_4)
	v_cvt_f16_u16_e32 v25, v25
	v_cvt_f16_u16_e32 v26, v28
	v_add_co_u32 v28, vcc_lo, s7, v115
	s_delay_alu instid0(VALU_DEP_2) | instskip(SKIP_2) | instid1(VALU_DEP_3)
	v_pack_b32_f16 v24, v24, v26
	v_cvt_f16_u16_e32 v26, v29
	v_add_co_ci_u32_e32 v29, vcc_lo, s9, v155, vcc_lo
	v_pk_fma_f16 v24, v23, v24, v23 op_sel:[0,0,1] op_sel_hi:[0,1,1]
	s_delay_alu instid0(VALU_DEP_3) | instskip(NEXT) | instid1(VALU_DEP_2)
	v_pack_b32_f16 v25, v26, v25
	v_pk_fma_f16 v27, v20, v24, v27 op_sel_hi:[0,1,1]
	s_delay_alu instid0(VALU_DEP_2) | instskip(NEXT) | instid1(VALU_DEP_1)
	v_pk_fma_f16 v23, v23, v25, v23 op_sel:[0,0,1] op_sel_hi:[0,1,1]
	v_pk_fma_f16 v19, v20, v23, v19 op_sel_hi:[0,1,1]
	v_add_co_u32 v23, vcc_lo, v28, v180
	v_add_co_ci_u32_e32 v24, vcc_lo, v29, v178, vcc_lo
	s_delay_alu instid0(VALU_DEP_2) | instskip(NEXT) | instid1(VALU_DEP_2)
	v_add_co_u32 v25, vcc_lo, v23, v128
	v_add_co_ci_u32_e32 v26, vcc_lo, 0, v24, vcc_lo
	s_clause 0x1
	global_load_b32 v23, v[23:24], off
	global_load_b32 v25, v[25:26], off offset:4
	s_waitcnt vmcnt(0)
	v_ashrrev_i32_e32 v25, v111, v25
	s_delay_alu instid0(VALU_DEP_1) | instskip(SKIP_3) | instid1(VALU_DEP_4)
	v_lshrrev_b32_e32 v172, 8, v25
	v_and_b32_e32 v26, 15, v25
	v_lshrrev_b32_e32 v173, 16, v25
	v_bfe_u32 v25, v25, 24, 4
	v_and_b32_e32 v172, 15, v172
	s_delay_alu instid0(VALU_DEP_4) | instskip(NEXT) | instid1(VALU_DEP_4)
	v_cvt_f16_u16_e32 v24, v26
	v_and_b32_e32 v173, 15, v173
	s_delay_alu instid0(VALU_DEP_4) | instskip(NEXT) | instid1(VALU_DEP_4)
	v_cvt_f16_u16_e32 v25, v25
	v_cvt_f16_u16_e64 v26, v172
	s_delay_alu instid0(VALU_DEP_1) | instskip(NEXT) | instid1(VALU_DEP_4)
	v_pack_b32_f16 v24, v24, v26
	v_cvt_f16_u16_e64 v26, v173
	s_delay_alu instid0(VALU_DEP_2) | instskip(NEXT) | instid1(VALU_DEP_2)
	v_pk_fma_f16 v24, v23, v24, v23 op_sel:[0,0,1] op_sel_hi:[0,1,1]
	v_pack_b32_f16 v25, v26, v25
	s_delay_alu instid0(VALU_DEP_2) | instskip(NEXT) | instid1(VALU_DEP_2)
	v_pk_fma_f16 v30, v20, v24, v30 op_sel:[1,0,0]
	v_pk_fma_f16 v23, v23, v25, v23 op_sel:[0,0,1] op_sel_hi:[0,1,1]
	s_delay_alu instid0(VALU_DEP_1) | instskip(SKIP_2) | instid1(VALU_DEP_2)
	v_pk_fma_f16 v171, v20, v23, v171 op_sel:[1,0,0]
	v_add_co_u32 v23, vcc_lo, v28, v181
	v_add_co_ci_u32_e32 v24, vcc_lo, v29, v179, vcc_lo
	v_add_co_u32 v25, vcc_lo, v23, v131
	s_delay_alu instid0(VALU_DEP_2)
	v_add_co_ci_u32_e32 v26, vcc_lo, 0, v24, vcc_lo
	s_clause 0x1
	global_load_b32 v23, v[23:24], off
	global_load_b32 v25, v[25:26], off offset:4
	s_waitcnt vmcnt(0)
	v_ashrrev_i32_e32 v25, v111, v25
	s_delay_alu instid0(VALU_DEP_1) | instskip(SKIP_3) | instid1(VALU_DEP_4)
	v_lshrrev_b32_e32 v28, 8, v25
	v_and_b32_e32 v26, 15, v25
	v_lshrrev_b32_e32 v29, 16, v25
	v_bfe_u32 v25, v25, 24, 4
	v_and_b32_e32 v28, 15, v28
	s_delay_alu instid0(VALU_DEP_4) | instskip(NEXT) | instid1(VALU_DEP_4)
	v_cvt_f16_u16_e32 v24, v26
	v_and_b32_e32 v29, 15, v29
	s_delay_alu instid0(VALU_DEP_4) | instskip(NEXT) | instid1(VALU_DEP_4)
	v_cvt_f16_u16_e32 v25, v25
	v_cvt_f16_u16_e32 v26, v28
	s_delay_alu instid0(VALU_DEP_1) | instskip(NEXT) | instid1(VALU_DEP_4)
	v_pack_b32_f16 v24, v24, v26
	v_cvt_f16_u16_e32 v26, v29
	s_delay_alu instid0(VALU_DEP_2) | instskip(NEXT) | instid1(VALU_DEP_2)
	v_pk_fma_f16 v24, v23, v24, v23 op_sel:[0,0,1] op_sel_hi:[0,1,1]
	v_pack_b32_f16 v25, v26, v25
	s_delay_alu instid0(VALU_DEP_1) | instskip(NEXT) | instid1(VALU_DEP_3)
	v_pk_fma_f16 v23, v23, v25, v23 op_sel:[0,0,1] op_sel_hi:[0,1,1]
	v_pk_fma_f16 v25, v20, v24, v27 op_sel:[1,0,0]
	v_add_co_u32 v27, vcc_lo, s7, v117
	v_add_co_ci_u32_e32 v28, vcc_lo, s9, v156, vcc_lo
	s_delay_alu instid0(VALU_DEP_4) | instskip(NEXT) | instid1(VALU_DEP_3)
	v_pk_fma_f16 v26, v20, v23, v19 op_sel:[1,0,0]
	v_add_co_u32 v19, vcc_lo, v27, v180
	s_delay_alu instid0(VALU_DEP_3) | instskip(NEXT) | instid1(VALU_DEP_2)
	v_add_co_ci_u32_e32 v20, vcc_lo, v28, v178, vcc_lo
	v_add_co_u32 v23, vcc_lo, v19, v128
	s_delay_alu instid0(VALU_DEP_2)
	v_add_co_ci_u32_e32 v24, vcc_lo, 0, v20, vcc_lo
	s_clause 0x1
	global_load_b32 v19, v[19:20], off
	global_load_b32 v23, v[23:24], off offset:4
	s_waitcnt vmcnt(0)
	v_ashrrev_i32_e32 v23, v111, v23
	s_delay_alu instid0(VALU_DEP_1) | instskip(SKIP_3) | instid1(VALU_DEP_4)
	v_lshrrev_b32_e32 v29, 8, v23
	v_and_b32_e32 v24, 15, v23
	v_lshrrev_b32_e32 v172, 16, v23
	v_bfe_u32 v23, v23, 24, 4
	v_and_b32_e32 v29, 15, v29
	s_delay_alu instid0(VALU_DEP_4) | instskip(NEXT) | instid1(VALU_DEP_4)
	v_cvt_f16_u16_e32 v20, v24
	v_and_b32_e32 v172, 15, v172
	s_delay_alu instid0(VALU_DEP_4) | instskip(NEXT) | instid1(VALU_DEP_4)
	v_cvt_f16_u16_e32 v23, v23
	v_cvt_f16_u16_e32 v24, v29
	s_delay_alu instid0(VALU_DEP_1) | instskip(NEXT) | instid1(VALU_DEP_4)
	v_pack_b32_f16 v20, v20, v24
	v_cvt_f16_u16_e64 v24, v172
	s_delay_alu instid0(VALU_DEP_2) | instskip(NEXT) | instid1(VALU_DEP_2)
	v_pk_fma_f16 v20, v19, v20, v19 op_sel:[0,0,1] op_sel_hi:[0,1,1]
	v_pack_b32_f16 v23, v24, v23
	s_delay_alu instid0(VALU_DEP_2) | instskip(NEXT) | instid1(VALU_DEP_2)
	v_pk_fma_f16 v29, v21, v20, v30 op_sel_hi:[0,1,1]
	v_pk_fma_f16 v19, v19, v23, v19 op_sel:[0,0,1] op_sel_hi:[0,1,1]
	s_delay_alu instid0(VALU_DEP_1) | instskip(SKIP_2) | instid1(VALU_DEP_2)
	v_pk_fma_f16 v30, v21, v19, v171 op_sel_hi:[0,1,1]
	v_add_co_u32 v19, vcc_lo, v27, v181
	v_add_co_ci_u32_e32 v20, vcc_lo, v28, v179, vcc_lo
	v_add_co_u32 v23, vcc_lo, v19, v131
	s_delay_alu instid0(VALU_DEP_2)
	v_add_co_ci_u32_e32 v24, vcc_lo, 0, v20, vcc_lo
	s_clause 0x1
	global_load_b32 v19, v[19:20], off
	global_load_b32 v23, v[23:24], off offset:4
	s_waitcnt vmcnt(0)
	v_ashrrev_i32_e32 v23, v111, v23
	s_delay_alu instid0(VALU_DEP_1) | instskip(SKIP_3) | instid1(VALU_DEP_4)
	v_lshrrev_b32_e32 v27, 8, v23
	v_and_b32_e32 v24, 15, v23
	v_lshrrev_b32_e32 v28, 16, v23
	v_bfe_u32 v23, v23, 24, 4
	v_and_b32_e32 v27, 15, v27
	s_delay_alu instid0(VALU_DEP_4) | instskip(NEXT) | instid1(VALU_DEP_4)
	v_cvt_f16_u16_e32 v20, v24
	v_and_b32_e32 v28, 15, v28
	s_delay_alu instid0(VALU_DEP_4) | instskip(NEXT) | instid1(VALU_DEP_4)
	v_cvt_f16_u16_e32 v23, v23
	v_cvt_f16_u16_e32 v24, v27
	v_add_co_u32 v27, vcc_lo, s7, v118
	s_delay_alu instid0(VALU_DEP_2) | instskip(SKIP_2) | instid1(VALU_DEP_3)
	v_pack_b32_f16 v20, v20, v24
	v_cvt_f16_u16_e32 v24, v28
	v_add_co_ci_u32_e32 v28, vcc_lo, s9, v157, vcc_lo
	v_pk_fma_f16 v20, v19, v20, v19 op_sel:[0,0,1] op_sel_hi:[0,1,1]
	s_delay_alu instid0(VALU_DEP_3) | instskip(NEXT) | instid1(VALU_DEP_2)
	v_pack_b32_f16 v23, v24, v23
	v_pk_fma_f16 v25, v21, v20, v25 op_sel_hi:[0,1,1]
	s_delay_alu instid0(VALU_DEP_2) | instskip(NEXT) | instid1(VALU_DEP_1)
	v_pk_fma_f16 v19, v19, v23, v19 op_sel:[0,0,1] op_sel_hi:[0,1,1]
	v_pk_fma_f16 v26, v21, v19, v26 op_sel_hi:[0,1,1]
	v_add_co_u32 v19, vcc_lo, v27, v180
	v_add_co_ci_u32_e32 v20, vcc_lo, v28, v178, vcc_lo
	s_delay_alu instid0(VALU_DEP_2) | instskip(NEXT) | instid1(VALU_DEP_2)
	v_add_co_u32 v23, vcc_lo, v19, v128
	v_add_co_ci_u32_e32 v24, vcc_lo, 0, v20, vcc_lo
	s_clause 0x1
	global_load_b32 v19, v[19:20], off
	global_load_b32 v23, v[23:24], off offset:4
	s_waitcnt vmcnt(0)
	v_ashrrev_i32_e32 v23, v111, v23
	s_delay_alu instid0(VALU_DEP_1) | instskip(SKIP_3) | instid1(VALU_DEP_4)
	v_lshrrev_b32_e32 v171, 8, v23
	v_and_b32_e32 v24, 15, v23
	v_lshrrev_b32_e32 v172, 16, v23
	v_bfe_u32 v23, v23, 24, 4
	v_and_b32_e32 v171, 15, v171
	s_delay_alu instid0(VALU_DEP_4) | instskip(NEXT) | instid1(VALU_DEP_4)
	v_cvt_f16_u16_e32 v20, v24
	v_and_b32_e32 v172, 15, v172
	s_delay_alu instid0(VALU_DEP_4) | instskip(NEXT) | instid1(VALU_DEP_4)
	v_cvt_f16_u16_e32 v23, v23
	v_cvt_f16_u16_e64 v24, v171
	s_delay_alu instid0(VALU_DEP_1) | instskip(NEXT) | instid1(VALU_DEP_4)
	v_pack_b32_f16 v20, v20, v24
	v_cvt_f16_u16_e64 v24, v172
	s_delay_alu instid0(VALU_DEP_2) | instskip(NEXT) | instid1(VALU_DEP_2)
	v_pk_fma_f16 v20, v19, v20, v19 op_sel:[0,0,1] op_sel_hi:[0,1,1]
	v_pack_b32_f16 v23, v24, v23
	s_delay_alu instid0(VALU_DEP_2) | instskip(NEXT) | instid1(VALU_DEP_2)
	v_pk_fma_f16 v29, v21, v20, v29 op_sel:[1,0,0]
	v_pk_fma_f16 v19, v19, v23, v19 op_sel:[0,0,1] op_sel_hi:[0,1,1]
	s_delay_alu instid0(VALU_DEP_1) | instskip(SKIP_2) | instid1(VALU_DEP_2)
	v_pk_fma_f16 v30, v21, v19, v30 op_sel:[1,0,0]
	v_add_co_u32 v19, vcc_lo, v27, v181
	v_add_co_ci_u32_e32 v20, vcc_lo, v28, v179, vcc_lo
	v_add_co_u32 v23, vcc_lo, v19, v131
	s_delay_alu instid0(VALU_DEP_2)
	v_add_co_ci_u32_e32 v24, vcc_lo, 0, v20, vcc_lo
	s_clause 0x1
	global_load_b32 v19, v[19:20], off
	global_load_b32 v23, v[23:24], off offset:4
	s_waitcnt vmcnt(0)
	v_ashrrev_i32_e32 v23, v111, v23
	s_delay_alu instid0(VALU_DEP_1) | instskip(SKIP_3) | instid1(VALU_DEP_4)
	v_lshrrev_b32_e32 v27, 8, v23
	v_and_b32_e32 v24, 15, v23
	v_lshrrev_b32_e32 v28, 16, v23
	v_bfe_u32 v23, v23, 24, 4
	v_and_b32_e32 v27, 15, v27
	s_delay_alu instid0(VALU_DEP_4) | instskip(NEXT) | instid1(VALU_DEP_4)
	v_cvt_f16_u16_e32 v20, v24
	v_and_b32_e32 v28, 15, v28
	s_delay_alu instid0(VALU_DEP_4) | instskip(NEXT) | instid1(VALU_DEP_4)
	v_cvt_f16_u16_e32 v23, v23
	v_cvt_f16_u16_e32 v24, v27
	s_delay_alu instid0(VALU_DEP_1) | instskip(NEXT) | instid1(VALU_DEP_4)
	v_pack_b32_f16 v20, v20, v24
	v_cvt_f16_u16_e32 v24, v28
	s_delay_alu instid0(VALU_DEP_2) | instskip(NEXT) | instid1(VALU_DEP_2)
	v_pk_fma_f16 v20, v19, v20, v19 op_sel:[0,0,1] op_sel_hi:[0,1,1]
	v_pack_b32_f16 v23, v24, v23
	s_delay_alu instid0(VALU_DEP_2) | instskip(NEXT) | instid1(VALU_DEP_2)
	v_pk_fma_f16 v25, v21, v20, v25 op_sel:[1,0,0]
	v_pk_fma_f16 v19, v19, v23, v19 op_sel:[0,0,1] op_sel_hi:[0,1,1]
	s_delay_alu instid0(VALU_DEP_1) | instskip(SKIP_2) | instid1(VALU_DEP_2)
	v_pk_fma_f16 v21, v21, v19, v26 op_sel:[1,0,0]
	v_add_co_u32 v26, vcc_lo, s7, v120
	v_add_co_ci_u32_e32 v27, vcc_lo, s9, v158, vcc_lo
	v_add_co_u32 v19, vcc_lo, v26, v180
	s_delay_alu instid0(VALU_DEP_2) | instskip(NEXT) | instid1(VALU_DEP_2)
	v_add_co_ci_u32_e32 v20, vcc_lo, v27, v178, vcc_lo
	v_add_co_u32 v23, vcc_lo, v19, v128
	s_delay_alu instid0(VALU_DEP_2)
	v_add_co_ci_u32_e32 v24, vcc_lo, 0, v20, vcc_lo
	s_clause 0x1
	global_load_b32 v19, v[19:20], off
	global_load_b32 v23, v[23:24], off offset:4
	s_waitcnt vmcnt(0)
	v_ashrrev_i32_e32 v23, v111, v23
	s_delay_alu instid0(VALU_DEP_1) | instskip(SKIP_3) | instid1(VALU_DEP_4)
	v_lshrrev_b32_e32 v28, 8, v23
	v_and_b32_e32 v24, 15, v23
	v_lshrrev_b32_e32 v171, 16, v23
	v_bfe_u32 v23, v23, 24, 4
	v_and_b32_e32 v28, 15, v28
	s_delay_alu instid0(VALU_DEP_4) | instskip(NEXT) | instid1(VALU_DEP_4)
	v_cvt_f16_u16_e32 v20, v24
	v_and_b32_e32 v171, 15, v171
	s_delay_alu instid0(VALU_DEP_4) | instskip(NEXT) | instid1(VALU_DEP_4)
	v_cvt_f16_u16_e32 v23, v23
	v_cvt_f16_u16_e32 v24, v28
	s_delay_alu instid0(VALU_DEP_1) | instskip(NEXT) | instid1(VALU_DEP_4)
	v_pack_b32_f16 v20, v20, v24
	v_cvt_f16_u16_e64 v24, v171
	s_delay_alu instid0(VALU_DEP_2) | instskip(NEXT) | instid1(VALU_DEP_2)
	v_pk_fma_f16 v20, v19, v20, v19 op_sel:[0,0,1] op_sel_hi:[0,1,1]
	v_pack_b32_f16 v23, v24, v23
	s_delay_alu instid0(VALU_DEP_2) | instskip(NEXT) | instid1(VALU_DEP_2)
	v_pk_fma_f16 v28, v22, v20, v29 op_sel_hi:[0,1,1]
	v_pk_fma_f16 v19, v19, v23, v19 op_sel:[0,0,1] op_sel_hi:[0,1,1]
	s_delay_alu instid0(VALU_DEP_1) | instskip(SKIP_2) | instid1(VALU_DEP_2)
	v_pk_fma_f16 v29, v22, v19, v30 op_sel_hi:[0,1,1]
	v_add_co_u32 v19, vcc_lo, v26, v181
	v_add_co_ci_u32_e32 v20, vcc_lo, v27, v179, vcc_lo
	v_add_co_u32 v23, vcc_lo, v19, v131
	s_delay_alu instid0(VALU_DEP_2)
	v_add_co_ci_u32_e32 v24, vcc_lo, 0, v20, vcc_lo
	s_clause 0x1
	global_load_b32 v19, v[19:20], off
	global_load_b32 v23, v[23:24], off offset:4
	s_waitcnt vmcnt(0)
	v_ashrrev_i32_e32 v23, v111, v23
	s_delay_alu instid0(VALU_DEP_1) | instskip(SKIP_3) | instid1(VALU_DEP_4)
	v_lshrrev_b32_e32 v26, 8, v23
	v_and_b32_e32 v24, 15, v23
	v_lshrrev_b32_e32 v27, 16, v23
	v_bfe_u32 v23, v23, 24, 4
	v_and_b32_e32 v26, 15, v26
	s_delay_alu instid0(VALU_DEP_4) | instskip(NEXT) | instid1(VALU_DEP_4)
	v_cvt_f16_u16_e32 v20, v24
	v_and_b32_e32 v27, 15, v27
	s_delay_alu instid0(VALU_DEP_4) | instskip(NEXT) | instid1(VALU_DEP_4)
	v_cvt_f16_u16_e32 v23, v23
	v_cvt_f16_u16_e32 v24, v26
	v_add_co_u32 v26, vcc_lo, s7, v125
	s_delay_alu instid0(VALU_DEP_2) | instskip(SKIP_2) | instid1(VALU_DEP_3)
	v_pack_b32_f16 v20, v20, v24
	v_cvt_f16_u16_e32 v24, v27
	v_add_co_ci_u32_e32 v27, vcc_lo, s9, v160, vcc_lo
	v_pk_fma_f16 v20, v19, v20, v19 op_sel:[0,0,1] op_sel_hi:[0,1,1]
	s_delay_alu instid0(VALU_DEP_3) | instskip(NEXT) | instid1(VALU_DEP_2)
	v_pack_b32_f16 v23, v24, v23
	v_pk_fma_f16 v25, v22, v20, v25 op_sel_hi:[0,1,1]
	s_delay_alu instid0(VALU_DEP_2) | instskip(NEXT) | instid1(VALU_DEP_1)
	v_pk_fma_f16 v19, v19, v23, v19 op_sel:[0,0,1] op_sel_hi:[0,1,1]
	v_pk_fma_f16 v21, v22, v19, v21 op_sel_hi:[0,1,1]
	v_add_co_u32 v19, vcc_lo, v26, v180
	v_add_co_ci_u32_e32 v20, vcc_lo, v27, v178, vcc_lo
	s_delay_alu instid0(VALU_DEP_2) | instskip(NEXT) | instid1(VALU_DEP_2)
	v_add_co_u32 v23, vcc_lo, v19, v128
	v_add_co_ci_u32_e32 v24, vcc_lo, 0, v20, vcc_lo
	s_clause 0x1
	global_load_b32 v19, v[19:20], off
	global_load_b32 v23, v[23:24], off offset:4
	s_waitcnt vmcnt(0)
	v_ashrrev_i32_e32 v23, v111, v23
	s_delay_alu instid0(VALU_DEP_1) | instskip(SKIP_3) | instid1(VALU_DEP_4)
	v_lshrrev_b32_e32 v30, 8, v23
	v_and_b32_e32 v24, 15, v23
	v_lshrrev_b32_e32 v171, 16, v23
	v_bfe_u32 v23, v23, 24, 4
	v_and_b32_e32 v30, 15, v30
	s_delay_alu instid0(VALU_DEP_4) | instskip(NEXT) | instid1(VALU_DEP_4)
	v_cvt_f16_u16_e32 v20, v24
	v_and_b32_e32 v171, 15, v171
	s_delay_alu instid0(VALU_DEP_4) | instskip(NEXT) | instid1(VALU_DEP_4)
	v_cvt_f16_u16_e32 v23, v23
	v_cvt_f16_u16_e32 v24, v30
	s_delay_alu instid0(VALU_DEP_1) | instskip(NEXT) | instid1(VALU_DEP_4)
	v_pack_b32_f16 v20, v20, v24
	v_cvt_f16_u16_e64 v24, v171
	s_delay_alu instid0(VALU_DEP_2) | instskip(NEXT) | instid1(VALU_DEP_2)
	v_pk_fma_f16 v20, v19, v20, v19 op_sel:[0,0,1] op_sel_hi:[0,1,1]
	v_pack_b32_f16 v23, v24, v23
	s_delay_alu instid0(VALU_DEP_2) | instskip(NEXT) | instid1(VALU_DEP_2)
	v_pk_fma_f16 v28, v22, v20, v28 op_sel:[1,0,0]
	v_pk_fma_f16 v19, v19, v23, v19 op_sel:[0,0,1] op_sel_hi:[0,1,1]
	s_delay_alu instid0(VALU_DEP_1) | instskip(SKIP_2) | instid1(VALU_DEP_2)
	v_pk_fma_f16 v29, v22, v19, v29 op_sel:[1,0,0]
	v_add_co_u32 v19, vcc_lo, v26, v181
	v_add_co_ci_u32_e32 v20, vcc_lo, v27, v179, vcc_lo
	v_add_co_u32 v23, vcc_lo, v19, v131
	s_delay_alu instid0(VALU_DEP_2)
	v_add_co_ci_u32_e32 v24, vcc_lo, 0, v20, vcc_lo
	s_clause 0x1
	global_load_b32 v19, v[19:20], off
	global_load_b32 v23, v[23:24], off offset:4
	s_waitcnt vmcnt(0)
	v_ashrrev_i32_e32 v23, v111, v23
	s_delay_alu instid0(VALU_DEP_1) | instskip(SKIP_3) | instid1(VALU_DEP_4)
	v_lshrrev_b32_e32 v26, 8, v23
	v_and_b32_e32 v24, 15, v23
	v_lshrrev_b32_e32 v27, 16, v23
	v_bfe_u32 v23, v23, 24, 4
	v_and_b32_e32 v26, 15, v26
	s_delay_alu instid0(VALU_DEP_4) | instskip(NEXT) | instid1(VALU_DEP_4)
	v_cvt_f16_u16_e32 v20, v24
	v_and_b32_e32 v27, 15, v27
	s_delay_alu instid0(VALU_DEP_4) | instskip(NEXT) | instid1(VALU_DEP_4)
	v_cvt_f16_u16_e32 v23, v23
	v_cvt_f16_u16_e32 v24, v26
	s_delay_alu instid0(VALU_DEP_1) | instskip(NEXT) | instid1(VALU_DEP_4)
	v_pack_b32_f16 v20, v20, v24
	v_cvt_f16_u16_e32 v24, v27
	s_delay_alu instid0(VALU_DEP_2) | instskip(NEXT) | instid1(VALU_DEP_2)
	v_pk_fma_f16 v20, v19, v20, v19 op_sel:[0,0,1] op_sel_hi:[0,1,1]
	v_pack_b32_f16 v23, v24, v23
	s_delay_alu instid0(VALU_DEP_1) | instskip(NEXT) | instid1(VALU_DEP_3)
	v_pk_fma_f16 v19, v19, v23, v19 op_sel:[0,0,1] op_sel_hi:[0,1,1]
	v_pk_fma_f16 v23, v22, v20, v25 op_sel:[1,0,0]
	v_add_co_u32 v25, vcc_lo, s7, v129
	v_add_co_ci_u32_e32 v26, vcc_lo, s9, v161, vcc_lo
	s_delay_alu instid0(VALU_DEP_4) | instskip(NEXT) | instid1(VALU_DEP_3)
	v_pk_fma_f16 v24, v22, v19, v21 op_sel:[1,0,0]
	v_add_co_u32 v19, vcc_lo, v25, v180
	s_delay_alu instid0(VALU_DEP_3) | instskip(NEXT) | instid1(VALU_DEP_2)
	v_add_co_ci_u32_e32 v20, vcc_lo, v26, v178, vcc_lo
	v_add_co_u32 v21, vcc_lo, v19, v128
	s_delay_alu instid0(VALU_DEP_2)
	v_add_co_ci_u32_e32 v22, vcc_lo, 0, v20, vcc_lo
	s_clause 0x1
	global_load_b32 v19, v[19:20], off
	global_load_b32 v21, v[21:22], off offset:4
	s_waitcnt vmcnt(0)
	v_ashrrev_i32_e32 v21, v111, v21
	s_delay_alu instid0(VALU_DEP_1) | instskip(SKIP_3) | instid1(VALU_DEP_4)
	v_lshrrev_b32_e32 v27, 8, v21
	v_and_b32_e32 v22, 15, v21
	v_lshrrev_b32_e32 v30, 16, v21
	v_bfe_u32 v21, v21, 24, 4
	v_and_b32_e32 v27, 15, v27
	s_delay_alu instid0(VALU_DEP_4) | instskip(NEXT) | instid1(VALU_DEP_4)
	v_cvt_f16_u16_e32 v20, v22
	v_and_b32_e32 v30, 15, v30
	s_delay_alu instid0(VALU_DEP_4) | instskip(NEXT) | instid1(VALU_DEP_4)
	v_cvt_f16_u16_e32 v21, v21
	v_cvt_f16_u16_e32 v22, v27
	s_delay_alu instid0(VALU_DEP_1) | instskip(NEXT) | instid1(VALU_DEP_4)
	v_pack_b32_f16 v20, v20, v22
	v_cvt_f16_u16_e32 v22, v30
	s_delay_alu instid0(VALU_DEP_2) | instskip(NEXT) | instid1(VALU_DEP_2)
	v_pk_fma_f16 v20, v19, v20, v19 op_sel:[0,0,1] op_sel_hi:[0,1,1]
	v_pack_b32_f16 v21, v22, v21
	s_waitcnt lgkmcnt(0)
	s_delay_alu instid0(VALU_DEP_2) | instskip(NEXT) | instid1(VALU_DEP_2)
	v_pk_fma_f16 v27, v15, v20, v28 op_sel_hi:[0,1,1]
	v_pk_fma_f16 v19, v19, v21, v19 op_sel:[0,0,1] op_sel_hi:[0,1,1]
	s_delay_alu instid0(VALU_DEP_1) | instskip(SKIP_2) | instid1(VALU_DEP_2)
	v_pk_fma_f16 v28, v15, v19, v29 op_sel_hi:[0,1,1]
	v_add_co_u32 v19, vcc_lo, v25, v181
	v_add_co_ci_u32_e32 v20, vcc_lo, v26, v179, vcc_lo
	v_add_co_u32 v21, vcc_lo, v19, v131
	s_delay_alu instid0(VALU_DEP_2)
	v_add_co_ci_u32_e32 v22, vcc_lo, 0, v20, vcc_lo
	s_clause 0x1
	global_load_b32 v19, v[19:20], off
	global_load_b32 v21, v[21:22], off offset:4
	s_waitcnt vmcnt(0)
	v_ashrrev_i32_e32 v21, v111, v21
	s_delay_alu instid0(VALU_DEP_1) | instskip(SKIP_3) | instid1(VALU_DEP_4)
	v_lshrrev_b32_e32 v25, 8, v21
	v_and_b32_e32 v22, 15, v21
	v_lshrrev_b32_e32 v26, 16, v21
	v_bfe_u32 v21, v21, 24, 4
	v_and_b32_e32 v25, 15, v25
	s_delay_alu instid0(VALU_DEP_4) | instskip(NEXT) | instid1(VALU_DEP_4)
	v_cvt_f16_u16_e32 v20, v22
	v_and_b32_e32 v26, 15, v26
	s_delay_alu instid0(VALU_DEP_4) | instskip(NEXT) | instid1(VALU_DEP_4)
	v_cvt_f16_u16_e32 v21, v21
	v_cvt_f16_u16_e32 v22, v25
	v_add_co_u32 v25, vcc_lo, s7, v134
	s_delay_alu instid0(VALU_DEP_2) | instskip(SKIP_2) | instid1(VALU_DEP_3)
	v_pack_b32_f16 v20, v20, v22
	v_cvt_f16_u16_e32 v22, v26
	v_add_co_ci_u32_e32 v26, vcc_lo, s9, v162, vcc_lo
	v_pk_fma_f16 v20, v19, v20, v19 op_sel:[0,0,1] op_sel_hi:[0,1,1]
	s_delay_alu instid0(VALU_DEP_3) | instskip(NEXT) | instid1(VALU_DEP_2)
	v_pack_b32_f16 v21, v22, v21
	v_pk_fma_f16 v23, v15, v20, v23 op_sel_hi:[0,1,1]
	s_delay_alu instid0(VALU_DEP_2) | instskip(NEXT) | instid1(VALU_DEP_1)
	v_pk_fma_f16 v19, v19, v21, v19 op_sel:[0,0,1] op_sel_hi:[0,1,1]
	v_pk_fma_f16 v24, v15, v19, v24 op_sel_hi:[0,1,1]
	v_add_co_u32 v19, vcc_lo, v25, v180
	v_add_co_ci_u32_e32 v20, vcc_lo, v26, v178, vcc_lo
	s_delay_alu instid0(VALU_DEP_2) | instskip(NEXT) | instid1(VALU_DEP_2)
	v_add_co_u32 v21, vcc_lo, v19, v128
	v_add_co_ci_u32_e32 v22, vcc_lo, 0, v20, vcc_lo
	s_clause 0x1
	global_load_b32 v19, v[19:20], off
	global_load_b32 v21, v[21:22], off offset:4
	s_waitcnt vmcnt(0)
	v_ashrrev_i32_e32 v21, v111, v21
	s_delay_alu instid0(VALU_DEP_1) | instskip(SKIP_3) | instid1(VALU_DEP_4)
	v_lshrrev_b32_e32 v29, 8, v21
	v_and_b32_e32 v22, 15, v21
	v_lshrrev_b32_e32 v30, 16, v21
	v_bfe_u32 v21, v21, 24, 4
	v_and_b32_e32 v29, 15, v29
	s_delay_alu instid0(VALU_DEP_4) | instskip(NEXT) | instid1(VALU_DEP_4)
	v_cvt_f16_u16_e32 v20, v22
	v_and_b32_e32 v30, 15, v30
	s_delay_alu instid0(VALU_DEP_4) | instskip(NEXT) | instid1(VALU_DEP_4)
	v_cvt_f16_u16_e32 v21, v21
	v_cvt_f16_u16_e32 v22, v29
	s_delay_alu instid0(VALU_DEP_1) | instskip(NEXT) | instid1(VALU_DEP_4)
	v_pack_b32_f16 v20, v20, v22
	v_cvt_f16_u16_e32 v22, v30
	s_delay_alu instid0(VALU_DEP_2) | instskip(NEXT) | instid1(VALU_DEP_2)
	v_pk_fma_f16 v20, v19, v20, v19 op_sel:[0,0,1] op_sel_hi:[0,1,1]
	v_pack_b32_f16 v21, v22, v21
	s_delay_alu instid0(VALU_DEP_2) | instskip(NEXT) | instid1(VALU_DEP_2)
	v_pk_fma_f16 v27, v15, v20, v27 op_sel:[1,0,0]
	v_pk_fma_f16 v19, v19, v21, v19 op_sel:[0,0,1] op_sel_hi:[0,1,1]
	s_delay_alu instid0(VALU_DEP_1) | instskip(SKIP_2) | instid1(VALU_DEP_2)
	v_pk_fma_f16 v28, v15, v19, v28 op_sel:[1,0,0]
	v_add_co_u32 v19, vcc_lo, v25, v181
	v_add_co_ci_u32_e32 v20, vcc_lo, v26, v179, vcc_lo
	v_add_co_u32 v21, vcc_lo, v19, v131
	s_delay_alu instid0(VALU_DEP_2)
	v_add_co_ci_u32_e32 v22, vcc_lo, 0, v20, vcc_lo
	s_clause 0x1
	global_load_b32 v19, v[19:20], off
	global_load_b32 v21, v[21:22], off offset:4
	s_waitcnt vmcnt(0)
	v_ashrrev_i32_e32 v21, v111, v21
	s_delay_alu instid0(VALU_DEP_1) | instskip(SKIP_3) | instid1(VALU_DEP_4)
	v_lshrrev_b32_e32 v25, 8, v21
	v_and_b32_e32 v22, 15, v21
	v_lshrrev_b32_e32 v26, 16, v21
	v_bfe_u32 v21, v21, 24, 4
	v_and_b32_e32 v25, 15, v25
	s_delay_alu instid0(VALU_DEP_4) | instskip(NEXT) | instid1(VALU_DEP_4)
	v_cvt_f16_u16_e32 v20, v22
	v_and_b32_e32 v26, 15, v26
	s_delay_alu instid0(VALU_DEP_4) | instskip(NEXT) | instid1(VALU_DEP_4)
	v_cvt_f16_u16_e32 v21, v21
	v_cvt_f16_u16_e32 v22, v25
	s_delay_alu instid0(VALU_DEP_1) | instskip(NEXT) | instid1(VALU_DEP_4)
	v_pack_b32_f16 v20, v20, v22
	v_cvt_f16_u16_e32 v22, v26
	s_delay_alu instid0(VALU_DEP_2) | instskip(NEXT) | instid1(VALU_DEP_2)
	v_pk_fma_f16 v20, v19, v20, v19 op_sel:[0,0,1] op_sel_hi:[0,1,1]
	v_pack_b32_f16 v21, v22, v21
	s_delay_alu instid0(VALU_DEP_2) | instskip(NEXT) | instid1(VALU_DEP_2)
	v_pk_fma_f16 v23, v15, v20, v23 op_sel:[1,0,0]
	v_pk_fma_f16 v19, v19, v21, v19 op_sel:[0,0,1] op_sel_hi:[0,1,1]
	s_delay_alu instid0(VALU_DEP_1) | instskip(SKIP_2) | instid1(VALU_DEP_2)
	v_pk_fma_f16 v15, v15, v19, v24 op_sel:[1,0,0]
	v_add_co_u32 v24, vcc_lo, s7, v139
	v_add_co_ci_u32_e32 v25, vcc_lo, s9, v163, vcc_lo
	v_add_co_u32 v19, vcc_lo, v24, v180
	s_delay_alu instid0(VALU_DEP_2) | instskip(NEXT) | instid1(VALU_DEP_2)
	v_add_co_ci_u32_e32 v20, vcc_lo, v25, v178, vcc_lo
	v_add_co_u32 v21, vcc_lo, v19, v128
	s_delay_alu instid0(VALU_DEP_2)
	v_add_co_ci_u32_e32 v22, vcc_lo, 0, v20, vcc_lo
	s_clause 0x1
	global_load_b32 v19, v[19:20], off
	global_load_b32 v21, v[21:22], off offset:4
	s_waitcnt vmcnt(0)
	v_ashrrev_i32_e32 v21, v111, v21
	s_delay_alu instid0(VALU_DEP_1) | instskip(SKIP_3) | instid1(VALU_DEP_4)
	v_lshrrev_b32_e32 v26, 8, v21
	v_and_b32_e32 v22, 15, v21
	v_lshrrev_b32_e32 v29, 16, v21
	v_bfe_u32 v21, v21, 24, 4
	v_and_b32_e32 v26, 15, v26
	s_delay_alu instid0(VALU_DEP_4) | instskip(NEXT) | instid1(VALU_DEP_4)
	v_cvt_f16_u16_e32 v20, v22
	v_and_b32_e32 v29, 15, v29
	s_delay_alu instid0(VALU_DEP_4) | instskip(NEXT) | instid1(VALU_DEP_4)
	v_cvt_f16_u16_e32 v21, v21
	v_cvt_f16_u16_e32 v22, v26
	s_delay_alu instid0(VALU_DEP_1) | instskip(NEXT) | instid1(VALU_DEP_4)
	v_pack_b32_f16 v20, v20, v22
	v_cvt_f16_u16_e32 v22, v29
	s_delay_alu instid0(VALU_DEP_2) | instskip(NEXT) | instid1(VALU_DEP_2)
	v_pk_fma_f16 v20, v19, v20, v19 op_sel:[0,0,1] op_sel_hi:[0,1,1]
	v_pack_b32_f16 v21, v22, v21
	s_delay_alu instid0(VALU_DEP_2) | instskip(NEXT) | instid1(VALU_DEP_2)
	v_pk_fma_f16 v26, v16, v20, v27 op_sel_hi:[0,1,1]
	v_pk_fma_f16 v19, v19, v21, v19 op_sel:[0,0,1] op_sel_hi:[0,1,1]
	s_delay_alu instid0(VALU_DEP_1) | instskip(SKIP_2) | instid1(VALU_DEP_2)
	v_pk_fma_f16 v27, v16, v19, v28 op_sel_hi:[0,1,1]
	v_add_co_u32 v19, vcc_lo, v24, v181
	v_add_co_ci_u32_e32 v20, vcc_lo, v25, v179, vcc_lo
	v_add_co_u32 v21, vcc_lo, v19, v131
	s_delay_alu instid0(VALU_DEP_2)
	v_add_co_ci_u32_e32 v22, vcc_lo, 0, v20, vcc_lo
	s_clause 0x1
	global_load_b32 v19, v[19:20], off
	global_load_b32 v21, v[21:22], off offset:4
	s_waitcnt vmcnt(0)
	v_ashrrev_i32_e32 v21, v111, v21
	s_delay_alu instid0(VALU_DEP_1) | instskip(SKIP_3) | instid1(VALU_DEP_4)
	v_lshrrev_b32_e32 v24, 8, v21
	v_and_b32_e32 v22, 15, v21
	v_lshrrev_b32_e32 v25, 16, v21
	v_bfe_u32 v21, v21, 24, 4
	v_and_b32_e32 v24, 15, v24
	s_delay_alu instid0(VALU_DEP_4) | instskip(NEXT) | instid1(VALU_DEP_4)
	v_cvt_f16_u16_e32 v20, v22
	v_and_b32_e32 v25, 15, v25
	s_delay_alu instid0(VALU_DEP_4) | instskip(NEXT) | instid1(VALU_DEP_4)
	v_cvt_f16_u16_e32 v21, v21
	v_cvt_f16_u16_e32 v22, v24
	v_add_co_u32 v24, vcc_lo, s7, v144
	s_delay_alu instid0(VALU_DEP_2) | instskip(SKIP_2) | instid1(VALU_DEP_3)
	v_pack_b32_f16 v20, v20, v22
	v_cvt_f16_u16_e32 v22, v25
	v_add_co_ci_u32_e32 v25, vcc_lo, s9, v165, vcc_lo
	v_pk_fma_f16 v20, v19, v20, v19 op_sel:[0,0,1] op_sel_hi:[0,1,1]
	s_delay_alu instid0(VALU_DEP_3) | instskip(NEXT) | instid1(VALU_DEP_2)
	v_pack_b32_f16 v21, v22, v21
	v_pk_fma_f16 v23, v16, v20, v23 op_sel_hi:[0,1,1]
	s_delay_alu instid0(VALU_DEP_2) | instskip(NEXT) | instid1(VALU_DEP_1)
	v_pk_fma_f16 v19, v19, v21, v19 op_sel:[0,0,1] op_sel_hi:[0,1,1]
	v_pk_fma_f16 v15, v16, v19, v15 op_sel_hi:[0,1,1]
	v_add_co_u32 v19, vcc_lo, v24, v180
	v_add_co_ci_u32_e32 v20, vcc_lo, v25, v178, vcc_lo
	s_delay_alu instid0(VALU_DEP_2) | instskip(NEXT) | instid1(VALU_DEP_2)
	v_add_co_u32 v21, vcc_lo, v19, v128
	v_add_co_ci_u32_e32 v22, vcc_lo, 0, v20, vcc_lo
	s_clause 0x1
	global_load_b32 v19, v[19:20], off
	global_load_b32 v21, v[21:22], off offset:4
	s_waitcnt vmcnt(0)
	v_ashrrev_i32_e32 v21, v111, v21
	s_delay_alu instid0(VALU_DEP_1) | instskip(SKIP_3) | instid1(VALU_DEP_4)
	v_lshrrev_b32_e32 v28, 8, v21
	v_and_b32_e32 v22, 15, v21
	v_lshrrev_b32_e32 v29, 16, v21
	v_bfe_u32 v21, v21, 24, 4
	v_and_b32_e32 v28, 15, v28
	s_delay_alu instid0(VALU_DEP_4) | instskip(NEXT) | instid1(VALU_DEP_4)
	v_cvt_f16_u16_e32 v20, v22
	v_and_b32_e32 v29, 15, v29
	s_delay_alu instid0(VALU_DEP_4) | instskip(NEXT) | instid1(VALU_DEP_4)
	v_cvt_f16_u16_e32 v21, v21
	v_cvt_f16_u16_e32 v22, v28
	s_delay_alu instid0(VALU_DEP_1) | instskip(NEXT) | instid1(VALU_DEP_4)
	v_pack_b32_f16 v20, v20, v22
	v_cvt_f16_u16_e32 v22, v29
	s_delay_alu instid0(VALU_DEP_2) | instskip(NEXT) | instid1(VALU_DEP_2)
	v_pk_fma_f16 v20, v19, v20, v19 op_sel:[0,0,1] op_sel_hi:[0,1,1]
	v_pack_b32_f16 v21, v22, v21
	s_delay_alu instid0(VALU_DEP_2) | instskip(NEXT) | instid1(VALU_DEP_2)
	v_pk_fma_f16 v26, v16, v20, v26 op_sel:[1,0,0]
	v_pk_fma_f16 v19, v19, v21, v19 op_sel:[0,0,1] op_sel_hi:[0,1,1]
	s_delay_alu instid0(VALU_DEP_1) | instskip(SKIP_2) | instid1(VALU_DEP_2)
	v_pk_fma_f16 v27, v16, v19, v27 op_sel:[1,0,0]
	v_add_co_u32 v19, vcc_lo, v24, v181
	v_add_co_ci_u32_e32 v20, vcc_lo, v25, v179, vcc_lo
	v_add_co_u32 v21, vcc_lo, v19, v131
	s_delay_alu instid0(VALU_DEP_2)
	v_add_co_ci_u32_e32 v22, vcc_lo, 0, v20, vcc_lo
	s_clause 0x1
	global_load_b32 v19, v[19:20], off
	global_load_b32 v21, v[21:22], off offset:4
	s_waitcnt vmcnt(0)
	v_ashrrev_i32_e32 v21, v111, v21
	s_delay_alu instid0(VALU_DEP_1) | instskip(SKIP_3) | instid1(VALU_DEP_4)
	v_lshrrev_b32_e32 v24, 8, v21
	v_and_b32_e32 v22, 15, v21
	v_lshrrev_b32_e32 v25, 16, v21
	v_bfe_u32 v21, v21, 24, 4
	v_and_b32_e32 v24, 15, v24
	s_delay_alu instid0(VALU_DEP_4) | instskip(NEXT) | instid1(VALU_DEP_4)
	v_cvt_f16_u16_e32 v20, v22
	v_and_b32_e32 v25, 15, v25
	s_delay_alu instid0(VALU_DEP_4) | instskip(NEXT) | instid1(VALU_DEP_4)
	v_cvt_f16_u16_e32 v21, v21
	v_cvt_f16_u16_e32 v22, v24
	s_delay_alu instid0(VALU_DEP_1) | instskip(NEXT) | instid1(VALU_DEP_4)
	v_pack_b32_f16 v20, v20, v22
	v_cvt_f16_u16_e32 v22, v25
	s_delay_alu instid0(VALU_DEP_2) | instskip(NEXT) | instid1(VALU_DEP_2)
	v_pk_fma_f16 v20, v19, v20, v19 op_sel:[0,0,1] op_sel_hi:[0,1,1]
	v_pack_b32_f16 v21, v22, v21
	s_delay_alu instid0(VALU_DEP_1) | instskip(NEXT) | instid1(VALU_DEP_3)
	v_pk_fma_f16 v19, v19, v21, v19 op_sel:[0,0,1] op_sel_hi:[0,1,1]
	v_pk_fma_f16 v21, v16, v20, v23 op_sel:[1,0,0]
	v_add_co_u32 v23, vcc_lo, s7, v149
	v_add_co_ci_u32_e32 v24, vcc_lo, s9, v166, vcc_lo
	s_delay_alu instid0(VALU_DEP_4) | instskip(NEXT) | instid1(VALU_DEP_3)
	v_pk_fma_f16 v22, v16, v19, v15 op_sel:[1,0,0]
	v_add_co_u32 v15, vcc_lo, v23, v180
	s_delay_alu instid0(VALU_DEP_3) | instskip(NEXT) | instid1(VALU_DEP_2)
	v_add_co_ci_u32_e32 v16, vcc_lo, v24, v178, vcc_lo
	v_add_co_u32 v19, vcc_lo, v15, v128
	s_delay_alu instid0(VALU_DEP_2)
	v_add_co_ci_u32_e32 v20, vcc_lo, 0, v16, vcc_lo
	s_clause 0x1
	global_load_b32 v15, v[15:16], off
	global_load_b32 v19, v[19:20], off offset:4
	s_waitcnt vmcnt(0)
	v_ashrrev_i32_e32 v19, v111, v19
	s_delay_alu instid0(VALU_DEP_1) | instskip(SKIP_3) | instid1(VALU_DEP_4)
	v_lshrrev_b32_e32 v25, 8, v19
	v_and_b32_e32 v20, 15, v19
	v_lshrrev_b32_e32 v28, 16, v19
	v_bfe_u32 v19, v19, 24, 4
	v_and_b32_e32 v25, 15, v25
	s_delay_alu instid0(VALU_DEP_4) | instskip(NEXT) | instid1(VALU_DEP_4)
	v_cvt_f16_u16_e32 v16, v20
	v_and_b32_e32 v28, 15, v28
	s_delay_alu instid0(VALU_DEP_4) | instskip(NEXT) | instid1(VALU_DEP_4)
	v_cvt_f16_u16_e32 v19, v19
	v_cvt_f16_u16_e32 v20, v25
	s_delay_alu instid0(VALU_DEP_1) | instskip(NEXT) | instid1(VALU_DEP_4)
	v_pack_b32_f16 v16, v16, v20
	v_cvt_f16_u16_e32 v20, v28
	s_delay_alu instid0(VALU_DEP_2) | instskip(NEXT) | instid1(VALU_DEP_2)
	v_pk_fma_f16 v16, v15, v16, v15 op_sel:[0,0,1] op_sel_hi:[0,1,1]
	v_pack_b32_f16 v19, v20, v19
	s_delay_alu instid0(VALU_DEP_2) | instskip(NEXT) | instid1(VALU_DEP_2)
	v_pk_fma_f16 v25, v17, v16, v26 op_sel_hi:[0,1,1]
	v_pk_fma_f16 v15, v15, v19, v15 op_sel:[0,0,1] op_sel_hi:[0,1,1]
	s_delay_alu instid0(VALU_DEP_1) | instskip(SKIP_2) | instid1(VALU_DEP_2)
	v_pk_fma_f16 v26, v17, v15, v27 op_sel_hi:[0,1,1]
	v_add_co_u32 v15, vcc_lo, v23, v181
	v_add_co_ci_u32_e32 v16, vcc_lo, v24, v179, vcc_lo
	v_add_co_u32 v19, vcc_lo, v15, v131
	s_delay_alu instid0(VALU_DEP_2)
	v_add_co_ci_u32_e32 v20, vcc_lo, 0, v16, vcc_lo
	s_clause 0x1
	global_load_b32 v15, v[15:16], off
	global_load_b32 v19, v[19:20], off offset:4
	s_waitcnt vmcnt(0)
	v_ashrrev_i32_e32 v19, v111, v19
	s_delay_alu instid0(VALU_DEP_1) | instskip(SKIP_3) | instid1(VALU_DEP_4)
	v_lshrrev_b32_e32 v23, 8, v19
	v_and_b32_e32 v20, 15, v19
	v_lshrrev_b32_e32 v24, 16, v19
	v_bfe_u32 v19, v19, 24, 4
	v_and_b32_e32 v23, 15, v23
	s_delay_alu instid0(VALU_DEP_4) | instskip(NEXT) | instid1(VALU_DEP_4)
	v_cvt_f16_u16_e32 v16, v20
	v_and_b32_e32 v24, 15, v24
	s_delay_alu instid0(VALU_DEP_4) | instskip(NEXT) | instid1(VALU_DEP_4)
	v_cvt_f16_u16_e32 v19, v19
	v_cvt_f16_u16_e32 v20, v23
	v_add_co_u32 v23, vcc_lo, s7, v154
	s_delay_alu instid0(VALU_DEP_2) | instskip(SKIP_2) | instid1(VALU_DEP_3)
	v_pack_b32_f16 v16, v16, v20
	v_cvt_f16_u16_e32 v20, v24
	v_add_co_ci_u32_e32 v24, vcc_lo, s9, v167, vcc_lo
	v_pk_fma_f16 v16, v15, v16, v15 op_sel:[0,0,1] op_sel_hi:[0,1,1]
	s_delay_alu instid0(VALU_DEP_3) | instskip(NEXT) | instid1(VALU_DEP_2)
	v_pack_b32_f16 v19, v20, v19
	v_pk_fma_f16 v21, v17, v16, v21 op_sel_hi:[0,1,1]
	s_delay_alu instid0(VALU_DEP_2) | instskip(NEXT) | instid1(VALU_DEP_1)
	v_pk_fma_f16 v15, v15, v19, v15 op_sel:[0,0,1] op_sel_hi:[0,1,1]
	v_pk_fma_f16 v22, v17, v15, v22 op_sel_hi:[0,1,1]
	v_add_co_u32 v15, vcc_lo, v23, v180
	v_add_co_ci_u32_e32 v16, vcc_lo, v24, v178, vcc_lo
	s_delay_alu instid0(VALU_DEP_2) | instskip(NEXT) | instid1(VALU_DEP_2)
	v_add_co_u32 v19, vcc_lo, v15, v128
	v_add_co_ci_u32_e32 v20, vcc_lo, 0, v16, vcc_lo
	s_clause 0x1
	global_load_b32 v15, v[15:16], off
	global_load_b32 v19, v[19:20], off offset:4
	s_waitcnt vmcnt(0)
	v_ashrrev_i32_e32 v19, v111, v19
	s_delay_alu instid0(VALU_DEP_1) | instskip(SKIP_3) | instid1(VALU_DEP_4)
	v_lshrrev_b32_e32 v27, 8, v19
	v_and_b32_e32 v20, 15, v19
	v_lshrrev_b32_e32 v28, 16, v19
	v_bfe_u32 v19, v19, 24, 4
	v_and_b32_e32 v27, 15, v27
	s_delay_alu instid0(VALU_DEP_4) | instskip(NEXT) | instid1(VALU_DEP_4)
	v_cvt_f16_u16_e32 v16, v20
	v_and_b32_e32 v28, 15, v28
	s_delay_alu instid0(VALU_DEP_4) | instskip(NEXT) | instid1(VALU_DEP_4)
	v_cvt_f16_u16_e32 v19, v19
	v_cvt_f16_u16_e32 v20, v27
	s_delay_alu instid0(VALU_DEP_1) | instskip(NEXT) | instid1(VALU_DEP_4)
	v_pack_b32_f16 v16, v16, v20
	v_cvt_f16_u16_e32 v20, v28
	s_delay_alu instid0(VALU_DEP_2) | instskip(NEXT) | instid1(VALU_DEP_2)
	v_pk_fma_f16 v16, v15, v16, v15 op_sel:[0,0,1] op_sel_hi:[0,1,1]
	v_pack_b32_f16 v19, v20, v19
	s_delay_alu instid0(VALU_DEP_2) | instskip(NEXT) | instid1(VALU_DEP_2)
	v_pk_fma_f16 v25, v17, v16, v25 op_sel:[1,0,0]
	v_pk_fma_f16 v15, v15, v19, v15 op_sel:[0,0,1] op_sel_hi:[0,1,1]
	s_delay_alu instid0(VALU_DEP_1) | instskip(SKIP_2) | instid1(VALU_DEP_2)
	v_pk_fma_f16 v26, v17, v15, v26 op_sel:[1,0,0]
	v_add_co_u32 v15, vcc_lo, v23, v181
	v_add_co_ci_u32_e32 v16, vcc_lo, v24, v179, vcc_lo
	v_add_co_u32 v19, vcc_lo, v15, v131
	s_delay_alu instid0(VALU_DEP_2)
	v_add_co_ci_u32_e32 v20, vcc_lo, 0, v16, vcc_lo
	s_clause 0x1
	global_load_b32 v15, v[15:16], off
	global_load_b32 v19, v[19:20], off offset:4
	s_waitcnt vmcnt(0)
	v_ashrrev_i32_e32 v19, v111, v19
	s_delay_alu instid0(VALU_DEP_1) | instskip(SKIP_3) | instid1(VALU_DEP_4)
	v_lshrrev_b32_e32 v23, 8, v19
	v_and_b32_e32 v20, 15, v19
	v_lshrrev_b32_e32 v24, 16, v19
	v_bfe_u32 v19, v19, 24, 4
	v_and_b32_e32 v23, 15, v23
	s_delay_alu instid0(VALU_DEP_4) | instskip(NEXT) | instid1(VALU_DEP_4)
	v_cvt_f16_u16_e32 v16, v20
	v_and_b32_e32 v24, 15, v24
	s_delay_alu instid0(VALU_DEP_4) | instskip(NEXT) | instid1(VALU_DEP_4)
	v_cvt_f16_u16_e32 v19, v19
	v_cvt_f16_u16_e32 v20, v23
	s_delay_alu instid0(VALU_DEP_1) | instskip(NEXT) | instid1(VALU_DEP_4)
	v_pack_b32_f16 v16, v16, v20
	v_cvt_f16_u16_e32 v20, v24
	s_delay_alu instid0(VALU_DEP_2) | instskip(NEXT) | instid1(VALU_DEP_2)
	v_pk_fma_f16 v16, v15, v16, v15 op_sel:[0,0,1] op_sel_hi:[0,1,1]
	v_pack_b32_f16 v19, v20, v19
	s_delay_alu instid0(VALU_DEP_2) | instskip(NEXT) | instid1(VALU_DEP_2)
	v_pk_fma_f16 v21, v17, v16, v21 op_sel:[1,0,0]
	v_pk_fma_f16 v15, v15, v19, v15 op_sel:[0,0,1] op_sel_hi:[0,1,1]
	s_delay_alu instid0(VALU_DEP_1) | instskip(SKIP_2) | instid1(VALU_DEP_2)
	v_pk_fma_f16 v17, v17, v15, v22 op_sel:[1,0,0]
	v_add_co_u32 v22, vcc_lo, s7, v159
	v_add_co_ci_u32_e32 v23, vcc_lo, s9, v168, vcc_lo
	v_add_co_u32 v15, vcc_lo, v22, v180
	s_delay_alu instid0(VALU_DEP_2) | instskip(NEXT) | instid1(VALU_DEP_2)
	v_add_co_ci_u32_e32 v16, vcc_lo, v23, v178, vcc_lo
	v_add_co_u32 v19, vcc_lo, v15, v128
	s_delay_alu instid0(VALU_DEP_2)
	v_add_co_ci_u32_e32 v20, vcc_lo, 0, v16, vcc_lo
	s_clause 0x1
	global_load_b32 v15, v[15:16], off
	global_load_b32 v19, v[19:20], off offset:4
	s_waitcnt vmcnt(0)
	v_ashrrev_i32_e32 v19, v111, v19
	s_delay_alu instid0(VALU_DEP_1) | instskip(SKIP_3) | instid1(VALU_DEP_4)
	v_lshrrev_b32_e32 v24, 8, v19
	v_and_b32_e32 v20, 15, v19
	v_lshrrev_b32_e32 v27, 16, v19
	v_bfe_u32 v19, v19, 24, 4
	v_and_b32_e32 v24, 15, v24
	s_delay_alu instid0(VALU_DEP_4) | instskip(NEXT) | instid1(VALU_DEP_4)
	v_cvt_f16_u16_e32 v16, v20
	v_and_b32_e32 v27, 15, v27
	s_delay_alu instid0(VALU_DEP_4) | instskip(NEXT) | instid1(VALU_DEP_4)
	v_cvt_f16_u16_e32 v19, v19
	v_cvt_f16_u16_e32 v20, v24
	s_delay_alu instid0(VALU_DEP_1) | instskip(NEXT) | instid1(VALU_DEP_4)
	v_pack_b32_f16 v16, v16, v20
	v_cvt_f16_u16_e32 v20, v27
	s_delay_alu instid0(VALU_DEP_2) | instskip(NEXT) | instid1(VALU_DEP_2)
	v_pk_fma_f16 v16, v15, v16, v15 op_sel:[0,0,1] op_sel_hi:[0,1,1]
	v_pack_b32_f16 v19, v20, v19
	s_delay_alu instid0(VALU_DEP_2) | instskip(NEXT) | instid1(VALU_DEP_2)
	v_pk_fma_f16 v24, v18, v16, v25 op_sel_hi:[0,1,1]
	v_pk_fma_f16 v15, v15, v19, v15 op_sel:[0,0,1] op_sel_hi:[0,1,1]
	s_delay_alu instid0(VALU_DEP_1) | instskip(SKIP_2) | instid1(VALU_DEP_2)
	v_pk_fma_f16 v25, v18, v15, v26 op_sel_hi:[0,1,1]
	v_add_co_u32 v15, vcc_lo, v22, v181
	v_add_co_ci_u32_e32 v16, vcc_lo, v23, v179, vcc_lo
	v_add_co_u32 v19, vcc_lo, v15, v131
	s_delay_alu instid0(VALU_DEP_2)
	v_add_co_ci_u32_e32 v20, vcc_lo, 0, v16, vcc_lo
	s_clause 0x1
	global_load_b32 v15, v[15:16], off
	global_load_b32 v19, v[19:20], off offset:4
	s_waitcnt vmcnt(0)
	v_ashrrev_i32_e32 v19, v111, v19
	s_delay_alu instid0(VALU_DEP_1) | instskip(SKIP_3) | instid1(VALU_DEP_4)
	v_lshrrev_b32_e32 v22, 8, v19
	v_and_b32_e32 v20, 15, v19
	v_lshrrev_b32_e32 v23, 16, v19
	v_bfe_u32 v19, v19, 24, 4
	v_and_b32_e32 v22, 15, v22
	s_delay_alu instid0(VALU_DEP_4) | instskip(NEXT) | instid1(VALU_DEP_4)
	v_cvt_f16_u16_e32 v16, v20
	v_and_b32_e32 v23, 15, v23
	s_delay_alu instid0(VALU_DEP_4) | instskip(NEXT) | instid1(VALU_DEP_4)
	v_cvt_f16_u16_e32 v19, v19
	v_cvt_f16_u16_e32 v20, v22
	v_add_co_u32 v22, vcc_lo, s7, v164
	s_add_u32 s7, s7, s6
	s_delay_alu instid0(VALU_DEP_2) | instskip(SKIP_3) | instid1(VALU_DEP_3)
	v_pack_b32_f16 v16, v16, v20
	v_cvt_f16_u16_e32 v20, v23
	v_add_co_ci_u32_e32 v23, vcc_lo, s9, v169, vcc_lo
	s_addc_u32 s9, s9, 0
	v_pk_fma_f16 v16, v15, v16, v15 op_sel:[0,0,1] op_sel_hi:[0,1,1]
	s_delay_alu instid0(VALU_DEP_3) | instskip(SKIP_1) | instid1(SALU_CYCLE_1)
	v_pack_b32_f16 v19, v20, v19
	s_lshl_b64 s[20:21], s[10:11], 1
	s_add_u32 s4, s4, s20
	s_delay_alu instid0(VALU_DEP_2) | instskip(NEXT) | instid1(VALU_DEP_2)
	v_pk_fma_f16 v21, v18, v16, v21 op_sel_hi:[0,1,1]
	v_pk_fma_f16 v15, v15, v19, v15 op_sel:[0,0,1] op_sel_hi:[0,1,1]
	s_addc_u32 s5, s5, s21
	s_cmp_ge_i32 s8, s38
	s_delay_alu instid0(VALU_DEP_1) | instskip(SKIP_2) | instid1(VALU_DEP_2)
	v_pk_fma_f16 v17, v18, v15, v17 op_sel_hi:[0,1,1]
	v_add_co_u32 v15, vcc_lo, v22, v180
	v_add_co_ci_u32_e32 v16, vcc_lo, v23, v178, vcc_lo
	v_add_co_u32 v19, vcc_lo, v15, v128
	s_delay_alu instid0(VALU_DEP_2)
	v_add_co_ci_u32_e32 v20, vcc_lo, 0, v16, vcc_lo
	s_clause 0x1
	global_load_b32 v15, v[15:16], off
	global_load_b32 v19, v[19:20], off offset:4
	s_waitcnt vmcnt(0)
	v_ashrrev_i32_e32 v19, v111, v19
	s_delay_alu instid0(VALU_DEP_1) | instskip(SKIP_3) | instid1(VALU_DEP_4)
	v_lshrrev_b32_e32 v26, 8, v19
	v_and_b32_e32 v20, 15, v19
	v_lshrrev_b32_e32 v27, 16, v19
	v_bfe_u32 v19, v19, 24, 4
	v_and_b32_e32 v26, 15, v26
	s_delay_alu instid0(VALU_DEP_4) | instskip(NEXT) | instid1(VALU_DEP_4)
	v_cvt_f16_u16_e32 v16, v20
	v_and_b32_e32 v27, 15, v27
	s_delay_alu instid0(VALU_DEP_4) | instskip(NEXT) | instid1(VALU_DEP_4)
	v_cvt_f16_u16_e32 v19, v19
	v_cvt_f16_u16_e32 v20, v26
	s_delay_alu instid0(VALU_DEP_1) | instskip(NEXT) | instid1(VALU_DEP_4)
	v_pack_b32_f16 v16, v16, v20
	v_cvt_f16_u16_e32 v20, v27
	s_delay_alu instid0(VALU_DEP_2) | instskip(NEXT) | instid1(VALU_DEP_2)
	v_pk_fma_f16 v16, v15, v16, v15 op_sel:[0,0,1] op_sel_hi:[0,1,1]
	v_pack_b32_f16 v19, v20, v19
	s_delay_alu instid0(VALU_DEP_2) | instskip(NEXT) | instid1(VALU_DEP_2)
	v_pk_fma_f16 v171, v18, v16, v24 op_sel:[1,0,0]
	v_pk_fma_f16 v15, v15, v19, v15 op_sel:[0,0,1] op_sel_hi:[0,1,1]
	s_delay_alu instid0(VALU_DEP_1) | instskip(SKIP_2) | instid1(VALU_DEP_2)
	v_pk_fma_f16 v172, v18, v15, v25 op_sel:[1,0,0]
	v_add_co_u32 v15, vcc_lo, v22, v181
	v_add_co_ci_u32_e32 v16, vcc_lo, v23, v179, vcc_lo
	v_add_co_u32 v19, vcc_lo, v15, v131
	s_delay_alu instid0(VALU_DEP_2)
	v_add_co_ci_u32_e32 v20, vcc_lo, 0, v16, vcc_lo
	s_clause 0x1
	global_load_b32 v15, v[15:16], off
	global_load_b32 v19, v[19:20], off offset:4
	s_waitcnt vmcnt(0)
	v_ashrrev_i32_e32 v19, v111, v19
	s_delay_alu instid0(VALU_DEP_1) | instskip(SKIP_3) | instid1(VALU_DEP_4)
	v_lshrrev_b32_e32 v22, 8, v19
	v_and_b32_e32 v20, 15, v19
	v_lshrrev_b32_e32 v23, 16, v19
	v_bfe_u32 v19, v19, 24, 4
	v_and_b32_e32 v22, 15, v22
	s_delay_alu instid0(VALU_DEP_4) | instskip(NEXT) | instid1(VALU_DEP_4)
	v_cvt_f16_u16_e32 v16, v20
	v_and_b32_e32 v23, 15, v23
	s_delay_alu instid0(VALU_DEP_4) | instskip(NEXT) | instid1(VALU_DEP_4)
	v_cvt_f16_u16_e32 v19, v19
	v_cvt_f16_u16_e32 v20, v22
	s_delay_alu instid0(VALU_DEP_1) | instskip(NEXT) | instid1(VALU_DEP_4)
	v_pack_b32_f16 v16, v16, v20
	v_cvt_f16_u16_e32 v20, v23
	s_delay_alu instid0(VALU_DEP_2) | instskip(NEXT) | instid1(VALU_DEP_2)
	v_pk_fma_f16 v16, v15, v16, v15 op_sel:[0,0,1] op_sel_hi:[0,1,1]
	v_pack_b32_f16 v19, v20, v19
	s_delay_alu instid0(VALU_DEP_2) | instskip(NEXT) | instid1(VALU_DEP_2)
	v_pk_fma_f16 v174, v18, v16, v21 op_sel:[1,0,0]
	v_pk_fma_f16 v15, v15, v19, v15 op_sel:[0,0,1] op_sel_hi:[0,1,1]
	s_delay_alu instid0(VALU_DEP_1)
	v_pk_fma_f16 v173, v18, v15, v17 op_sel:[1,0,0]
	s_cbranch_scc1 .LBB27_29
; %bb.28:                               ;   in Loop: Header=BB27_15 Depth=1
	v_dual_mov_b32 v19, v176 :: v_dual_mov_b32 v170, v175
	s_branch .LBB27_15
.LBB27_29:
	v_or_b32_e32 v0, s14, v63
	s_cmp_lg_u64 s[24:25], 0
	s_cselect_b32 s3, -1, 0
	s_delay_alu instid0(VALU_DEP_1) | instskip(SKIP_1) | instid1(SALU_CYCLE_1)
	v_cmp_eq_u32_e32 vcc_lo, 0, v0
	s_and_b32 s4, vcc_lo, s3
	s_and_saveexec_b32 s3, s4
	s_cbranch_execz .LBB27_31
; %bb.30:
	s_lshl_b64 s[4:5], s[36:37], 2
	v_max_f32_e32 v0, v176, v176
	s_add_u32 s4, s24, s4
	s_addc_u32 s5, s25, s5
	s_load_b32 s4, s[4:5], 0x0
	s_waitcnt lgkmcnt(0)
	v_max_f32_e64 v1, s4, s4
	s_delay_alu instid0(VALU_DEP_1) | instskip(NEXT) | instid1(VALU_DEP_1)
	v_max_f32_e32 v0, v1, v0
	v_sub_f32_e32 v1, s4, v0
	s_delay_alu instid0(VALU_DEP_1) | instskip(NEXT) | instid1(VALU_DEP_1)
	v_mul_f32_e32 v3, 0x3fb8aa3b, v1
	v_fma_f32 v5, 0x3fb8aa3b, v1, -v3
	v_rndne_f32_e32 v6, v3
	s_delay_alu instid0(VALU_DEP_2) | instskip(NEXT) | instid1(VALU_DEP_2)
	v_dual_fmac_f32 v5, 0x32a5705f, v1 :: v_dual_sub_f32 v2, v176, v0
	v_dual_sub_f32 v3, v3, v6 :: v_dual_mov_b32 v176, v0
	s_delay_alu instid0(VALU_DEP_2) | instskip(SKIP_1) | instid1(VALU_DEP_2)
	v_mul_f32_e32 v4, 0x3fb8aa3b, v2
	v_cmp_ngt_f32_e32 vcc_lo, 0xc2ce8ed0, v1
	v_fma_f32 v7, 0x3fb8aa3b, v2, -v4
	v_rndne_f32_e32 v8, v4
	s_delay_alu instid0(VALU_DEP_1) | instskip(SKIP_3) | instid1(VALU_DEP_4)
	v_dual_fmac_f32 v7, 0x32a5705f, v2 :: v_dual_sub_f32 v4, v4, v8
	v_add_f32_e32 v3, v3, v5
	v_cvt_i32_f32_e32 v5, v6
	v_cvt_i32_f32_e32 v6, v8
	v_add_f32_e32 v4, v4, v7
	s_delay_alu instid0(VALU_DEP_4) | instskip(NEXT) | instid1(VALU_DEP_1)
	v_exp_f32_e32 v3, v3
	v_exp_f32_e32 v4, v4
	s_waitcnt_depctr 0xfff
	v_ldexp_f32 v3, v3, v5
	v_ldexp_f32 v4, v4, v6
	s_delay_alu instid0(VALU_DEP_2) | instskip(SKIP_1) | instid1(VALU_DEP_3)
	v_cndmask_b32_e32 v3, 0, v3, vcc_lo
	v_cmp_ngt_f32_e32 vcc_lo, 0xc2ce8ed0, v2
	v_cndmask_b32_e32 v4, 0, v4, vcc_lo
	v_cmp_nlt_f32_e32 vcc_lo, 0x42b17218, v1
	s_delay_alu instid0(VALU_DEP_4) | instskip(SKIP_1) | instid1(VALU_DEP_4)
	v_cndmask_b32_e32 v1, 0x7f800000, v3, vcc_lo
	v_cmp_nlt_f32_e32 vcc_lo, 0x42b17218, v2
	v_cndmask_b32_e32 v2, 0x7f800000, v4, vcc_lo
	v_cmp_eq_u32_e32 vcc_lo, 0, v64
	s_delay_alu instid0(VALU_DEP_4) | instskip(NEXT) | instid1(VALU_DEP_1)
	v_cndmask_b32_e32 v1, 0, v1, vcc_lo
	v_fmac_f32_e32 v1, v175, v2
	s_delay_alu instid0(VALU_DEP_1) | instskip(SKIP_1) | instid1(VALU_DEP_1)
	v_mov_b32_e32 v175, v1
	v_cvt_f16_f32_e32 v3, v2
	v_pk_mul_f16 v171, v3, v171 op_sel_hi:[0,1]
	v_pk_mul_f16 v172, v3, v172 op_sel_hi:[0,1]
	;; [unrolled: 1-line block ×4, first 2 shown]
.LBB27_31:
	s_or_b32 exec_lo, exec_lo, s3
	s_and_saveexec_b32 s3, s2
	s_cbranch_execz .LBB27_33
; %bb.32:
	v_dual_mov_b32 v0, 0xfeffffff :: v_dual_mov_b32 v1, 0
	v_add_nc_u32_e32 v2, 0x800, v69
	ds_store_2addr_b32 v2, v0, v1 offset1:32
.LBB27_33:
	s_or_b32 exec_lo, exec_lo, s3
	v_cmp_eq_u32_e32 vcc_lo, 0, v64
	v_lshlrev_b32_e32 v2, 2, v63
	s_waitcnt lgkmcnt(0)
	s_barrier
	buffer_gl0_inv
	s_and_saveexec_b32 s2, vcc_lo
	s_cbranch_execz .LBB27_35
; %bb.34:
	ds_store_b32 v2, v176 offset:2048
.LBB27_35:
	s_or_b32 exec_lo, exec_lo, s2
	s_waitcnt lgkmcnt(0)
	s_barrier
	buffer_gl0_inv
	ds_load_b32 v0, v69 offset:2048
	v_xor_b32_e32 v1, 16, v65
	v_xor_b32_e32 v4, 8, v65
	;; [unrolled: 1-line block ×5, first 2 shown]
	v_cmp_gt_i32_e64 s2, 32, v1
	v_lshlrev_b32_e32 v13, 3, v64
	s_delay_alu instid0(VALU_DEP_2) | instskip(SKIP_1) | instid1(VALU_DEP_3)
	v_cndmask_b32_e64 v1, v65, v1, s2
	v_cmp_gt_i32_e64 s2, 32, v4
	v_lshl_add_u32 v13, v63, 9, v13
	s_delay_alu instid0(VALU_DEP_3) | instskip(NEXT) | instid1(VALU_DEP_3)
	v_lshlrev_b32_e32 v3, 2, v1
	v_cndmask_b32_e64 v4, v65, v4, s2
	v_cmp_gt_i32_e64 s2, 32, v5
	s_waitcnt lgkmcnt(0)
	ds_bpermute_b32 v1, v3, v0
	v_max_f32_e32 v0, v0, v0
	v_cndmask_b32_e64 v5, v65, v5, s2
	v_cmp_gt_i32_e64 s2, 32, v6
	v_lshlrev_b32_e32 v4, 2, v4
	s_delay_alu instid0(VALU_DEP_3) | instskip(NEXT) | instid1(VALU_DEP_3)
	v_lshlrev_b32_e32 v5, 2, v5
	v_cndmask_b32_e64 v6, v65, v6, s2
	v_cmp_gt_i32_e64 s2, 32, v7
	s_delay_alu instid0(VALU_DEP_2) | instskip(NEXT) | instid1(VALU_DEP_2)
	v_lshlrev_b32_e32 v6, 2, v6
	v_cndmask_b32_e64 v7, v65, v7, s2
	s_waitcnt lgkmcnt(0)
	v_max_f32_e32 v1, v1, v1
	s_delay_alu instid0(VALU_DEP_1) | instskip(SKIP_3) | instid1(VALU_DEP_1)
	v_max_f32_e32 v0, v0, v1
	ds_bpermute_b32 v1, v4, v0
	s_waitcnt lgkmcnt(0)
	v_max_f32_e32 v1, v1, v1
	v_max_f32_e32 v0, v0, v1
	ds_bpermute_b32 v1, v5, v0
	s_waitcnt lgkmcnt(0)
	v_max_f32_e32 v1, v1, v1
	s_delay_alu instid0(VALU_DEP_1) | instskip(SKIP_3) | instid1(VALU_DEP_1)
	v_max_f32_e32 v0, v0, v1
	ds_bpermute_b32 v1, v6, v0
	s_waitcnt lgkmcnt(0)
	v_dual_max_f32 v8, v1, v1 :: v_dual_lshlrev_b32 v1, 2, v7
	v_max_f32_e32 v0, v0, v8
	ds_bpermute_b32 v7, v1, v0
	s_waitcnt lgkmcnt(0)
	v_max_f32_e32 v7, v7, v7
	s_delay_alu instid0(VALU_DEP_1) | instskip(NEXT) | instid1(VALU_DEP_1)
	v_max_f32_e32 v0, v0, v7
	v_sub_f32_e32 v7, v176, v0
	s_delay_alu instid0(VALU_DEP_1) | instskip(SKIP_1) | instid1(VALU_DEP_2)
	v_mul_f32_e32 v8, 0x3fb8aa3b, v7
	v_cmp_ngt_f32_e64 s2, 0xc2ce8ed0, v7
	v_fma_f32 v9, 0x3fb8aa3b, v7, -v8
	v_rndne_f32_e32 v10, v8
	s_delay_alu instid0(VALU_DEP_1) | instskip(NEXT) | instid1(VALU_DEP_1)
	v_dual_fmamk_f32 v9, v7, 0x32a5705f, v9 :: v_dual_sub_f32 v8, v8, v10
	v_add_f32_e32 v8, v8, v9
	v_cvt_i32_f32_e32 v9, v10
	s_delay_alu instid0(VALU_DEP_2) | instskip(SKIP_2) | instid1(VALU_DEP_1)
	v_exp_f32_e32 v8, v8
	s_waitcnt_depctr 0xfff
	v_ldexp_f32 v8, v8, v9
	v_cndmask_b32_e64 v8, 0, v8, s2
	v_cmp_nlt_f32_e64 s2, 0x42b17218, v7
	s_delay_alu instid0(VALU_DEP_1) | instskip(NEXT) | instid1(VALU_DEP_1)
	v_cndmask_b32_e64 v9, 0x7f800000, v8, s2
	v_mul_f32_e32 v7, v175, v9
	v_cvt_f16_f32_e32 v12, v9
	ds_bpermute_b32 v7, v3, v7
	v_pk_mul_f16 v10, v12, v172 op_sel_hi:[0,1]
	v_pk_mul_f16 v11, v12, v174 op_sel_hi:[0,1]
	s_waitcnt lgkmcnt(0)
	v_fmac_f32_e32 v7, v175, v9
	v_pk_mul_f16 v9, v12, v171 op_sel_hi:[0,1]
	v_pk_mul_f16 v12, v12, v173 op_sel_hi:[0,1]
	ds_bpermute_b32 v8, v4, v7
	ds_store_2addr_b64 v13, v[9:10], v[11:12] offset1:32
	s_waitcnt lgkmcnt(1)
	v_add_f32_e32 v7, v7, v8
	ds_bpermute_b32 v8, v5, v7
	s_waitcnt lgkmcnt(0)
	v_add_f32_e32 v7, v7, v8
	ds_bpermute_b32 v8, v6, v7
	s_waitcnt lgkmcnt(0)
	v_add_f32_e32 v7, v7, v8
	ds_bpermute_b32 v8, v1, v7
	s_and_saveexec_b32 s2, vcc_lo
	s_cbranch_execz .LBB27_37
; %bb.36:
	s_waitcnt lgkmcnt(0)
	v_add_f32_e32 v7, v7, v8
	ds_store_b32 v2, v7 offset:2176
.LBB27_37:
	s_or_b32 exec_lo, exec_lo, s2
	s_waitcnt lgkmcnt(0)
	s_barrier
	buffer_gl0_inv
	ds_load_b32 v2, v69 offset:2176
	s_mul_i32 s2, s12, s34
	s_waitcnt lgkmcnt(0)
	ds_bpermute_b32 v3, v3, v2
	s_waitcnt lgkmcnt(0)
	v_add_f32_e32 v2, v2, v3
	ds_bpermute_b32 v3, v4, v2
	s_waitcnt lgkmcnt(0)
	v_add_f32_e32 v2, v2, v3
	;; [unrolled: 3-line block ×3, first 2 shown]
	ds_bpermute_b32 v3, v6, v2
	ds_load_u16 v4, v68
	ds_load_u16 v5, v68 offset:512
	ds_load_u16 v6, v68 offset:1024
	;; [unrolled: 1-line block ×5, first 2 shown]
	s_waitcnt lgkmcnt(5)
	v_cvt_f32_f16_e32 v4, v4
	s_waitcnt lgkmcnt(4)
	v_cvt_f32_f16_e32 v5, v5
	;; [unrolled: 2-line block ×3, first 2 shown]
	v_add_f32_e32 v2, v2, v3
	ds_load_u16 v3, v68 offset:768
	ds_load_u16 v10, v68 offset:256
	s_load_b32 s3, s[0:1], 0xd4
	ds_bpermute_b32 v1, v1, v2
	v_add_f32_e32 v4, 0, v4
	s_waitcnt lgkmcnt(0)
	s_cmp_eq_u32 s3, 1
	s_cselect_b32 s1, -1, 0
	v_add_f32_e32 v1, v2, v1
	v_add_f32_e32 v4, v4, v5
	v_cvt_f32_f16_e32 v5, v8
	v_cvt_f32_f16_e32 v2, v3
	s_add_i32 s2, s2, s13
	s_delay_alu instid0(VALU_DEP_3) | instskip(SKIP_2) | instid1(SALU_CYCLE_1)
	v_add_f32_e32 v4, v4, v6
	v_cvt_f32_f16_e32 v6, v10
	s_mul_i32 s2, s2, s35
	s_add_i32 s2, s2, s36
	s_delay_alu instid0(VALU_DEP_1) | instskip(SKIP_3) | instid1(VALU_DEP_3)
	v_dual_add_f32 v8, v4, v5 :: v_dual_add_f32 v3, 0, v6
	v_cvt_f32_f16_e32 v5, v9
	v_cvt_f32_f16_e32 v6, v7
	s_mul_i32 s2, s3, s2
	v_div_scale_f32 v4, null, v1, v1, v8
	v_add_f32_e32 v2, v3, v2
	v_div_scale_f32 v7, vcc_lo, v8, v1, v8
	s_delay_alu instid0(VALU_DEP_3) | instskip(SKIP_1) | instid1(VALU_DEP_2)
	v_rcp_f32_e32 v3, v4
	s_add_i32 s2, s2, s14
	v_add_f32_e32 v2, v2, v5
	s_cmp_lg_u32 s3, 1
	s_mov_b32 s3, 0
	s_delay_alu instid0(VALU_DEP_1) | instskip(SKIP_3) | instid1(VALU_DEP_2)
	v_add_f32_e32 v6, v2, v6
	s_waitcnt_depctr 0xfff
	v_fma_f32 v2, -v4, v3, 1.0
	v_div_scale_f32 v5, null, v1, v1, v6
	v_fmac_f32_e32 v3, v2, v3
	s_delay_alu instid0(VALU_DEP_2) | instskip(NEXT) | instid1(VALU_DEP_1)
	v_rcp_f32_e32 v9, v5
	v_mul_f32_e32 v2, v7, v3
	s_delay_alu instid0(VALU_DEP_1) | instskip(SKIP_4) | instid1(VALU_DEP_3)
	v_fma_f32 v10, -v4, v2, v7
	s_waitcnt_depctr 0xfff
	v_fma_f32 v11, -v5, v9, 1.0
	v_fmac_f32_e32 v2, v10, v3
	v_div_scale_f32 v10, s0, v6, v1, v6
	v_fmac_f32_e32 v9, v11, v9
	s_delay_alu instid0(VALU_DEP_3) | instskip(NEXT) | instid1(VALU_DEP_2)
	v_fma_f32 v4, -v4, v2, v7
	v_mul_f32_e32 v7, v10, v9
	s_delay_alu instid0(VALU_DEP_2) | instskip(SKIP_1) | instid1(VALU_DEP_2)
	v_div_fmas_f32 v2, v4, v3, v2
	s_mov_b32 vcc_lo, s0
	v_fma_f32 v3, -v5, v7, v10
	s_delay_alu instid0(VALU_DEP_2) | instskip(SKIP_1) | instid1(VALU_DEP_3)
	v_div_fixup_f32 v11, v2, v1, v8
	v_lshl_or_b32 v2, s2, 8, v67
	v_fmac_f32_e32 v7, v3, v9
	v_mov_b32_e32 v3, 0
	s_delay_alu instid0(VALU_DEP_2) | instskip(NEXT) | instid1(VALU_DEP_1)
	v_fma_f32 v4, -v5, v7, v10
	v_div_fmas_f32 v7, v4, v9, v7
	s_delay_alu instid0(VALU_DEP_3) | instskip(SKIP_1) | instid1(VALU_DEP_3)
	v_lshlrev_b64 v[4:5], 2, v[2:3]
	v_cmp_eq_u32_e32 vcc_lo, 0, v67
	v_div_fixup_f32 v2, v7, v1, v6
	v_cndmask_b32_e64 v7, v8, v11, s1
	s_delay_alu instid0(VALU_DEP_4) | instskip(NEXT) | instid1(VALU_DEP_1)
	v_add_co_u32 v4, s0, s28, v4
	v_add_co_ci_u32_e64 v5, s0, s29, v5, s0
	s_delay_alu instid0(VALU_DEP_4)
	v_cndmask_b32_e64 v2, v6, v2, s1
	s_cselect_b32 s0, -1, 0
	s_clause 0x1
	global_store_b32 v[4:5], v7, off
	global_store_b32 v[4:5], v2, off offset:512
	s_and_b32 s0, vcc_lo, s0
	s_delay_alu instid0(SALU_CYCLE_1)
	s_and_saveexec_b32 s1, s0
	s_cbranch_execz .LBB27_39
; %bb.38:
	s_lshl_b64 s[0:1], s[2:3], 3
	s_delay_alu instid0(SALU_CYCLE_1)
	s_add_u32 s0, s30, s0
	s_addc_u32 s1, s31, s1
	global_store_b64 v3, v[0:1], s[0:1]
.LBB27_39:
	s_nop 0
	s_sendmsg sendmsg(MSG_DEALLOC_VGPRS)
	s_endpgm
	.section	.rodata,"a",@progbits
	.p2align	6, 0x0
	.amdhsa_kernel _ZL18flash_attn_ext_vecILi256ELi1EL9ggml_type6ELS0_3ELb1EEvPKcS2_S2_S2_S2_PKiPfP15HIP_vector_typeIfLj2EEffffjfiS6_IjLj3EEiiiiiiiiiiiliiliiiiil
		.amdhsa_group_segment_fixed_size 2304
		.amdhsa_private_segment_fixed_size 0
		.amdhsa_kernarg_size 464
		.amdhsa_user_sgpr_count 13
		.amdhsa_user_sgpr_dispatch_ptr 0
		.amdhsa_user_sgpr_queue_ptr 0
		.amdhsa_user_sgpr_kernarg_segment_ptr 1
		.amdhsa_user_sgpr_dispatch_id 0
		.amdhsa_user_sgpr_private_segment_size 0
		.amdhsa_wavefront_size32 1
		.amdhsa_uses_dynamic_stack 0
		.amdhsa_enable_private_segment 0
		.amdhsa_system_sgpr_workgroup_id_x 1
		.amdhsa_system_sgpr_workgroup_id_y 1
		.amdhsa_system_sgpr_workgroup_id_z 1
		.amdhsa_system_sgpr_workgroup_info 0
		.amdhsa_system_vgpr_workitem_id 1
		.amdhsa_next_free_vgpr 190
		.amdhsa_next_free_sgpr 51
		.amdhsa_reserve_vcc 1
		.amdhsa_float_round_mode_32 0
		.amdhsa_float_round_mode_16_64 0
		.amdhsa_float_denorm_mode_32 3
		.amdhsa_float_denorm_mode_16_64 3
		.amdhsa_dx10_clamp 1
		.amdhsa_ieee_mode 1
		.amdhsa_fp16_overflow 0
		.amdhsa_workgroup_processor_mode 1
		.amdhsa_memory_ordered 1
		.amdhsa_forward_progress 0
		.amdhsa_shared_vgpr_count 0
		.amdhsa_exception_fp_ieee_invalid_op 0
		.amdhsa_exception_fp_denorm_src 0
		.amdhsa_exception_fp_ieee_div_zero 0
		.amdhsa_exception_fp_ieee_overflow 0
		.amdhsa_exception_fp_ieee_underflow 0
		.amdhsa_exception_fp_ieee_inexact 0
		.amdhsa_exception_int_div_zero 0
	.end_amdhsa_kernel
	.section	.text._ZL18flash_attn_ext_vecILi256ELi1EL9ggml_type6ELS0_3ELb1EEvPKcS2_S2_S2_S2_PKiPfP15HIP_vector_typeIfLj2EEffffjfiS6_IjLj3EEiiiiiiiiiiiliiliiiiil,"axG",@progbits,_ZL18flash_attn_ext_vecILi256ELi1EL9ggml_type6ELS0_3ELb1EEvPKcS2_S2_S2_S2_PKiPfP15HIP_vector_typeIfLj2EEffffjfiS6_IjLj3EEiiiiiiiiiiiliiliiiiil,comdat
.Lfunc_end27:
	.size	_ZL18flash_attn_ext_vecILi256ELi1EL9ggml_type6ELS0_3ELb1EEvPKcS2_S2_S2_S2_PKiPfP15HIP_vector_typeIfLj2EEffffjfiS6_IjLj3EEiiiiiiiiiiiliiliiiiil, .Lfunc_end27-_ZL18flash_attn_ext_vecILi256ELi1EL9ggml_type6ELS0_3ELb1EEvPKcS2_S2_S2_S2_PKiPfP15HIP_vector_typeIfLj2EEffffjfiS6_IjLj3EEiiiiiiiiiiiliiliiiiil
                                        ; -- End function
	.section	.AMDGPU.csdata,"",@progbits
; Kernel info:
; codeLenInByte = 29196
; NumSgprs: 53
; NumVgprs: 190
; ScratchSize: 0
; MemoryBound: 0
; FloatMode: 240
; IeeeMode: 1
; LDSByteSize: 2304 bytes/workgroup (compile time only)
; SGPRBlocks: 6
; VGPRBlocks: 23
; NumSGPRsForWavesPerEU: 53
; NumVGPRsForWavesPerEU: 190
; Occupancy: 8
; WaveLimiterHint : 0
; COMPUTE_PGM_RSRC2:SCRATCH_EN: 0
; COMPUTE_PGM_RSRC2:USER_SGPR: 13
; COMPUTE_PGM_RSRC2:TRAP_HANDLER: 0
; COMPUTE_PGM_RSRC2:TGID_X_EN: 1
; COMPUTE_PGM_RSRC2:TGID_Y_EN: 1
; COMPUTE_PGM_RSRC2:TGID_Z_EN: 1
; COMPUTE_PGM_RSRC2:TIDIG_COMP_CNT: 1
	.section	.text._ZL18flash_attn_ext_vecILi256ELi2EL9ggml_type6ELS0_3ELb0EEvPKcS2_S2_S2_S2_PKiPfP15HIP_vector_typeIfLj2EEffffjfiS6_IjLj3EEiiiiiiiiiiiliiliiiiil,"axG",@progbits,_ZL18flash_attn_ext_vecILi256ELi2EL9ggml_type6ELS0_3ELb0EEvPKcS2_S2_S2_S2_PKiPfP15HIP_vector_typeIfLj2EEffffjfiS6_IjLj3EEiiiiiiiiiiiliiliiiiil,comdat
	.globl	_ZL18flash_attn_ext_vecILi256ELi2EL9ggml_type6ELS0_3ELb0EEvPKcS2_S2_S2_S2_PKiPfP15HIP_vector_typeIfLj2EEffffjfiS6_IjLj3EEiiiiiiiiiiiliiliiiiil ; -- Begin function _ZL18flash_attn_ext_vecILi256ELi2EL9ggml_type6ELS0_3ELb0EEvPKcS2_S2_S2_S2_PKiPfP15HIP_vector_typeIfLj2EEffffjfiS6_IjLj3EEiiiiiiiiiiiliiliiiiil
	.p2align	8
	.type	_ZL18flash_attn_ext_vecILi256ELi2EL9ggml_type6ELS0_3ELb0EEvPKcS2_S2_S2_S2_PKiPfP15HIP_vector_typeIfLj2EEffffjfiS6_IjLj3EEiiiiiiiiiiiliiliiiiil,@function
_ZL18flash_attn_ext_vecILi256ELi2EL9ggml_type6ELS0_3ELb0EEvPKcS2_S2_S2_S2_PKiPfP15HIP_vector_typeIfLj2EEffffjfiS6_IjLj3EEiiiiiiiiiiiliiliiiiil: ; @_ZL18flash_attn_ext_vecILi256ELi2EL9ggml_type6ELS0_3ELb0EEvPKcS2_S2_S2_S2_PKiPfP15HIP_vector_typeIfLj2EEffffjfiS6_IjLj3EEiiiiiiiiiiiliiliiiiil
; %bb.0:
	s_clause 0x2
	s_load_b64 s[34:35], s[2:3], 0x64
	s_load_b64 s[36:37], s[2:3], 0x80
	;; [unrolled: 1-line block ×3, first 2 shown]
	v_mov_b32_e32 v135, 1.0
	s_waitcnt lgkmcnt(0)
	v_cvt_f32_u32_e32 v1, s35
	s_sub_i32 s5, 0, s35
	s_delay_alu instid0(VALU_DEP_1) | instskip(SKIP_2) | instid1(VALU_DEP_1)
	v_rcp_iflag_f32_e32 v1, v1
	s_waitcnt_depctr 0xfff
	v_mul_f32_e32 v1, 0x4f7ffffe, v1
	v_cvt_u32_f32_e32 v1, v1
	s_delay_alu instid0(VALU_DEP_1) | instskip(NEXT) | instid1(VALU_DEP_1)
	v_readfirstlane_b32 s4, v1
	s_mul_i32 s5, s5, s4
	s_delay_alu instid0(SALU_CYCLE_1) | instskip(NEXT) | instid1(SALU_CYCLE_1)
	s_mul_hi_u32 s5, s4, s5
	s_add_i32 s4, s4, s5
	s_delay_alu instid0(SALU_CYCLE_1) | instskip(NEXT) | instid1(SALU_CYCLE_1)
	s_mul_hi_u32 s4, s15, s4
	s_mul_i32 s5, s4, s35
	s_add_i32 s6, s4, 1
	s_sub_i32 s5, s15, s5
	s_delay_alu instid0(SALU_CYCLE_1)
	s_sub_i32 s7, s5, s35
	s_cmp_ge_u32 s5, s35
	s_cselect_b32 s4, s6, s4
	s_cselect_b32 s5, s7, s5
	s_add_i32 s6, s4, 1
	s_cmp_ge_u32 s5, s35
	s_cselect_b32 s33, s6, s4
	s_abs_i32 s4, s37
	s_abs_i32 s8, s35
	v_cvt_f32_u32_e32 v1, s4
	s_sub_i32 s6, 0, s4
	s_xor_b32 s7, s35, s37
	s_delay_alu instid0(SALU_CYCLE_1) | instskip(NEXT) | instid1(VALU_DEP_1)
	s_ashr_i32 s7, s7, 31
	v_rcp_iflag_f32_e32 v1, v1
	s_waitcnt_depctr 0xfff
	v_mul_f32_e32 v1, 0x4f7ffffe, v1
	s_delay_alu instid0(VALU_DEP_1) | instskip(NEXT) | instid1(VALU_DEP_1)
	v_cvt_u32_f32_e32 v1, v1
	v_readfirstlane_b32 s5, v1
	s_delay_alu instid0(VALU_DEP_1) | instskip(NEXT) | instid1(SALU_CYCLE_1)
	s_mul_i32 s6, s6, s5
	s_mul_hi_u32 s6, s5, s6
	s_delay_alu instid0(SALU_CYCLE_1) | instskip(SKIP_4) | instid1(SALU_CYCLE_1)
	s_add_i32 s5, s5, s6
	s_mul_i32 s6, s33, s35
	s_mul_hi_u32 s5, s8, s5
	s_sub_i32 s12, s15, s6
	s_mul_i32 s9, s5, s4
	s_sub_i32 s6, s8, s9
	s_add_i32 s8, s5, 1
	s_sub_i32 s9, s6, s4
	s_cmp_ge_u32 s6, s4
	s_cselect_b32 s5, s8, s5
	s_cselect_b32 s6, s9, s6
	s_add_i32 s8, s5, 1
	s_cmp_ge_u32 s6, s4
	s_cselect_b32 s4, s8, s5
	s_abs_i32 s38, s38
	s_xor_b32 s4, s4, s7
	v_cvt_f32_u32_e32 v1, s38
	s_sub_i32 s40, s4, s7
	s_clause 0x1
	s_load_b128 s[8:11], s[2:3], 0x40
	s_load_b32 s4, s[2:3], 0x50
	s_abs_i32 s42, s40
	v_rcp_iflag_f32_e32 v1, v1
	v_cvt_f32_u32_e32 v2, s42
	s_delay_alu instid0(VALU_DEP_1) | instskip(SKIP_2) | instid1(VALU_DEP_1)
	v_rcp_iflag_f32_e32 v2, v2
	s_waitcnt_depctr 0xfff
	v_mul_f32_e32 v1, 0x4f7ffffe, v1
	v_cvt_u32_f32_e32 v1, v1
	v_mul_f32_e32 v2, 0x4f7ffffe, v2
	s_waitcnt lgkmcnt(0)
	v_cmp_le_f32_e64 s5, s9, 0
	s_delay_alu instid0(VALU_DEP_3) | instskip(NEXT) | instid1(VALU_DEP_3)
	v_readfirstlane_b32 s9, v1
	v_cvt_u32_f32_e32 v2, v2
	s_delay_alu instid0(VALU_DEP_3) | instskip(NEXT) | instid1(VALU_DEP_1)
	s_and_b32 vcc_lo, exec_lo, s5
	v_readfirstlane_b32 s41, v2
	s_cbranch_vccnz .LBB28_2
; %bb.1:
	s_sub_i32 s5, s12, s4
	s_add_i32 s6, s12, 1
	s_lshl_b32 s5, s5, 1
	v_mov_b32_e32 v1, s10
	s_or_b32 s5, s5, 1
	s_cmp_lt_u32 s12, s4
	s_cselect_b32 vcc_lo, -1, 0
	s_delay_alu instid0(VALU_DEP_1)
	v_cndmask_b32_e32 v3, s11, v1, vcc_lo
	s_and_b32 s4, vcc_lo, exec_lo
	s_cselect_b32 s4, s6, s5
	s_mov_b32 s5, 0x3e76c4e1
	v_cvt_f32_i32_e32 v1, s4
	v_cmp_neq_f32_e32 vcc_lo, 1.0, v3
	s_delay_alu instid0(VALU_DEP_2) | instskip(NEXT) | instid1(VALU_DEP_1)
	v_cndmask_b32_e32 v4, 1.0, v1, vcc_lo
	v_cmp_eq_f32_e32 vcc_lo, 0, v4
	v_cndmask_b32_e64 v5, |v3|, 1.0, vcc_lo
	s_delay_alu instid0(VALU_DEP_1) | instskip(NEXT) | instid1(VALU_DEP_1)
	v_frexp_mant_f32_e32 v1, v5
	v_cmp_gt_f32_e64 s4, 0x3f2aaaab, v1
	s_delay_alu instid0(VALU_DEP_1) | instskip(NEXT) | instid1(VALU_DEP_1)
	v_cndmask_b32_e64 v2, 1.0, 2.0, s4
	v_mul_f32_e32 v1, v1, v2
	s_delay_alu instid0(VALU_DEP_1) | instskip(SKIP_1) | instid1(VALU_DEP_2)
	v_add_f32_e32 v2, 1.0, v1
	v_add_f32_e32 v7, -1.0, v1
	v_rcp_f32_e32 v6, v2
	s_waitcnt_depctr 0xfff
	v_mul_f32_e32 v8, v7, v6
	s_delay_alu instid0(VALU_DEP_1) | instskip(NEXT) | instid1(VALU_DEP_1)
	v_dual_add_f32 v9, -1.0, v2 :: v_dual_mul_f32 v10, v2, v8
	v_sub_f32_e32 v1, v1, v9
	v_cndmask_b32_e64 v3, v3, 1.0, vcc_lo
	s_delay_alu instid0(VALU_DEP_3) | instskip(NEXT) | instid1(VALU_DEP_2)
	v_fma_f32 v2, v8, v2, -v10
	v_cmp_eq_f32_e64 s6, 0, v3
	s_delay_alu instid0(VALU_DEP_2) | instskip(NEXT) | instid1(VALU_DEP_1)
	v_fmac_f32_e32 v2, v8, v1
	v_add_f32_e32 v1, v10, v2
	s_delay_alu instid0(VALU_DEP_1) | instskip(NEXT) | instid1(VALU_DEP_1)
	v_dual_sub_f32 v10, v1, v10 :: v_dual_sub_f32 v9, v7, v1
	v_dual_sub_f32 v2, v10, v2 :: v_dual_sub_f32 v7, v7, v9
	s_delay_alu instid0(VALU_DEP_1) | instskip(NEXT) | instid1(VALU_DEP_1)
	v_sub_f32_e32 v1, v7, v1
	v_add_f32_e32 v1, v2, v1
	s_delay_alu instid0(VALU_DEP_1) | instskip(NEXT) | instid1(VALU_DEP_1)
	v_add_f32_e32 v1, v9, v1
	v_mul_f32_e32 v1, v6, v1
	s_delay_alu instid0(VALU_DEP_1) | instskip(NEXT) | instid1(VALU_DEP_1)
	v_add_f32_e32 v6, v8, v1
	v_sub_f32_e32 v2, v6, v8
	v_mul_f32_e32 v7, v6, v6
	s_delay_alu instid0(VALU_DEP_2) | instskip(NEXT) | instid1(VALU_DEP_2)
	v_sub_f32_e32 v8, v1, v2
	v_fma_f32 v9, v6, v6, -v7
	s_delay_alu instid0(VALU_DEP_2) | instskip(NEXT) | instid1(VALU_DEP_1)
	v_add_f32_e32 v1, v8, v8
	v_fmac_f32_e32 v9, v6, v1
	v_cvt_f64_f32_e32 v[1:2], v5
	s_delay_alu instid0(VALU_DEP_2) | instskip(NEXT) | instid1(VALU_DEP_1)
	v_add_f32_e32 v10, v7, v9
	v_fmaak_f32 v11, s5, v10, 0x3e91f4c4
	v_sub_f32_e32 v7, v10, v7
	v_mul_f32_e32 v14, v6, v10
	s_delay_alu instid0(VALU_DEP_3) | instskip(NEXT) | instid1(VALU_DEP_3)
	v_fmaak_f32 v11, v10, v11, 0x3ecccdef
	v_sub_f32_e32 v7, v9, v7
	s_delay_alu instid0(VALU_DEP_2) | instskip(NEXT) | instid1(VALU_DEP_1)
	v_mul_f32_e32 v12, v10, v11
	v_fma_f32 v9, v10, v11, -v12
	s_delay_alu instid0(VALU_DEP_1) | instskip(NEXT) | instid1(VALU_DEP_1)
	v_fmac_f32_e32 v9, v7, v11
	v_add_f32_e32 v11, v12, v9
	v_frexp_exp_i32_f64_e32 v1, v[1:2]
	s_delay_alu instid0(VALU_DEP_2) | instskip(NEXT) | instid1(VALU_DEP_1)
	v_sub_f32_e32 v12, v11, v12
	v_sub_f32_e32 v2, v9, v12
	v_fma_f32 v12, v10, v6, -v14
	s_delay_alu instid0(VALU_DEP_2) | instskip(NEXT) | instid1(VALU_DEP_2)
	v_add_f32_e32 v2, 0x31739010, v2
	v_dual_add_f32 v13, 0x3f2aaaaa, v11 :: v_dual_fmac_f32 v12, v10, v8
	v_ldexp_f32 v8, v8, 1
	s_delay_alu instid0(VALU_DEP_2) | instskip(NEXT) | instid1(VALU_DEP_1)
	v_dual_add_f32 v9, 0xbf2aaaaa, v13 :: v_dual_fmac_f32 v12, v7, v6
	v_sub_f32_e32 v9, v11, v9
	s_delay_alu instid0(VALU_DEP_1) | instskip(NEXT) | instid1(VALU_DEP_3)
	v_add_f32_e32 v2, v2, v9
	v_add_f32_e32 v9, v14, v12
	s_delay_alu instid0(VALU_DEP_2) | instskip(NEXT) | instid1(VALU_DEP_1)
	v_add_f32_e32 v7, v13, v2
	v_sub_f32_e32 v10, v13, v7
	s_delay_alu instid0(VALU_DEP_3) | instskip(SKIP_2) | instid1(VALU_DEP_4)
	v_mul_f32_e32 v11, v9, v7
	v_sub_f32_e32 v13, v9, v14
	v_subrev_co_ci_u32_e64 v1, s4, 0, v1, s4
	v_add_f32_e32 v2, v2, v10
	s_delay_alu instid0(VALU_DEP_4) | instskip(NEXT) | instid1(VALU_DEP_4)
	v_fma_f32 v10, v9, v7, -v11
	v_sub_f32_e32 v12, v12, v13
	s_delay_alu instid0(VALU_DEP_4) | instskip(NEXT) | instid1(VALU_DEP_3)
	v_cvt_f32_i32_e32 v1, v1
	v_fmac_f32_e32 v10, v9, v2
	v_ldexp_f32 v2, v6, 1
	s_delay_alu instid0(VALU_DEP_2) | instskip(NEXT) | instid1(VALU_DEP_1)
	v_fmac_f32_e32 v10, v12, v7
	v_add_f32_e32 v6, v11, v10
	s_delay_alu instid0(VALU_DEP_1) | instskip(NEXT) | instid1(VALU_DEP_1)
	v_add_f32_e32 v7, v2, v6
	v_dual_sub_f32 v2, v7, v2 :: v_dual_sub_f32 v9, v6, v11
	s_delay_alu instid0(VALU_DEP_1) | instskip(NEXT) | instid1(VALU_DEP_2)
	v_sub_f32_e32 v2, v6, v2
	v_sub_f32_e32 v9, v10, v9
	s_delay_alu instid0(VALU_DEP_1) | instskip(NEXT) | instid1(VALU_DEP_1)
	v_add_f32_e32 v6, v8, v9
	v_dual_mul_f32 v11, 0x3f317218, v1 :: v_dual_add_f32 v2, v6, v2
	s_delay_alu instid0(VALU_DEP_1) | instskip(NEXT) | instid1(VALU_DEP_2)
	v_fma_f32 v10, 0x3f317218, v1, -v11
	v_add_f32_e32 v8, v7, v2
	s_delay_alu instid0(VALU_DEP_1) | instskip(NEXT) | instid1(VALU_DEP_1)
	v_sub_f32_e32 v7, v8, v7
	v_dual_fmamk_f32 v1, v1, 0xb102e308, v10 :: v_dual_sub_f32 v2, v2, v7
	s_delay_alu instid0(VALU_DEP_1) | instskip(NEXT) | instid1(VALU_DEP_1)
	v_add_f32_e32 v6, v11, v1
	v_add_f32_e32 v9, v6, v8
	s_delay_alu instid0(VALU_DEP_1) | instskip(NEXT) | instid1(VALU_DEP_1)
	v_dual_sub_f32 v11, v6, v11 :: v_dual_sub_f32 v10, v9, v6
	v_sub_f32_e32 v12, v9, v10
	s_delay_alu instid0(VALU_DEP_2) | instskip(NEXT) | instid1(VALU_DEP_2)
	v_sub_f32_e32 v1, v1, v11
	v_dual_sub_f32 v7, v8, v10 :: v_dual_sub_f32 v6, v6, v12
	s_delay_alu instid0(VALU_DEP_2) | instskip(NEXT) | instid1(VALU_DEP_2)
	v_add_f32_e32 v8, v1, v2
	v_add_f32_e32 v6, v7, v6
	s_delay_alu instid0(VALU_DEP_1) | instskip(NEXT) | instid1(VALU_DEP_1)
	v_add_f32_e32 v6, v8, v6
	v_dual_sub_f32 v7, v8, v1 :: v_dual_add_f32 v10, v9, v6
	s_delay_alu instid0(VALU_DEP_1) | instskip(SKIP_1) | instid1(VALU_DEP_3)
	v_sub_f32_e32 v8, v8, v7
	v_sub_f32_e32 v2, v2, v7
	;; [unrolled: 1-line block ×3, first 2 shown]
	s_delay_alu instid0(VALU_DEP_3) | instskip(NEXT) | instid1(VALU_DEP_1)
	v_sub_f32_e32 v1, v1, v8
	v_add_f32_e32 v1, v2, v1
	s_delay_alu instid0(VALU_DEP_3) | instskip(NEXT) | instid1(VALU_DEP_1)
	v_sub_f32_e32 v2, v6, v7
	v_add_f32_e32 v1, v1, v2
	s_delay_alu instid0(VALU_DEP_1) | instskip(NEXT) | instid1(VALU_DEP_1)
	v_add_f32_e32 v2, v10, v1
	v_mul_f32_e32 v7, v4, v2
	v_sub_f32_e32 v6, v2, v10
	s_delay_alu instid0(VALU_DEP_2) | instskip(NEXT) | instid1(VALU_DEP_2)
	v_fma_f32 v2, v4, v2, -v7
	v_sub_f32_e32 v1, v1, v6
	v_cmp_class_f32_e64 s4, v7, 0x204
	s_delay_alu instid0(VALU_DEP_2) | instskip(NEXT) | instid1(VALU_DEP_1)
	v_fmac_f32_e32 v2, v4, v1
	v_add_f32_e32 v1, v7, v2
	s_delay_alu instid0(VALU_DEP_1) | instskip(NEXT) | instid1(VALU_DEP_1)
	v_cndmask_b32_e64 v6, v1, v7, s4
	v_cmp_eq_f32_e64 s4, 0x42b17218, v6
	s_delay_alu instid0(VALU_DEP_1) | instskip(SKIP_1) | instid1(VALU_DEP_2)
	v_cndmask_b32_e64 v8, 0, 0x37000000, s4
	v_cmp_neq_f32_e64 s4, 0x7f800000, |v6|
	v_sub_f32_e32 v9, v6, v8
	v_trunc_f32_e32 v6, v4
	s_delay_alu instid0(VALU_DEP_2) | instskip(NEXT) | instid1(VALU_DEP_1)
	v_mul_f32_e32 v10, 0x3fb8aa3b, v9
	v_fma_f32 v11, 0x3fb8aa3b, v9, -v10
	v_rndne_f32_e32 v12, v10
	s_delay_alu instid0(VALU_DEP_1) | instskip(NEXT) | instid1(VALU_DEP_1)
	v_dual_fmamk_f32 v11, v9, 0x32a5705f, v11 :: v_dual_sub_f32 v10, v10, v12
	v_add_f32_e32 v10, v10, v11
	v_sub_f32_e32 v1, v1, v7
	v_cvt_i32_f32_e32 v7, v12
	s_delay_alu instid0(VALU_DEP_3) | instskip(NEXT) | instid1(VALU_DEP_2)
	v_exp_f32_e32 v10, v10
	v_sub_f32_e32 v1, v2, v1
	s_delay_alu instid0(VALU_DEP_1)
	v_cndmask_b32_e64 v1, 0, v1, s4
	v_cmp_ngt_f32_e64 s4, 0xc2ce8ed0, v9
	s_waitcnt_depctr 0xfff
	v_ldexp_f32 v2, v10, v7
	v_mul_f32_e32 v7, 0.5, v4
	v_add_f32_e32 v1, v8, v1
	s_delay_alu instid0(VALU_DEP_3) | instskip(NEXT) | instid1(VALU_DEP_3)
	v_cndmask_b32_e64 v2, 0, v2, s4
	v_trunc_f32_e32 v10, v7
	v_cmp_nlt_f32_e64 s4, 0x42b17218, v9
	s_delay_alu instid0(VALU_DEP_2) | instskip(NEXT) | instid1(VALU_DEP_2)
	v_cmp_neq_f32_e64 s5, v10, v7
	v_cndmask_b32_e64 v2, 0x7f800000, v2, s4
	v_cmp_eq_f32_e64 s4, v6, v4
	s_delay_alu instid0(VALU_DEP_2) | instskip(NEXT) | instid1(VALU_DEP_2)
	v_fma_f32 v1, v2, v1, v2
	s_and_b32 vcc_lo, s4, s5
	v_cmp_class_f32_e64 s5, v2, 0x204
	v_cndmask_b32_e32 v6, 1.0, v3, vcc_lo
	s_delay_alu instid0(VALU_DEP_2) | instskip(SKIP_1) | instid1(VALU_DEP_2)
	v_cndmask_b32_e64 v1, v1, v2, s5
	v_cmp_gt_f32_e64 s5, 0, v4
	v_bfi_b32 v1, 0x7fffffff, v1, v6
	v_cndmask_b32_e32 v6, 0, v3, vcc_lo
	s_delay_alu instid0(VALU_DEP_3)
	s_xor_b32 s5, s5, s6
	v_cmp_eq_f32_e32 vcc_lo, 0x7f800000, v5
	v_cndmask_b32_e64 v2, 0x7f800000, 0, s5
	v_cndmask_b32_e64 v4, 0x7fc00000, v1, s4
	v_cmp_gt_f32_e64 s4, 0, v3
	s_or_b32 vcc_lo, vcc_lo, s6
	s_delay_alu instid0(VALU_DEP_3) | instskip(NEXT) | instid1(VALU_DEP_2)
	v_bfi_b32 v2, 0x7fffffff, v2, v6
	v_cndmask_b32_e64 v1, v1, v4, s4
	s_delay_alu instid0(VALU_DEP_1) | instskip(SKIP_1) | instid1(VALU_DEP_2)
	v_cndmask_b32_e32 v1, v1, v2, vcc_lo
	v_cmp_o_f32_e32 vcc_lo, v3, v3
	v_cndmask_b32_e32 v135, 0x7fc00000, v1, vcc_lo
.LBB28_2:
	s_load_b64 s[0:1], s[0:1], 0x4
	v_bfe_u32 v35, v0, 10, 10
	v_and_b32_e32 v38, 0x3ff, v0
	s_load_b512 s[16:31], s[2:3], 0x0
	v_bfe_u32 v0, v0, 20, 10
	s_lshl_b32 s15, s13, 1
	v_lshlrev_b32_e32 v36, 9, v35
	s_mov_b32 s7, exec_lo
	s_waitcnt lgkmcnt(0)
	v_mul_u32_u24_e32 v1, s1, v35
	s_lshr_b32 s0, s0, 16
	s_delay_alu instid0(SALU_CYCLE_1)
	s_mul_i32 s0, s0, s1
	s_delay_alu instid0(VALU_DEP_1) | instid1(SALU_CYCLE_1)
	v_mad_u32_u24 v1, s0, v38, v1
	v_cmp_lt_u32_e64 s0, 1, v35
	s_delay_alu instid0(VALU_DEP_2) | instskip(NEXT) | instid1(VALU_DEP_1)
	v_add_lshl_u32 v32, v1, v0, 5
	v_dual_mov_b32 v28, 0 :: v_dual_add_nc_u32 v1, 0xa0c, v32
	v_add_nc_u32_e32 v0, 0xa04, v32
	v_add_nc_u32_e32 v2, 0xa14, v32
	;; [unrolled: 1-line block ×3, first 2 shown]
	ds_store_2addr_b32 v0, v28, v28 offset1:1
	ds_store_2addr_b32 v1, v28, v28 offset1:1
	;; [unrolled: 1-line block ×3, first 2 shown]
	ds_store_2addr_b32 v3, v28, v28 offset0:128 offset1:135
	v_cmpx_gt_u32_e32 2, v35
	s_cbranch_execz .LBB28_17
; %bb.3:
	v_or_b32_e32 v0, s15, v35
	v_lshl_add_u32 v4, v38, 2, v36
	s_mov_b32 s1, exec_lo
	s_delay_alu instid0(VALU_DEP_2)
	v_cmpx_le_i32_e64 s34, v0
	s_xor_b32 s1, exec_lo, s1
	s_cbranch_execz .LBB28_7
; %bb.4:
	v_mov_b32_e32 v0, 0
	s_mov_b32 s4, exec_lo
	ds_store_2addr_b32 v4, v0, v0 offset1:32
	v_cmpx_gt_u32_e32 8, v38
	s_cbranch_execz .LBB28_6
; %bb.5:
	v_lshl_add_u32 v2, v38, 2, v4
	v_mov_b32_e32 v1, v0
	ds_store_b64 v2, v[0:1] offset:256
.LBB28_6:
	s_or_b32 exec_lo, exec_lo, s4
                                        ; implicit-def: $vgpr4
.LBB28_7:
	s_and_not1_saveexec_b32 s1, s1
	s_cbranch_execz .LBB28_17
; %bb.8:
	s_load_b128 s[44:47], s[2:3], 0x70
	v_lshlrev_b32_e32 v1, 4, v38
	s_mov_b32 s6, exec_lo
	s_waitcnt lgkmcnt(0)
	v_mul_lo_u32 v0, v35, s44
	s_mul_i32 s1, s33, s46
	s_mul_i32 s4, s15, s44
	;; [unrolled: 1-line block ×3, first 2 shown]
	s_add_i32 s1, s1, s4
	s_delay_alu instid0(SALU_CYCLE_1) | instskip(NEXT) | instid1(SALU_CYCLE_1)
	s_add_i32 s1, s1, s5
	s_ashr_i32 s4, s1, 31
	s_delay_alu instid0(VALU_DEP_1) | instskip(SKIP_3) | instid1(VALU_DEP_2)
	v_ashrrev_i32_e32 v2, 31, v0
	s_add_u32 s1, s16, s1
	s_addc_u32 s4, s17, s4
	v_add_co_u32 v0, vcc_lo, s1, v0
	v_add_co_ci_u32_e32 v2, vcc_lo, s4, v2, vcc_lo
	s_delay_alu instid0(VALU_DEP_2) | instskip(NEXT) | instid1(VALU_DEP_2)
	v_add_co_u32 v0, vcc_lo, v0, v1
	v_add_co_ci_u32_e32 v1, vcc_lo, 0, v2, vcc_lo
	v_mbcnt_lo_u32_b32 v2, -1, 0
	global_load_b128 v[12:15], v[0:1], off
	v_xor_b32_e32 v5, 4, v2
	v_xor_b32_e32 v9, 2, v2
	s_delay_alu instid0(VALU_DEP_2) | instskip(SKIP_1) | instid1(VALU_DEP_3)
	v_cmp_gt_i32_e32 vcc_lo, 32, v5
	v_cndmask_b32_e32 v5, v2, v5, vcc_lo
	v_cmp_gt_i32_e32 vcc_lo, 32, v9
	s_delay_alu instid0(VALU_DEP_2) | instskip(SKIP_4) | instid1(VALU_DEP_2)
	v_lshlrev_b32_e32 v5, 2, v5
	v_cndmask_b32_e32 v9, v2, v9, vcc_lo
	s_waitcnt vmcnt(0)
	v_dual_mul_f32 v3, s8, v12 :: v_dual_mul_f32 v12, s8, v14
	v_dual_mul_f32 v8, s8, v13 :: v_dual_mul_f32 v11, s8, v15
	v_max_f32_e64 v6, |v3|, |v3|
	s_delay_alu instid0(VALU_DEP_1) | instskip(NEXT) | instid1(VALU_DEP_1)
	v_max_f32_e64 v6, v6, |v8|
	v_max3_f32 v6, v6, |v12|, |v11|
	ds_bpermute_b32 v7, v5, v6
	s_waitcnt lgkmcnt(0)
	v_dual_max_f32 v10, v7, v7 :: v_dual_lshlrev_b32 v7, 2, v9
	s_delay_alu instid0(VALU_DEP_1)
	v_max_f32_e32 v9, v6, v10
	v_xor_b32_e32 v10, 1, v2
	ds_bpermute_b32 v6, v7, v9
	v_cmp_gt_i32_e32 vcc_lo, 32, v10
	v_cndmask_b32_e32 v2, v2, v10, vcc_lo
	s_waitcnt lgkmcnt(0)
	v_max_f32_e32 v10, v6, v6
	s_delay_alu instid0(VALU_DEP_2) | instskip(NEXT) | instid1(VALU_DEP_2)
	v_lshlrev_b32_e32 v6, 2, v2
	v_max_f32_e32 v2, v9, v10
	v_fma_f32 v10, s8, v13, v3
	ds_bpermute_b32 v9, v6, v2
	s_waitcnt lgkmcnt(0)
	v_dual_fmac_f32 v10, s8, v14 :: v_dual_max_f32 v9, v9, v9
	s_delay_alu instid0(VALU_DEP_1) | instskip(NEXT) | instid1(VALU_DEP_2)
	v_fmac_f32_e32 v10, s8, v15
	v_max_f32_e32 v2, v2, v9
	ds_bpermute_b32 v13, v5, v10
	v_div_scale_f32 v14, null, 0x42fe0000, 0x42fe0000, v2
	v_div_scale_f32 v16, vcc_lo, v2, 0x42fe0000, v2
	s_delay_alu instid0(VALU_DEP_2)
	v_rcp_f32_e32 v15, v14
	s_waitcnt lgkmcnt(0)
	v_add_f32_e32 v9, v10, v13
	s_waitcnt_depctr 0xfff
	v_fma_f32 v10, -v14, v15, 1.0
	ds_bpermute_b32 v13, v7, v9
	v_fmac_f32_e32 v15, v10, v15
	s_delay_alu instid0(VALU_DEP_1) | instskip(NEXT) | instid1(VALU_DEP_1)
	v_mul_f32_e32 v17, v16, v15
	v_fma_f32 v10, -v14, v17, v16
	s_delay_alu instid0(VALU_DEP_1) | instskip(SKIP_2) | instid1(VALU_DEP_2)
	v_fmac_f32_e32 v17, v10, v15
	s_waitcnt lgkmcnt(0)
	v_add_f32_e32 v9, v9, v13
	v_fma_f32 v13, -v14, v17, v16
	ds_bpermute_b32 v10, v6, v9
	v_div_fmas_f32 v13, v13, v15, v17
	s_delay_alu instid0(VALU_DEP_1) | instskip(SKIP_1) | instid1(VALU_DEP_2)
	v_div_fixup_f32 v2, v13, 0x42fe0000, v2
	v_mov_b32_e32 v13, 0
	v_cmpx_neq_f32_e32 0, v2
	s_cbranch_execz .LBB28_10
; %bb.9:
	v_div_scale_f32 v13, null, v2, v2, v3
	v_div_scale_f32 v14, null, v2, v2, v8
	;; [unrolled: 1-line block ×3, first 2 shown]
	s_delay_alu instid0(VALU_DEP_3) | instskip(SKIP_1) | instid1(VALU_DEP_3)
	v_rcp_f32_e32 v15, v13
	v_div_scale_f32 v17, null, v2, v2, v11
	v_rcp_f32_e32 v18, v14
	s_delay_alu instid0(VALU_DEP_2) | instskip(SKIP_1) | instid1(VALU_DEP_2)
	v_rcp_f32_e32 v19, v16
	v_div_scale_f32 v23, vcc_lo, v3, v2, v3
	v_rcp_f32_e32 v20, v17
	v_fma_f32 v21, -v13, v15, 1.0
	s_delay_alu instid0(TRANS32_DEP_3)
	v_fma_f32 v22, -v14, v18, 1.0
	s_waitcnt_depctr 0xfff
	v_fma_f32 v24, -v16, v19, 1.0
	v_fmac_f32_e32 v15, v21, v15
	v_div_scale_f32 v21, s1, v8, v2, v8
	v_fmac_f32_e32 v18, v22, v18
	v_fma_f32 v25, -v17, v20, 1.0
	v_fmac_f32_e32 v19, v24, v19
	v_div_scale_f32 v22, s4, v12, v2, v12
	s_delay_alu instid0(VALU_DEP_4) | instskip(NEXT) | instid1(VALU_DEP_4)
	v_mul_f32_e32 v26, v21, v18
	v_dual_fmac_f32 v20, v25, v20 :: v_dual_mul_f32 v25, v23, v15
	v_div_scale_f32 v24, s5, v11, v2, v11
	s_delay_alu instid0(VALU_DEP_3) | instskip(SKIP_1) | instid1(VALU_DEP_4)
	v_fma_f32 v31, -v14, v26, v21
	v_mul_f32_e32 v27, v22, v19
	v_fma_f32 v30, -v13, v25, v23
	s_delay_alu instid0(VALU_DEP_3) | instskip(NEXT) | instid1(VALU_DEP_3)
	v_fmac_f32_e32 v26, v31, v18
	v_fma_f32 v33, -v16, v27, v22
	s_delay_alu instid0(VALU_DEP_3) | instskip(NEXT) | instid1(VALU_DEP_3)
	v_fmac_f32_e32 v25, v30, v15
	;; [unrolled: 3-line block ×3, first 2 shown]
	v_fma_f32 v13, -v13, v25, v23
	s_delay_alu instid0(VALU_DEP_2) | instskip(NEXT) | instid1(VALU_DEP_2)
	v_fma_f32 v16, -v16, v27, v22
	v_div_fmas_f32 v13, v13, v15, v25
	s_mov_b32 vcc_lo, s1
	v_div_fmas_f32 v14, v14, v18, v26
	s_mov_b32 vcc_lo, s4
	s_delay_alu instid0(VALU_DEP_2) | instskip(SKIP_3) | instid1(VALU_DEP_3)
	v_div_fixup_f32 v3, v13, v2, v3
	v_div_fmas_f32 v15, v16, v19, v27
	s_mov_b32 vcc_lo, s5
	v_div_fixup_f32 v8, v14, v2, v8
	v_trunc_f32_e32 v18, v3
	v_mul_f32_e32 v29, v24, v20
	v_div_fixup_f32 v12, v15, v2, v12
	s_delay_alu instid0(VALU_DEP_2) | instskip(NEXT) | instid1(VALU_DEP_2)
	v_fma_f32 v34, -v17, v29, v24
	v_trunc_f32_e32 v14, v12
	s_delay_alu instid0(VALU_DEP_2) | instskip(NEXT) | instid1(VALU_DEP_1)
	v_fmac_f32_e32 v29, v34, v20
	v_fma_f32 v16, -v17, v29, v24
	s_delay_alu instid0(VALU_DEP_1) | instskip(NEXT) | instid1(VALU_DEP_4)
	v_div_fmas_f32 v15, v16, v20, v29
	v_sub_f32_e32 v16, v12, v14
	s_delay_alu instid0(VALU_DEP_2) | instskip(NEXT) | instid1(VALU_DEP_2)
	v_div_fixup_f32 v11, v15, v2, v11
	v_cmp_ge_f32_e64 s1, |v16|, 0.5
	v_trunc_f32_e32 v15, v8
	s_delay_alu instid0(VALU_DEP_3) | instskip(NEXT) | instid1(VALU_DEP_3)
	v_trunc_f32_e32 v13, v11
	v_cndmask_b32_e64 v16, 0, 1.0, s1
	s_delay_alu instid0(VALU_DEP_3) | instskip(NEXT) | instid1(VALU_DEP_2)
	v_sub_f32_e32 v17, v8, v15
	v_bfi_b32 v12, 0x7fffffff, v16, v12
	s_delay_alu instid0(VALU_DEP_2) | instskip(SKIP_1) | instid1(VALU_DEP_3)
	v_cmp_ge_f32_e64 s1, |v17|, 0.5
	v_sub_f32_e32 v16, v3, v18
	v_add_f32_e32 v12, v14, v12
	s_delay_alu instid0(VALU_DEP_3) | instskip(NEXT) | instid1(VALU_DEP_2)
	v_cndmask_b32_e64 v17, 0, 1.0, s1
	v_cvt_i32_f32_e32 v12, v12
	v_sub_f32_e32 v19, v11, v13
	s_delay_alu instid0(VALU_DEP_3) | instskip(NEXT) | instid1(VALU_DEP_3)
	v_bfi_b32 v8, 0x7fffffff, v17, v8
	v_and_b32_e32 v12, 0xff, v12
	s_delay_alu instid0(VALU_DEP_3) | instskip(NEXT) | instid1(VALU_DEP_3)
	v_cmp_ge_f32_e64 s1, |v19|, 0.5
	v_add_f32_e32 v8, v15, v8
	s_delay_alu instid0(VALU_DEP_3) | instskip(NEXT) | instid1(VALU_DEP_3)
	v_lshlrev_b32_e32 v12, 16, v12
	v_cndmask_b32_e64 v19, 0, 1.0, s1
	v_cmp_ge_f32_e64 s1, |v16|, 0.5
	s_delay_alu instid0(VALU_DEP_4) | instskip(NEXT) | instid1(VALU_DEP_3)
	v_cvt_i32_f32_e32 v8, v8
	v_bfi_b32 v11, 0x7fffffff, v19, v11
	s_delay_alu instid0(VALU_DEP_3) | instskip(NEXT) | instid1(VALU_DEP_2)
	v_cndmask_b32_e64 v14, 0, 1.0, s1
	v_dual_add_f32 v11, v13, v11 :: v_dual_and_b32 v8, 0xff, v8
	s_delay_alu instid0(VALU_DEP_2) | instskip(NEXT) | instid1(VALU_DEP_2)
	v_bfi_b32 v3, 0x7fffffff, v14, v3
	v_lshlrev_b32_e32 v8, 8, v8
	s_delay_alu instid0(VALU_DEP_3) | instskip(NEXT) | instid1(VALU_DEP_3)
	v_cvt_i32_f32_e32 v11, v11
	v_add_f32_e32 v3, v18, v3
	s_delay_alu instid0(VALU_DEP_2) | instskip(NEXT) | instid1(VALU_DEP_2)
	v_lshl_or_b32 v11, v11, 24, v12
	v_cvt_i32_f32_e32 v3, v3
	s_delay_alu instid0(VALU_DEP_1) | instskip(NEXT) | instid1(VALU_DEP_1)
	v_and_b32_e32 v3, 0xff, v3
	v_or3_b32 v13, v11, v8, v3
.LBB28_10:
	s_or_b32 exec_lo, exec_lo, s6
	v_and_b32_e32 v3, 7, v38
	v_add_nc_u32_e32 v8, v36, v38
	ds_store_b32 v4, v13
	v_cmp_eq_u32_e64 s1, 0, v3
	s_delay_alu instid0(VALU_DEP_1)
	s_and_saveexec_b32 s4, s1
	s_cbranch_execz .LBB28_12
; %bb.11:
	s_waitcnt lgkmcnt(1)
	v_add_f32_e32 v3, v9, v10
	ds_store_b64 v8, v[2:3] offset:256
.LBB28_12:
	s_or_b32 exec_lo, exec_lo, s4
	global_load_b128 v[11:14], v[0:1], off offset:512
	s_waitcnt vmcnt(0) lgkmcnt(1)
	v_dual_mul_f32 v3, s8, v11 :: v_dual_mul_f32 v10, s8, v14
	v_mul_f32_e32 v9, s8, v12
	s_delay_alu instid0(VALU_DEP_2) | instskip(SKIP_1) | instid1(VALU_DEP_2)
	v_max_f32_e64 v0, |v3|, |v3|
	v_fma_f32 v2, s8, v12, v3
	v_max_f32_e64 v0, v0, |v9|
	s_delay_alu instid0(VALU_DEP_2) | instskip(NEXT) | instid1(VALU_DEP_1)
	v_fmac_f32_e32 v2, s8, v13
	v_dual_mul_f32 v11, s8, v13 :: v_dual_fmac_f32 v2, s8, v14
	s_delay_alu instid0(VALU_DEP_1)
	v_max3_f32 v0, v0, |v11|, |v10|
	s_mov_b32 s8, exec_lo
	ds_bpermute_b32 v1, v5, v0
	ds_bpermute_b32 v5, v5, v2
	s_waitcnt lgkmcnt(1)
	v_max_f32_e32 v1, v1, v1
	s_delay_alu instid0(VALU_DEP_1) | instskip(SKIP_3) | instid1(VALU_DEP_1)
	v_max_f32_e32 v0, v0, v1
	ds_bpermute_b32 v1, v7, v0
	s_waitcnt lgkmcnt(0)
	v_max_f32_e32 v1, v1, v1
	v_max_f32_e32 v0, v0, v1
	ds_bpermute_b32 v1, v6, v0
	s_waitcnt lgkmcnt(0)
	v_max_f32_e32 v1, v1, v1
	s_delay_alu instid0(VALU_DEP_1) | instskip(SKIP_1) | instid1(VALU_DEP_2)
	v_max_f32_e32 v0, v0, v1
	v_add_f32_e32 v1, v2, v5
	v_div_scale_f32 v12, null, 0x42fe0000, 0x42fe0000, v0
	ds_bpermute_b32 v5, v7, v1
	v_div_scale_f32 v7, vcc_lo, v0, 0x42fe0000, v0
	v_rcp_f32_e32 v13, v12
	s_waitcnt_depctr 0xfff
	v_fma_f32 v2, -v12, v13, 1.0
	s_delay_alu instid0(VALU_DEP_1) | instskip(SKIP_2) | instid1(VALU_DEP_2)
	v_fmac_f32_e32 v13, v2, v13
	s_waitcnt lgkmcnt(0)
	v_add_f32_e32 v1, v1, v5
	v_mul_f32_e32 v14, v7, v13
	s_delay_alu instid0(VALU_DEP_1) | instskip(NEXT) | instid1(VALU_DEP_1)
	v_fma_f32 v2, -v12, v14, v7
	v_fmac_f32_e32 v14, v2, v13
	ds_bpermute_b32 v2, v6, v1
	v_fma_f32 v5, -v12, v14, v7
	s_delay_alu instid0(VALU_DEP_1) | instskip(NEXT) | instid1(VALU_DEP_1)
	v_div_fmas_f32 v5, v5, v13, v14
	v_div_fixup_f32 v0, v5, 0x42fe0000, v0
	v_mov_b32_e32 v5, 0
	s_delay_alu instid0(VALU_DEP_2)
	v_cmpx_neq_f32_e32 0, v0
	s_cbranch_execz .LBB28_14
; %bb.13:
	v_div_scale_f32 v5, null, v0, v0, v3
	v_div_scale_f32 v6, null, v0, v0, v9
	v_div_scale_f32 v12, null, v0, v0, v11
	s_delay_alu instid0(VALU_DEP_3) | instskip(SKIP_1) | instid1(VALU_DEP_3)
	v_rcp_f32_e32 v7, v5
	v_div_scale_f32 v13, null, v0, v0, v10
	v_rcp_f32_e32 v14, v6
	s_delay_alu instid0(VALU_DEP_2) | instskip(SKIP_1) | instid1(VALU_DEP_2)
	v_rcp_f32_e32 v15, v12
	v_div_scale_f32 v19, vcc_lo, v3, v0, v3
	v_rcp_f32_e32 v16, v13
	v_fma_f32 v17, -v5, v7, 1.0
	s_delay_alu instid0(TRANS32_DEP_3)
	v_fma_f32 v18, -v6, v14, 1.0
	s_waitcnt_depctr 0xfff
	v_fma_f32 v20, -v12, v15, 1.0
	v_fmac_f32_e32 v7, v17, v7
	v_div_scale_f32 v17, s4, v9, v0, v9
	v_fmac_f32_e32 v14, v18, v14
	v_fma_f32 v21, -v13, v16, 1.0
	v_fmac_f32_e32 v15, v20, v15
	v_div_scale_f32 v18, s5, v11, v0, v11
	s_delay_alu instid0(VALU_DEP_4) | instskip(NEXT) | instid1(VALU_DEP_4)
	v_mul_f32_e32 v22, v17, v14
	v_dual_fmac_f32 v16, v21, v16 :: v_dual_mul_f32 v21, v19, v7
	v_div_scale_f32 v20, s6, v10, v0, v10
	s_delay_alu instid0(VALU_DEP_4) | instskip(NEXT) | instid1(VALU_DEP_4)
	v_mul_f32_e32 v23, v18, v15
	v_fma_f32 v26, -v6, v22, v17
	s_delay_alu instid0(VALU_DEP_4) | instskip(NEXT) | instid1(VALU_DEP_4)
	v_fma_f32 v25, -v5, v21, v19
	v_mul_f32_e32 v24, v20, v16
	s_delay_alu instid0(VALU_DEP_4) | instskip(NEXT) | instid1(VALU_DEP_3)
	v_fma_f32 v27, -v12, v23, v18
	v_dual_fmac_f32 v22, v26, v14 :: v_dual_fmac_f32 v21, v25, v7
	s_delay_alu instid0(VALU_DEP_3) | instskip(NEXT) | instid1(VALU_DEP_3)
	v_fma_f32 v29, -v13, v24, v20
	v_fmac_f32_e32 v23, v27, v15
	s_delay_alu instid0(VALU_DEP_3) | instskip(NEXT) | instid1(VALU_DEP_4)
	v_fma_f32 v6, -v6, v22, v17
	v_fma_f32 v5, -v5, v21, v19
	s_delay_alu instid0(VALU_DEP_4) | instskip(NEXT) | instid1(VALU_DEP_4)
	v_fmac_f32_e32 v24, v29, v16
	v_fma_f32 v12, -v12, v23, v18
	s_delay_alu instid0(VALU_DEP_3) | instskip(SKIP_3) | instid1(VALU_DEP_2)
	v_div_fmas_f32 v5, v5, v7, v21
	s_mov_b32 vcc_lo, s4
	v_div_fmas_f32 v6, v6, v14, v22
	s_mov_b32 vcc_lo, s5
	v_div_fixup_f32 v3, v5, v0, v3
	v_div_fmas_f32 v7, v12, v15, v23
	v_fma_f32 v12, -v13, v24, v20
	s_mov_b32 vcc_lo, s6
	v_div_fixup_f32 v6, v6, v0, v9
	v_trunc_f32_e32 v14, v3
	v_div_fixup_f32 v7, v7, v0, v11
	v_div_fmas_f32 v11, v12, v16, v24
	s_delay_alu instid0(VALU_DEP_2) | instskip(NEXT) | instid1(VALU_DEP_2)
	v_trunc_f32_e32 v9, v7
	v_div_fixup_f32 v10, v11, v0, v10
	v_trunc_f32_e32 v11, v6
	s_delay_alu instid0(VALU_DEP_3) | instskip(NEXT) | instid1(VALU_DEP_3)
	v_sub_f32_e32 v12, v7, v9
	v_trunc_f32_e32 v5, v10
	s_delay_alu instid0(VALU_DEP_3) | instskip(NEXT) | instid1(VALU_DEP_3)
	v_sub_f32_e32 v13, v6, v11
	v_cmp_ge_f32_e64 s4, |v12|, 0.5
	s_delay_alu instid0(VALU_DEP_3) | instskip(NEXT) | instid1(VALU_DEP_2)
	v_sub_f32_e32 v15, v10, v5
	v_cndmask_b32_e64 v12, 0, 1.0, s4
	s_delay_alu instid0(VALU_DEP_4) | instskip(NEXT) | instid1(VALU_DEP_2)
	v_cmp_ge_f32_e64 s4, |v13|, 0.5
	v_bfi_b32 v7, 0x7fffffff, v12, v7
	v_sub_f32_e32 v12, v3, v14
	s_delay_alu instid0(VALU_DEP_3) | instskip(SKIP_1) | instid1(VALU_DEP_2)
	v_cndmask_b32_e64 v13, 0, 1.0, s4
	v_cmp_ge_f32_e64 s4, |v15|, 0.5
	v_bfi_b32 v6, 0x7fffffff, v13, v6
	s_delay_alu instid0(VALU_DEP_2) | instskip(SKIP_1) | instid1(VALU_DEP_3)
	v_cndmask_b32_e64 v15, 0, 1.0, s4
	v_cmp_ge_f32_e64 s4, |v12|, 0.5
	v_dual_add_f32 v7, v9, v7 :: v_dual_add_f32 v6, v11, v6
	s_delay_alu instid0(VALU_DEP_3) | instskip(NEXT) | instid1(VALU_DEP_3)
	v_bfi_b32 v10, 0x7fffffff, v15, v10
	v_cndmask_b32_e64 v9, 0, 1.0, s4
	s_delay_alu instid0(VALU_DEP_3) | instskip(NEXT) | instid1(VALU_DEP_4)
	v_cvt_i32_f32_e32 v7, v7
	v_cvt_i32_f32_e32 v6, v6
	s_delay_alu instid0(VALU_DEP_4) | instskip(NEXT) | instid1(VALU_DEP_4)
	v_add_f32_e32 v5, v5, v10
	v_bfi_b32 v3, 0x7fffffff, v9, v3
	s_delay_alu instid0(VALU_DEP_4) | instskip(NEXT) | instid1(VALU_DEP_4)
	v_and_b32_e32 v7, 0xff, v7
	v_and_b32_e32 v6, 0xff, v6
	s_delay_alu instid0(VALU_DEP_4) | instskip(NEXT) | instid1(VALU_DEP_4)
	v_cvt_i32_f32_e32 v5, v5
	v_add_f32_e32 v3, v14, v3
	s_delay_alu instid0(VALU_DEP_4) | instskip(NEXT) | instid1(VALU_DEP_4)
	v_lshlrev_b32_e32 v7, 16, v7
	v_lshlrev_b32_e32 v6, 8, v6
	s_delay_alu instid0(VALU_DEP_3) | instskip(NEXT) | instid1(VALU_DEP_3)
	v_cvt_i32_f32_e32 v3, v3
	v_lshl_or_b32 v5, v5, 24, v7
	s_delay_alu instid0(VALU_DEP_2) | instskip(NEXT) | instid1(VALU_DEP_1)
	v_and_b32_e32 v3, 0xff, v3
	v_or3_b32 v5, v5, v6, v3
.LBB28_14:
	s_or_b32 exec_lo, exec_lo, s8
	ds_store_b32 v4, v5 offset:128
	s_and_saveexec_b32 s4, s1
	s_cbranch_execz .LBB28_16
; %bb.15:
	s_waitcnt lgkmcnt(1)
	v_add_f32_e32 v1, v1, v2
	ds_store_b64 v8, v[0:1] offset:288
.LBB28_16:
	s_or_b32 exec_lo, exec_lo, s4
.LBB28_17:
	s_delay_alu instid0(SALU_CYCLE_1)
	s_or_b32 exec_lo, exec_lo, s7
	v_and_b32_e32 v34, 1, v38
	s_waitcnt lgkmcnt(0)
	s_barrier
	buffer_gl0_inv
	s_cmp_eq_u64 s[26:27], 0
	v_lshlrev_b32_e32 v140, 2, v34
	s_mov_b32 s37, s36
	ds_load_b128 v[0:3], v28 offset:256
	ds_load_b128 v[4:7], v28 offset:272
	ds_load_2addr_b32 v[61:62], v140 offset1:2
	ds_load_2addr_b32 v[63:64], v140 offset0:4 offset1:6
	ds_load_2addr_b32 v[65:66], v140 offset0:8 offset1:10
	;; [unrolled: 1-line block ×3, first 2 shown]
	ds_load_b128 v[8:11], v28 offset:288
	ds_load_b128 v[12:15], v28 offset:304
	ds_load_2addr_b32 v[69:70], v140 offset0:16 offset1:18
	ds_load_2addr_b32 v[71:72], v140 offset0:20 offset1:22
	;; [unrolled: 1-line block ×17, first 2 shown]
	ds_load_b128 v[16:19], v28 offset:768
	ds_load_b128 v[20:23], v28 offset:784
	ds_load_2addr_b32 v[103:104], v140 offset0:148 offset1:150
	ds_load_2addr_b32 v[105:106], v140 offset0:152 offset1:154
	;; [unrolled: 1-line block ×11, first 2 shown]
	ds_load_b128 v[24:27], v28 offset:800
	ds_load_b128 v[28:31], v28 offset:816
	s_waitcnt lgkmcnt(0)
	s_barrier
	buffer_gl0_inv
	s_cbranch_scc1 .LBB28_19
; %bb.18:
	s_load_b32 s1, s[2:3], 0xd0
	s_mov_b32 s5, 0
	s_waitcnt lgkmcnt(0)
	s_mul_i32 s1, s1, s33
	s_delay_alu instid0(SALU_CYCLE_1) | instskip(NEXT) | instid1(SALU_CYCLE_1)
	s_add_i32 s4, s1, s13
	s_lshl_b64 s[4:5], s[4:5], 2
	s_delay_alu instid0(SALU_CYCLE_1)
	s_add_u32 s4, s26, s4
	s_addc_u32 s5, s27, s5
	s_load_b32 s37, s[4:5], 0x0
.LBB28_19:
	s_mov_b32 s11, 0
	s_mov_b32 s4, 0xfeffffff
	;; [unrolled: 1-line block ×3, first 2 shown]
	v_dual_mov_b32 v60, s11 :: v_dual_lshlrev_b32 v33, 5, v35
	s_mov_b32 s5, s4
	s_delay_alu instid0(SALU_CYCLE_1) | instskip(NEXT) | instid1(VALU_DEP_2)
	v_dual_mov_b32 v130, s5 :: v_dual_add_nc_u32 v137, 0xa00, v32
	v_dual_mov_b32 v59, s10 :: v_dual_add_nc_u32 v32, v33, v38
	v_mov_b32_e32 v129, s4
	v_mbcnt_lo_u32_b32 v40, -1, 0
	v_lshlrev_b32_e32 v39, 2, v38
	s_delay_alu instid0(VALU_DEP_4)
	v_lshlrev_b32_e32 v136, 1, v32
	s_lshl_b32 s8, s14, 7
	s_waitcnt lgkmcnt(0)
	s_cmp_ge_i32 s8, s37
	s_cbranch_scc1 .LBB28_32
; %bb.20:
	s_clause 0x2
	scratch_store_b32 off, v32, off offset:28
	scratch_store_b32 off, v36, off offset:24
	;; [unrolled: 1-line block ×3, first 2 shown]
	s_clause 0x1
	s_load_b128 s[4:7], s[2:3], 0x98
	s_load_b64 s[16:17], s[2:3], 0x8c
	s_sub_i32 s1, 0, s42
	s_sub_i32 s10, 0, s38
	s_mul_i32 s1, s1, s41
	s_abs_i32 s13, s12
	s_mul_hi_u32 s1, s41, s1
	s_mul_i32 s10, s10, s9
	s_add_i32 s41, s41, s1
	s_ashr_i32 s26, s12, 31
	s_ashr_i32 s27, s40, 31
	s_mul_hi_u32 s1, s9, s10
	s_mul_hi_u32 s10, s13, s41
	s_ashr_i32 s44, s33, 31
	s_xor_b32 s45, s26, s27
	s_add_i32 s9, s9, s1
	s_mul_i32 s1, s10, s42
	s_load_b64 s[40:41], s[2:3], 0xa8
	s_sub_i32 s1, s13, s1
	s_abs_i32 s43, s33
	s_waitcnt lgkmcnt(0)
	s_mul_i32 s5, s33, s5
	s_mul_hi_u32 s26, s33, s4
	s_mul_i32 s27, s44, s4
	s_add_i32 s5, s26, s5
	s_add_i32 s13, s10, 1
	;; [unrolled: 1-line block ×3, first 2 shown]
	s_sub_i32 s26, s1, s42
	s_cmp_ge_u32 s1, s42
	s_mul_i32 s4, s33, s4
	s_cselect_b32 s10, s13, s10
	s_cselect_b32 s1, s26, s1
	s_add_i32 s13, s10, 1
	s_cmp_ge_u32 s1, s42
	s_mul_hi_u32 s9, s43, s9
	s_cselect_b32 s1, s13, s10
	s_mul_i32 s9, s9, s38
	s_xor_b32 s10, s1, s45
	s_clause 0x1
	s_load_b64 s[26:27], s[2:3], 0xc8
	s_load_b32 s1, s[2:3], 0xd4
	s_sub_i32 s10, s10, s45
	v_or_b32_e32 v35, 0x58, v140
	s_mul_i32 s13, s10, s17
	s_mul_i32 s17, s33, s41
	s_ashr_i32 s41, s13, 31
	s_add_u32 s4, s18, s4
	s_addc_u32 s5, s19, s5
	s_add_u32 s13, s4, s13
	s_mul_hi_u32 s4, s33, s40
	s_addc_u32 s18, s5, s41
	s_add_i32 s4, s4, s17
	s_mul_i32 s5, s44, s40
	s_mul_i32 s10, s10, s7
	s_add_i32 s4, s4, s5
	s_mul_i32 s5, s33, s40
	s_ashr_i32 s7, s10, 31
	s_add_u32 s5, s20, s5
	s_addc_u32 s4, s21, s4
	s_add_u32 s10, s5, s10
	s_addc_u32 s17, s4, s7
	s_sub_i32 s4, s43, s9
	v_dual_add_f32 v9, v9, v9 :: v_dual_and_b32 v154, 12, v35
	s_sub_i32 s5, s4, s38
	s_cmp_ge_u32 s4, s38
	v_and_b32_e32 v155, 28, v35
	s_cselect_b32 s4, s5, s4
	v_or_b32_e32 v35, 0x98, v140
	s_sub_i32 s5, s4, s38
	s_cmp_ge_u32 s4, s38
	v_xor_b32_e32 v37, 1, v40
	s_cselect_b32 s4, s5, s4
	v_and_b32_e32 v159, 12, v35
	s_xor_b32 s4, s4, s44
	v_dual_add_f32 v17, v17, v17 :: v_dual_and_b32 v160, 28, v35
	s_sub_i32 s4, s4, s44
	v_and_b32_e32 v35, 30, v40
	s_waitcnt lgkmcnt(0)
	s_mul_i32 s5, s4, s27
	s_mul_hi_u32 s7, s4, s26
	s_ashr_i32 s9, s4, 31
	s_add_i32 s5, s7, s5
	s_mul_i32 s9, s9, s26
	s_mul_i32 s4, s4, s26
	s_add_i32 s5, s5, s9
	s_mul_i32 s7, s15, s39
	s_add_u32 s4, s22, s4
	s_addc_u32 s5, s23, s5
	s_ashr_i32 s19, s7, 31
	s_mov_b32 s9, s11
	s_add_u32 s7, s4, s7
	s_addc_u32 s19, s5, s19
	s_lshl_b64 s[4:5], s[8:9], 1
	v_add_nc_u32_e32 v35, 2, v35
	s_add_u32 s4, s7, s4
	s_mul_i32 s7, s8, s6
	s_addc_u32 s5, s19, s5
	s_add_u32 s7, s10, s7
	s_mul_i32 s10, s8, s16
	s_addc_u32 s9, s17, 0
	v_cmp_lt_i32_e32 vcc_lo, v37, v35
	s_add_u32 s13, s13, s10
	s_addc_u32 s17, s18, 0
	s_cmp_lg_u64 s[22:23], 0
	v_dual_cndmask_b32 v35, v40, v37 :: v_dual_and_b32 v32, 0x7e, v38
	s_cselect_b32 s19, -1, 0
	s_lshl_b32 s10, s1, 7
	v_cmp_eq_u32_e64 s1, 0, v34
	v_xor_b32_e32 v34, 2, v40
	v_mul_lo_u32 v141, v33, s6
	v_or_b32_e32 v145, 24, v140
	v_or_b32_e32 v36, 0xd8, v140
	v_dual_add_f32 v29, v29, v29 :: v_dual_lshlrev_b32 v172, 2, v35
	v_xor_b32_e32 v35, 4, v40
	v_cmp_gt_i32_e32 vcc_lo, 32, v34
	v_and_b32_e32 v149, 12, v145
	v_dual_mov_b32 v59, 0 :: v_dual_add_nc_u32 v142, s6, v141
	v_and_b32_e32 v165, 12, v36
	v_dual_cndmask_b32 v34, v40, v34 :: v_dual_and_b32 v167, 28, v36
	v_xor_b32_e32 v36, 8, v40
	v_cmp_gt_i32_e32 vcc_lo, 32, v35
	v_add_f32_e32 v1, v1, v1
	v_add_f32_e32 v5, v5, v5
	v_xor_b32_e32 v37, 16, v40
	v_dual_add_f32 v3, v3, v3 :: v_dual_add_nc_u32 v144, v33, v32
	v_cndmask_b32_e32 v35, v40, v35, vcc_lo
	v_cmp_gt_i32_e32 vcc_lo, 32, v36
	v_add_nc_u32_e32 v143, s6, v142
	v_or_b32_e32 v32, 56, v140
	s_cmp_lt_i32 s15, s34
	v_lshlrev_b32_e32 v190, 2, v35
	v_cndmask_b32_e32 v36, v40, v36, vcc_lo
	v_dual_add_f32 v21, v21, v21 :: v_dual_add_nc_u32 v146, s6, v143
	v_add_nc_u32_e32 v35, 0x80, v39
	v_cmp_gt_i32_e32 vcc_lo, 32, v37
	s_delay_alu instid0(VALU_DEP_4) | instskip(NEXT) | instid1(VALU_DEP_4)
	v_lshlrev_b32_e32 v191, 2, v36
	v_add_nc_u32_e32 v150, s6, v146
	v_dual_mov_b32 v36, 0xfeffffff :: v_dual_add_f32 v25, v25, v25
	v_lshrrev_b32_e32 v197, 5, v35
	v_and_b32_e32 v198, 12, v35
	s_delay_alu instid0(VALU_DEP_4) | instskip(SKIP_2) | instid1(VALU_DEP_3)
	v_add_nc_u32_e32 v153, s6, v150
	v_dual_mov_b32 v60, 0 :: v_dual_and_b32 v151, 12, v32
	v_dual_add_f32 v7, v7, v7 :: v_dual_and_b32 v152, 28, v32
	v_add_nc_u32_e32 v157, s6, v153
	v_add_f32_e32 v181, v31, v31
	v_or_b32_e32 v32, 0x78, v140
	v_add_nc_u32_e32 v31, s36, v144
	s_cselect_b32 s18, -1, 0
	v_add_nc_u32_e32 v161, s6, v157
	s_or_b32 s20, s15, 1
	v_dual_add_f32 v11, v11, v11 :: v_dual_and_b32 v156, 12, v32
	v_dual_add_f32 v13, v13, v13 :: v_dual_and_b32 v158, 28, v32
	s_delay_alu instid0(VALU_DEP_3)
	v_add_nc_u32_e32 v163, s6, v161
	v_mov_b32_e32 v35, 0xfeffffff
	v_or_b32_e32 v32, 0xb8, v140
	s_and_b32 s18, s19, s18
	s_cmp_lt_i32 s20, s34
	v_add_nc_u32_e32 v166, s6, v163
	v_mul_lo_u32 v169, v144, s16
	v_dual_add_f32 v15, v15, v15 :: v_dual_and_b32 v162, 12, v32
	v_dual_add_f32 v19, v19, v19 :: v_dual_and_b32 v164, 28, v32
	s_delay_alu instid0(VALU_DEP_4) | instskip(SKIP_3) | instid1(VALU_DEP_3)
	v_dual_cndmask_b32 v37, v40, v37 :: v_dual_add_nc_u32 v170, s6, v166
	v_or_b32_e32 v32, 0xf8, v140
	s_cselect_b32 s20, -1, 0
	v_lshlrev_b32_e32 v194, 1, v33
	v_add_nc_u32_e32 v173, s6, v170
	s_ashr_i32 s21, s36, 31
	v_dual_add_f32 v23, v23, v23 :: v_dual_and_b32 v168, 12, v32
	v_and_b32_e32 v171, 28, v32
	s_delay_alu instid0(VALU_DEP_3) | instskip(SKIP_3) | instid1(VALU_DEP_4)
	v_add_nc_u32_e32 v176, s6, v173
	v_ashrrev_i32_e32 v32, 31, v31
	v_add_co_u32 v33, s22, v144, s36
	v_lshlrev_b32_e32 v189, 2, v34
	v_add_nc_u32_e32 v177, s6, v176
	s_delay_alu instid0(VALU_DEP_4) | instskip(SKIP_2) | instid1(VALU_DEP_4)
	v_lshlrev_b64 v[31:32], 1, v[31:32]
	v_add_co_ci_u32_e64 v34, null, 0, s21, s22
	v_or_b32_e32 v147, 8, v140
	v_add_nc_u32_e32 v178, s6, v177
	v_or_b32_e32 v148, 16, v140
	s_clause 0x1
	scratch_store_b64 off, v[31:32], off
	scratch_store_b32 off, v38, off offset:16
	v_lshlrev_b64 v[31:32], 1, v[33:34]
	v_add_nc_u32_e32 v179, s6, v178
	v_dual_add_f32 v27, v27, v27 :: v_dual_and_b32 v174, 4, v38
	v_add_nc_u32_e32 v183, s16, v169
	v_lshlrev_b32_e32 v193, 2, v37
	s_delay_alu instid0(VALU_DEP_4)
	v_add_nc_u32_e32 v180, s6, v179
	v_bfe_u32 v200, v38, 3, 27
	v_and_b32_e32 v201, 12, v39
	s_mul_i32 s16, s10, s16
	s_and_b32 s19, s19, s20
	v_add_nc_u32_e32 v182, s6, v180
	s_clause 0x1
	scratch_store_b64 off, v[31:32], off offset:8
	scratch_store_b32 off, v39, off offset:32
                                        ; implicit-def: $vgpr240
	v_add_nc_u32_e32 v184, s6, v182
	s_delay_alu instid0(VALU_DEP_1) | instskip(NEXT) | instid1(VALU_DEP_1)
	v_add_nc_u32_e32 v186, s6, v184
	v_add_nc_u32_e32 v187, s6, v186
	s_delay_alu instid0(VALU_DEP_1) | instskip(NEXT) | instid1(VALU_DEP_1)
	v_add_nc_u32_e32 v188, s6, v187
	v_add_nc_u32_e32 v192, s6, v188
	s_delay_alu instid0(VALU_DEP_1) | instskip(NEXT) | instid1(VALU_DEP_1)
	v_add_nc_u32_e32 v196, s6, v192
	v_add_nc_u32_e32 v199, s6, v196
	v_ashrrev_i32_e32 v230, 31, v196
	s_delay_alu instid0(VALU_DEP_2) | instskip(SKIP_1) | instid1(VALU_DEP_2)
	v_add_nc_u32_e32 v204, s6, v199
	v_ashrrev_i32_e32 v231, 31, v199
	v_add_nc_u32_e32 v209, s6, v204
	v_ashrrev_i32_e32 v232, 31, v204
	s_delay_alu instid0(VALU_DEP_2) | instskip(SKIP_1) | instid1(VALU_DEP_2)
	v_add_nc_u32_e32 v214, s6, v209
	v_ashrrev_i32_e32 v233, 31, v209
	;; [unrolled: 5-line block ×3, first 2 shown]
	v_add_nc_u32_e32 v229, s6, v224
	v_ashrrev_i32_e32 v237, 31, v224
	s_delay_alu instid0(VALU_DEP_2) | instskip(SKIP_2) | instid1(VALU_DEP_2)
	v_add_nc_u32_e32 v234, s6, v229
	v_ashrrev_i32_e32 v238, 31, v229
	s_mul_i32 s6, s10, s6
	v_ashrrev_i32_e32 v239, 31, v234
.LBB28_21:                              ; =>This Inner Loop Header: Depth=1
	v_ashrrev_i32_e32 v32, 31, v169
	v_add_co_u32 v31, vcc_lo, s13, v169
	s_delay_alu instid0(VALU_DEP_2)
	v_add_co_ci_u32_e32 v32, vcc_lo, s17, v32, vcc_lo
	s_clause 0x1
	global_load_b32 v38, v[31:32], off
	global_load_u16 v33, v[31:32], off offset:4
	s_waitcnt vmcnt(0)
	v_perm_b32 v37, v38, v33, 0x1000706
	v_add_co_u32 v33, vcc_lo, v31, v140
	v_add_co_ci_u32_e32 v34, vcc_lo, 0, v32, vcc_lo
	s_delay_alu instid0(VALU_DEP_3)
	v_ashrrev_i32_e32 v45, v140, v37
	v_ashrrev_i32_e32 v47, v147, v37
	;; [unrolled: 1-line block ×3, first 2 shown]
	global_load_b32 v41, v[33:34], off offset:6
	v_ashrrev_i32_e32 v37, v145, v37
	v_lshlrev_b32_e32 v39, 18, v45
	v_lshlrev_b32_e32 v40, 25, v45
	s_delay_alu instid0(VALU_DEP_2) | instskip(NEXT) | instid1(VALU_DEP_2)
	v_and_b32_e32 v39, 0x100000, v39
	v_and_b32_e32 v40, 0x10000000, v40
	s_waitcnt vmcnt(0)
	v_and_b32_e32 v42, 0xf0f0f0f, v41
	s_delay_alu instid0(VALU_DEP_1) | instskip(SKIP_3) | instid1(VALU_DEP_2)
	v_or3_b32 v46, v40, v42, v39
	global_load_b32 v39, v[33:34], off offset:14
	v_lshlrev_b32_e32 v40, 18, v47
	v_lshlrev_b32_e32 v42, 25, v47
	v_and_b32_e32 v40, 0x100000, v40
	s_delay_alu instid0(VALU_DEP_2) | instskip(SKIP_2) | instid1(VALU_DEP_1)
	v_and_b32_e32 v42, 0x10000000, v42
	s_waitcnt vmcnt(0)
	v_and_b32_e32 v39, 0xf0f0f0f, v39
	v_or3_b32 v50, v42, v39, v40
	v_lshrrev_b32_e32 v39, 4, v41
	v_lshlrev_b32_e32 v40, 18, v51
	v_lshlrev_b32_e32 v41, 25, v51
	s_delay_alu instid0(VALU_DEP_3) | instskip(NEXT) | instid1(VALU_DEP_3)
	v_and_b32_e32 v39, 0xf0f0f0f, v39
	v_and_b32_e32 v40, 0x100000, v40
	s_delay_alu instid0(VALU_DEP_3) | instskip(NEXT) | instid1(VALU_DEP_1)
	v_and_b32_e32 v41, 0x10000000, v41
	v_or3_b32 v132, v41, v39, v40
	v_lshlrev_b32_e32 v39, 4, v37
	v_lshlrev_b32_e32 v40, 18, v37
	;; [unrolled: 1-line block ×4, first 2 shown]
	s_delay_alu instid0(VALU_DEP_4) | instskip(NEXT) | instid1(VALU_DEP_4)
	v_and_b32_e32 v39, 16, v39
	v_and_b32_e32 v40, 0x100000, v40
	s_delay_alu instid0(VALU_DEP_4) | instskip(NEXT) | instid1(VALU_DEP_4)
	v_and_b32_e32 v41, 0x10000000, v41
	v_and_b32_e32 v37, 0x1000, v37
	s_delay_alu instid0(VALU_DEP_2)
	v_or3_b32 v39, v40, v41, v39
	s_clause 0x2
	global_load_b32 v40, v[31:32], off offset:22
	global_load_u16 v41, v[31:32], off offset:26
	global_load_b32 v44, v[33:34], off offset:28
	s_waitcnt vmcnt(1)
	v_perm_b32 v41, v40, v41, 0x1000706
	s_waitcnt vmcnt(0)
	v_and_b32_e32 v49, 0xf0f0f0f, v44
	s_delay_alu instid0(VALU_DEP_2) | instskip(SKIP_2) | instid1(VALU_DEP_3)
	v_ashrrev_i32_e32 v48, v140, v41
	v_ashrrev_i32_e32 v54, v147, v41
	;; [unrolled: 1-line block ×3, first 2 shown]
	v_lshlrev_b32_e32 v42, 18, v48
	v_lshlrev_b32_e32 v43, 25, v48
	s_delay_alu instid0(VALU_DEP_4) | instskip(NEXT) | instid1(VALU_DEP_3)
	v_lshlrev_b32_e32 v52, 25, v54
	v_and_b32_e32 v42, 0x100000, v42
	s_delay_alu instid0(VALU_DEP_3) | instskip(NEXT) | instid1(VALU_DEP_3)
	v_and_b32_e32 v43, 0x10000000, v43
	v_and_b32_e32 v52, 0x10000000, v52
	s_delay_alu instid0(VALU_DEP_2) | instskip(SKIP_2) | instid1(VALU_DEP_1)
	v_or3_b32 v49, v43, v49, v42
	global_load_b32 v42, v[33:34], off offset:36
	v_lshlrev_b32_e32 v43, 18, v54
	v_and_b32_e32 v43, 0x100000, v43
	s_waitcnt vmcnt(0)
	v_and_b32_e32 v42, 0xf0f0f0f, v42
	s_delay_alu instid0(VALU_DEP_1) | instskip(SKIP_4) | instid1(VALU_DEP_4)
	v_or3_b32 v55, v52, v42, v43
	v_lshrrev_b32_e32 v42, 4, v44
	v_lshlrev_b32_e32 v43, 18, v56
	v_lshlrev_b32_e32 v44, 25, v56
	v_ashrrev_i32_e32 v52, v152, v41
	v_and_b32_e32 v42, 0xf0f0f0f, v42
	s_delay_alu instid0(VALU_DEP_4) | instskip(NEXT) | instid1(VALU_DEP_4)
	v_and_b32_e32 v43, 0x100000, v43
	v_and_b32_e32 v44, 0x10000000, v44
	s_delay_alu instid0(VALU_DEP_4) | instskip(NEXT) | instid1(VALU_DEP_2)
	v_lshlrev_b32_e32 v41, 4, v52
	v_or3_b32 v57, v44, v42, v43
	v_lshlrev_b32_e32 v42, 18, v52
	v_lshlrev_b32_e32 v43, 25, v52
	s_delay_alu instid0(VALU_DEP_4) | instskip(NEXT) | instid1(VALU_DEP_3)
	v_and_b32_e32 v41, 16, v41
	v_and_b32_e32 v42, 0x100000, v42
	s_delay_alu instid0(VALU_DEP_3) | instskip(NEXT) | instid1(VALU_DEP_1)
	v_and_b32_e32 v43, 0x10000000, v43
	v_or3_b32 v53, v42, v43, v41
	s_clause 0x2
	global_load_b32 v41, v[31:32], off offset:44
	global_load_u16 v42, v[31:32], off offset:48
	global_load_b32 v58, v[33:34], off offset:50
	s_waitcnt vmcnt(1)
	v_perm_b32 v42, v41, v42, 0x1000706
	s_waitcnt vmcnt(0)
	v_and_b32_e32 v125, 0xf0f0f0f, v58
	s_delay_alu instid0(VALU_DEP_2) | instskip(SKIP_2) | instid1(VALU_DEP_3)
	v_ashrrev_i32_e32 v126, v140, v42
	v_ashrrev_i32_e32 v128, v147, v42
	v_ashrrev_i32_e32 v130, v148, v42
	v_lshlrev_b32_e32 v43, 18, v126
	v_lshlrev_b32_e32 v44, 25, v126
	s_delay_alu instid0(VALU_DEP_2) | instskip(NEXT) | instid1(VALU_DEP_2)
	v_and_b32_e32 v43, 0x100000, v43
	v_and_b32_e32 v44, 0x10000000, v44
	s_delay_alu instid0(VALU_DEP_1) | instskip(SKIP_3) | instid1(VALU_DEP_2)
	v_or3_b32 v127, v44, v125, v43
	global_load_b32 v43, v[33:34], off offset:58
	v_lshlrev_b32_e32 v44, 18, v128
	v_lshlrev_b32_e32 v125, 25, v128
	v_and_b32_e32 v44, 0x100000, v44
	s_delay_alu instid0(VALU_DEP_2) | instskip(SKIP_2) | instid1(VALU_DEP_1)
	v_and_b32_e32 v125, 0x10000000, v125
	s_waitcnt vmcnt(0)
	v_and_b32_e32 v43, 0xf0f0f0f, v43
	v_or3_b32 v129, v125, v43, v44
	v_lshrrev_b32_e32 v43, 4, v58
	v_lshlrev_b32_e32 v44, 18, v130
	v_lshlrev_b32_e32 v58, 25, v130
	s_delay_alu instid0(VALU_DEP_3) | instskip(NEXT) | instid1(VALU_DEP_3)
	v_and_b32_e32 v43, 0xf0f0f0f, v43
	v_and_b32_e32 v44, 0x100000, v44
	s_delay_alu instid0(VALU_DEP_3) | instskip(NEXT) | instid1(VALU_DEP_1)
	v_and_b32_e32 v58, 0x10000000, v58
	v_or3_b32 v131, v58, v43, v44
	v_ashrrev_i32_e32 v58, v155, v42
	s_delay_alu instid0(VALU_DEP_1) | instskip(SKIP_2) | instid1(VALU_DEP_3)
	v_lshlrev_b32_e32 v42, 4, v58
	v_lshlrev_b32_e32 v43, 18, v58
	;; [unrolled: 1-line block ×3, first 2 shown]
	v_and_b32_e32 v42, 16, v42
	s_delay_alu instid0(VALU_DEP_3) | instskip(NEXT) | instid1(VALU_DEP_3)
	v_and_b32_e32 v43, 0x100000, v43
	v_and_b32_e32 v44, 0x10000000, v44
	s_delay_alu instid0(VALU_DEP_1)
	v_or3_b32 v125, v43, v44, v42
	s_clause 0x2
	global_load_b32 v42, v[31:32], off offset:66
	global_load_u16 v43, v[31:32], off offset:70
	global_load_b32 v138, v[33:34], off offset:72
	s_waitcnt vmcnt(1)
	v_perm_b32 v43, v42, v43, 0x1000706
	s_waitcnt vmcnt(0)
	v_and_b32_e32 v139, 0xf0f0f0f, v138
	s_delay_alu instid0(VALU_DEP_2) | instskip(SKIP_1) | instid1(VALU_DEP_2)
	v_ashrrev_i32_e32 v133, v140, v43
	v_ashrrev_i32_e32 v202, v158, v43
	v_lshlrev_b32_e32 v44, 18, v133
	v_lshlrev_b32_e32 v134, 25, v133
	s_delay_alu instid0(VALU_DEP_2) | instskip(NEXT) | instid1(VALU_DEP_2)
	v_and_b32_e32 v44, 0x100000, v44
	v_and_b32_e32 v134, 0x10000000, v134
	s_delay_alu instid0(VALU_DEP_1) | instskip(SKIP_2) | instid1(VALU_DEP_1)
	v_or3_b32 v134, v134, v139, v44
	global_load_b32 v44, v[33:34], off offset:80
	v_ashrrev_i32_e32 v139, v147, v43
	v_lshlrev_b32_e32 v175, 18, v139
	v_lshlrev_b32_e32 v185, 25, v139
	s_delay_alu instid0(VALU_DEP_2) | instskip(NEXT) | instid1(VALU_DEP_2)
	v_and_b32_e32 v175, 0x100000, v175
	v_and_b32_e32 v185, 0x10000000, v185
	s_waitcnt vmcnt(0)
	v_and_b32_e32 v44, 0xf0f0f0f, v44
	s_delay_alu instid0(VALU_DEP_1) | instskip(SKIP_3) | instid1(VALU_DEP_3)
	v_or3_b32 v175, v185, v44, v175
	v_lshrrev_b32_e32 v44, 4, v138
	v_ashrrev_i32_e32 v138, v148, v43
	v_lshlrev_b32_e32 v43, 4, v202
	v_and_b32_e32 v44, 0xf0f0f0f, v44
	s_delay_alu instid0(VALU_DEP_3) | instskip(SKIP_1) | instid1(VALU_DEP_4)
	v_lshlrev_b32_e32 v185, 18, v138
	v_lshlrev_b32_e32 v195, 25, v138
	v_and_b32_e32 v43, 16, v43
	s_delay_alu instid0(VALU_DEP_3) | instskip(NEXT) | instid1(VALU_DEP_3)
	v_and_b32_e32 v185, 0x100000, v185
	v_and_b32_e32 v195, 0x10000000, v195
	s_delay_alu instid0(VALU_DEP_1) | instskip(SKIP_2) | instid1(VALU_DEP_2)
	v_or3_b32 v195, v195, v44, v185
	v_lshlrev_b32_e32 v44, 18, v202
	v_lshlrev_b32_e32 v185, 25, v202
	v_and_b32_e32 v44, 0x100000, v44
	s_delay_alu instid0(VALU_DEP_2) | instskip(NEXT) | instid1(VALU_DEP_1)
	v_and_b32_e32 v185, 0x10000000, v185
	v_or3_b32 v203, v44, v185, v43
	s_clause 0x2
	global_load_b32 v43, v[31:32], off offset:88
	global_load_u16 v44, v[31:32], off offset:92
	global_load_b32 v207, v[33:34], off offset:94
	s_waitcnt vmcnt(1)
	v_perm_b32 v44, v43, v44, 0x1000706
	s_waitcnt vmcnt(0)
	v_and_b32_e32 v208, 0xf0f0f0f, v207
	s_delay_alu instid0(VALU_DEP_2) | instskip(NEXT) | instid1(VALU_DEP_1)
	v_ashrrev_i32_e32 v205, v140, v44
	v_lshlrev_b32_e32 v185, 18, v205
	v_lshlrev_b32_e32 v206, 25, v205
	s_delay_alu instid0(VALU_DEP_2) | instskip(NEXT) | instid1(VALU_DEP_2)
	v_and_b32_e32 v185, 0x100000, v185
	v_and_b32_e32 v206, 0x10000000, v206
	s_delay_alu instid0(VALU_DEP_1) | instskip(SKIP_2) | instid1(VALU_DEP_1)
	v_or3_b32 v206, v206, v208, v185
	global_load_b32 v185, v[33:34], off offset:102
	v_ashrrev_i32_e32 v208, v147, v44
	v_lshlrev_b32_e32 v210, 18, v208
	v_lshlrev_b32_e32 v211, 25, v208
	s_delay_alu instid0(VALU_DEP_2) | instskip(NEXT) | instid1(VALU_DEP_2)
	v_and_b32_e32 v210, 0x100000, v210
	v_and_b32_e32 v211, 0x10000000, v211
	s_waitcnt vmcnt(0)
	v_and_b32_e32 v185, 0xf0f0f0f, v185
	s_delay_alu instid0(VALU_DEP_1) | instskip(SKIP_2) | instid1(VALU_DEP_2)
	v_or3_b32 v210, v211, v185, v210
	v_lshrrev_b32_e32 v185, 4, v207
	v_ashrrev_i32_e32 v207, v148, v44
	v_and_b32_e32 v185, 0xf0f0f0f, v185
	s_delay_alu instid0(VALU_DEP_2) | instskip(SKIP_1) | instid1(VALU_DEP_2)
	v_lshlrev_b32_e32 v211, 18, v207
	v_lshlrev_b32_e32 v212, 25, v207
	v_and_b32_e32 v211, 0x100000, v211
	s_delay_alu instid0(VALU_DEP_2) | instskip(NEXT) | instid1(VALU_DEP_1)
	v_and_b32_e32 v212, 0x10000000, v212
	v_or3_b32 v211, v212, v185, v211
	v_ashrrev_i32_e32 v212, v160, v44
	s_delay_alu instid0(VALU_DEP_1) | instskip(SKIP_2) | instid1(VALU_DEP_3)
	v_lshlrev_b32_e32 v44, 4, v212
	v_lshlrev_b32_e32 v185, 18, v212
	;; [unrolled: 1-line block ×3, first 2 shown]
	v_and_b32_e32 v44, 16, v44
	s_delay_alu instid0(VALU_DEP_3) | instskip(NEXT) | instid1(VALU_DEP_3)
	v_and_b32_e32 v185, 0x100000, v185
	v_and_b32_e32 v213, 0x10000000, v213
	s_delay_alu instid0(VALU_DEP_1)
	v_or3_b32 v213, v185, v213, v44
	s_clause 0x2
	global_load_b32 v44, v[31:32], off offset:110
	global_load_u16 v185, v[31:32], off offset:114
	global_load_b32 v218, v[33:34], off offset:116
	s_waitcnt vmcnt(1)
	v_perm_b32 v185, v44, v185, 0x1000706
	s_waitcnt vmcnt(0)
	v_and_b32_e32 v220, 0xf0f0f0f, v218
	v_lshrrev_b32_e32 v218, 4, v218
	s_delay_alu instid0(VALU_DEP_3) | instskip(NEXT) | instid1(VALU_DEP_2)
	v_ashrrev_i32_e32 v215, v140, v185
	v_and_b32_e32 v218, 0xf0f0f0f, v218
	s_delay_alu instid0(VALU_DEP_2) | instskip(SKIP_1) | instid1(VALU_DEP_2)
	v_lshlrev_b32_e32 v216, 18, v215
	v_lshlrev_b32_e32 v217, 25, v215
	v_and_b32_e32 v216, 0x100000, v216
	s_delay_alu instid0(VALU_DEP_2) | instskip(NEXT) | instid1(VALU_DEP_1)
	v_and_b32_e32 v217, 0x10000000, v217
	v_or3_b32 v216, v217, v220, v216
	global_load_b32 v217, v[33:34], off offset:124
	v_ashrrev_i32_e32 v220, v147, v185
	s_delay_alu instid0(VALU_DEP_1) | instskip(SKIP_1) | instid1(VALU_DEP_2)
	v_lshlrev_b32_e32 v221, 18, v220
	v_lshlrev_b32_e32 v222, 25, v220
	v_and_b32_e32 v221, 0x100000, v221
	s_delay_alu instid0(VALU_DEP_2) | instskip(SKIP_2) | instid1(VALU_DEP_1)
	v_and_b32_e32 v222, 0x10000000, v222
	s_waitcnt vmcnt(0)
	v_and_b32_e32 v217, 0xf0f0f0f, v217
	v_or3_b32 v217, v222, v217, v221
	v_ashrrev_i32_e32 v221, v148, v185
	s_delay_alu instid0(VALU_DEP_1) | instskip(SKIP_1) | instid1(VALU_DEP_2)
	v_lshlrev_b32_e32 v222, 18, v221
	v_lshlrev_b32_e32 v223, 25, v221
	v_and_b32_e32 v222, 0x100000, v222
	s_delay_alu instid0(VALU_DEP_2) | instskip(NEXT) | instid1(VALU_DEP_1)
	v_and_b32_e32 v223, 0x10000000, v223
	v_or3_b32 v218, v223, v218, v222
	v_lshlrev_b32_e32 v222, 4, v45
	v_lshlrev_b32_e32 v45, 11, v45
	s_delay_alu instid0(VALU_DEP_2) | instskip(NEXT) | instid1(VALU_DEP_2)
	v_and_b32_e32 v222, 16, v222
	v_and_b32_e32 v45, 0x1000, v45
	s_delay_alu instid0(VALU_DEP_1) | instskip(SKIP_2) | instid1(VALU_DEP_2)
	v_or3_b32 v46, v46, v222, v45
	v_lshlrev_b32_e32 v45, 4, v47
	v_lshlrev_b32_e32 v47, 11, v47
	v_and_b32_e32 v45, 16, v45
	s_delay_alu instid0(VALU_DEP_2) | instskip(NEXT) | instid1(VALU_DEP_1)
	v_and_b32_e32 v47, 0x1000, v47
	v_or3_b32 v47, v50, v45, v47
	v_lshlrev_b32_e32 v45, 4, v51
	v_lshlrev_b32_e32 v50, 11, v51
	s_delay_alu instid0(VALU_DEP_2) | instskip(NEXT) | instid1(VALU_DEP_2)
	v_and_b32_e32 v45, 16, v45
	v_and_b32_e32 v50, 0x1000, v50
	s_delay_alu instid0(VALU_DEP_1)
	v_or3_b32 v45, v132, v45, v50
	v_add_co_u32 v50, vcc_lo, v31, v149
	v_add_co_ci_u32_e32 v51, vcc_lo, 0, v32, vcc_lo
	global_load_b32 v50, v[50:51], off offset:6
	s_waitcnt vmcnt(0)
	v_lshrrev_b32_e32 v50, 4, v50
	s_delay_alu instid0(VALU_DEP_1) | instskip(NEXT) | instid1(VALU_DEP_1)
	v_and_b32_e32 v50, 0xf0f0f0f, v50
	v_or3_b32 v51, v39, v37, v50
	v_lshlrev_b32_e32 v37, 4, v48
	v_lshlrev_b32_e32 v39, 11, v48
	s_delay_alu instid0(VALU_DEP_2) | instskip(NEXT) | instid1(VALU_DEP_2)
	v_and_b32_e32 v37, 16, v37
	v_and_b32_e32 v39, 0x1000, v39
	s_delay_alu instid0(VALU_DEP_1) | instskip(SKIP_3) | instid1(VALU_DEP_3)
	v_or3_b32 v50, v49, v37, v39
	v_lshlrev_b32_e32 v37, 4, v54
	v_lshlrev_b32_e32 v39, 11, v54
	v_add_co_u32 v54, vcc_lo, v31, v151
	v_and_b32_e32 v37, 16, v37
	s_delay_alu instid0(VALU_DEP_3) | instskip(NEXT) | instid1(VALU_DEP_1)
	v_and_b32_e32 v39, 0x1000, v39
	v_or3_b32 v49, v55, v37, v39
	v_lshlrev_b32_e32 v37, 4, v56
	v_lshlrev_b32_e32 v39, 11, v56
	v_add_co_ci_u32_e32 v55, vcc_lo, 0, v32, vcc_lo
	v_add_co_u32 v56, vcc_lo, v31, v154
	s_delay_alu instid0(VALU_DEP_4) | instskip(NEXT) | instid1(VALU_DEP_4)
	v_and_b32_e32 v37, 16, v37
	v_and_b32_e32 v39, 0x1000, v39
	s_delay_alu instid0(VALU_DEP_1) | instskip(SKIP_3) | instid1(VALU_DEP_2)
	v_or3_b32 v48, v57, v37, v39
	global_load_b32 v37, v[54:55], off offset:28
	v_lshlrev_b32_e32 v39, 11, v52
	v_add_co_ci_u32_e32 v57, vcc_lo, 0, v32, vcc_lo
	v_and_b32_e32 v39, 0x1000, v39
	s_waitcnt vmcnt(0)
	v_lshrrev_b32_e32 v37, 4, v37
	s_delay_alu instid0(VALU_DEP_1) | instskip(NEXT) | instid1(VALU_DEP_1)
	v_and_b32_e32 v37, 0xf0f0f0f, v37
	v_or3_b32 v55, v53, v39, v37
	v_lshlrev_b32_e32 v37, 4, v126
	v_lshlrev_b32_e32 v39, 11, v126
	s_delay_alu instid0(VALU_DEP_2) | instskip(NEXT) | instid1(VALU_DEP_2)
	v_and_b32_e32 v37, 16, v37
	v_and_b32_e32 v39, 0x1000, v39
	s_delay_alu instid0(VALU_DEP_1) | instskip(SKIP_2) | instid1(VALU_DEP_2)
	v_or3_b32 v54, v127, v37, v39
	v_lshlrev_b32_e32 v37, 4, v128
	v_lshlrev_b32_e32 v39, 11, v128
	v_and_b32_e32 v37, 16, v37
	s_delay_alu instid0(VALU_DEP_2) | instskip(NEXT) | instid1(VALU_DEP_1)
	v_and_b32_e32 v39, 0x1000, v39
	v_or3_b32 v53, v129, v37, v39
	v_lshlrev_b32_e32 v37, 4, v130
	v_lshlrev_b32_e32 v39, 11, v130
	s_delay_alu instid0(VALU_DEP_2) | instskip(NEXT) | instid1(VALU_DEP_2)
	v_and_b32_e32 v37, 16, v37
	v_and_b32_e32 v39, 0x1000, v39
	s_delay_alu instid0(VALU_DEP_1) | instskip(SKIP_2) | instid1(VALU_DEP_1)
	v_or3_b32 v52, v131, v37, v39
	global_load_b32 v37, v[56:57], off offset:50
	v_lshlrev_b32_e32 v39, 11, v58
	v_and_b32_e32 v39, 0x1000, v39
	s_waitcnt vmcnt(0)
	v_lshrrev_b32_e32 v37, 4, v37
	s_delay_alu instid0(VALU_DEP_1) | instskip(NEXT) | instid1(VALU_DEP_1)
	v_and_b32_e32 v37, 0xf0f0f0f, v37
	v_or3_b32 v129, v125, v39, v37
	v_lshlrev_b32_e32 v37, 4, v133
	v_lshlrev_b32_e32 v39, 11, v133
	v_add_co_u32 v125, vcc_lo, v31, v156
	v_add_co_ci_u32_e32 v126, vcc_lo, 0, v32, vcc_lo
	s_delay_alu instid0(VALU_DEP_4) | instskip(NEXT) | instid1(VALU_DEP_4)
	v_and_b32_e32 v37, 16, v37
	v_and_b32_e32 v39, 0x1000, v39
	s_delay_alu instid0(VALU_DEP_1) | instskip(SKIP_2) | instid1(VALU_DEP_2)
	v_or3_b32 v58, v134, v37, v39
	v_lshlrev_b32_e32 v37, 4, v139
	v_lshlrev_b32_e32 v39, 11, v139
	v_and_b32_e32 v37, 16, v37
	s_delay_alu instid0(VALU_DEP_2) | instskip(NEXT) | instid1(VALU_DEP_1)
	v_and_b32_e32 v39, 0x1000, v39
	v_or3_b32 v57, v175, v37, v39
	v_lshlrev_b32_e32 v37, 4, v138
	v_lshlrev_b32_e32 v39, 11, v138
	s_delay_alu instid0(VALU_DEP_2) | instskip(NEXT) | instid1(VALU_DEP_2)
	v_and_b32_e32 v37, 16, v37
	v_and_b32_e32 v39, 0x1000, v39
	s_delay_alu instid0(VALU_DEP_1) | instskip(SKIP_4) | instid1(VALU_DEP_3)
	v_or3_b32 v56, v195, v37, v39
	global_load_b32 v37, v[125:126], off offset:72
	v_lshlrev_b32_e32 v39, 11, v202
	v_add_co_u32 v125, vcc_lo, v31, v159
	v_add_co_ci_u32_e32 v126, vcc_lo, 0, v32, vcc_lo
	v_and_b32_e32 v39, 0x1000, v39
	s_waitcnt vmcnt(0)
	v_lshrrev_b32_e32 v37, 4, v37
	s_delay_alu instid0(VALU_DEP_1) | instskip(NEXT) | instid1(VALU_DEP_1)
	v_and_b32_e32 v37, 0xf0f0f0f, v37
	v_or3_b32 v133, v203, v39, v37
	v_lshlrev_b32_e32 v37, 4, v205
	v_lshlrev_b32_e32 v39, 11, v205
	s_delay_alu instid0(VALU_DEP_2) | instskip(NEXT) | instid1(VALU_DEP_2)
	v_and_b32_e32 v37, 16, v37
	v_and_b32_e32 v39, 0x1000, v39
	s_delay_alu instid0(VALU_DEP_1) | instskip(SKIP_2) | instid1(VALU_DEP_2)
	v_or3_b32 v132, v206, v37, v39
	v_lshlrev_b32_e32 v37, 4, v208
	v_lshlrev_b32_e32 v39, 11, v208
	v_and_b32_e32 v37, 16, v37
	s_delay_alu instid0(VALU_DEP_2) | instskip(NEXT) | instid1(VALU_DEP_1)
	v_and_b32_e32 v39, 0x1000, v39
	v_or3_b32 v131, v210, v37, v39
	v_lshlrev_b32_e32 v37, 4, v207
	v_lshlrev_b32_e32 v39, 11, v207
	s_delay_alu instid0(VALU_DEP_2) | instskip(NEXT) | instid1(VALU_DEP_2)
	v_and_b32_e32 v37, 16, v37
	v_and_b32_e32 v39, 0x1000, v39
	s_delay_alu instid0(VALU_DEP_1) | instskip(SKIP_2) | instid1(VALU_DEP_1)
	v_or3_b32 v130, v211, v37, v39
	global_load_b32 v37, v[125:126], off offset:94
	v_lshlrev_b32_e32 v39, 11, v212
	v_and_b32_e32 v39, 0x1000, v39
	s_waitcnt vmcnt(0)
	v_lshrrev_b32_e32 v37, 4, v37
	s_delay_alu instid0(VALU_DEP_1) | instskip(NEXT) | instid1(VALU_DEP_1)
	v_and_b32_e32 v37, 0xf0f0f0f, v37
	v_or3_b32 v175, v213, v39, v37
	v_lshlrev_b32_e32 v37, 4, v215
	v_lshlrev_b32_e32 v39, 11, v215
	s_delay_alu instid0(VALU_DEP_2) | instskip(NEXT) | instid1(VALU_DEP_2)
	v_and_b32_e32 v37, 16, v37
	v_and_b32_e32 v39, 0x1000, v39
	s_delay_alu instid0(VALU_DEP_1) | instskip(SKIP_2) | instid1(VALU_DEP_2)
	v_or3_b32 v139, v216, v37, v39
	v_lshlrev_b32_e32 v37, 4, v220
	v_lshlrev_b32_e32 v39, 11, v220
	v_and_b32_e32 v37, 16, v37
	s_delay_alu instid0(VALU_DEP_2) | instskip(NEXT) | instid1(VALU_DEP_1)
	v_and_b32_e32 v39, 0x1000, v39
	v_or3_b32 v138, v217, v37, v39
	v_lshlrev_b32_e32 v37, 4, v221
	v_lshlrev_b32_e32 v39, 11, v221
	s_delay_alu instid0(VALU_DEP_2) | instskip(NEXT) | instid1(VALU_DEP_2)
	v_and_b32_e32 v37, 16, v37
	v_and_b32_e32 v39, 0x1000, v39
	s_delay_alu instid0(VALU_DEP_1) | instskip(SKIP_1) | instid1(VALU_DEP_1)
	v_or3_b32 v134, v218, v37, v39
	v_ashrrev_i32_e32 v37, v164, v185
	v_lshlrev_b32_e32 v39, 4, v37
	v_lshlrev_b32_e32 v125, 18, v37
	;; [unrolled: 1-line block ×4, first 2 shown]
	s_delay_alu instid0(VALU_DEP_4) | instskip(NEXT) | instid1(VALU_DEP_4)
	v_and_b32_e32 v39, 16, v39
	v_and_b32_e32 v125, 0x100000, v125
	s_delay_alu instid0(VALU_DEP_4) | instskip(NEXT) | instid1(VALU_DEP_4)
	v_and_b32_e32 v126, 0x10000000, v126
	v_and_b32_e32 v37, 0x1000, v37
	s_delay_alu instid0(VALU_DEP_2)
	v_or3_b32 v39, v125, v126, v39
	v_add_co_u32 v125, vcc_lo, v31, v162
	v_add_co_ci_u32_e32 v126, vcc_lo, 0, v32, vcc_lo
	global_load_b32 v125, v[125:126], off offset:116
	s_waitcnt vmcnt(0)
	v_lshrrev_b32_e32 v125, 4, v125
	s_delay_alu instid0(VALU_DEP_1) | instskip(NEXT) | instid1(VALU_DEP_1)
	v_and_b32_e32 v125, 0xf0f0f0f, v125
	v_or3_b32 v125, v39, v37, v125
	s_clause 0x2
	global_load_b32 v185, v[31:32], off offset:132
	global_load_u16 v37, v[31:32], off offset:136
	global_load_b32 v128, v[33:34], off offset:138
	s_waitcnt vmcnt(1)
	v_perm_b32 v37, v185, v37, 0x1000706
	s_waitcnt vmcnt(0)
	v_and_b32_e32 v195, 0xf0f0f0f, v128
	s_delay_alu instid0(VALU_DEP_2) | instskip(NEXT) | instid1(VALU_DEP_1)
	v_ashrrev_i32_e32 v39, v140, v37
	v_lshlrev_b32_e32 v126, 18, v39
	v_lshlrev_b32_e32 v127, 25, v39
	s_delay_alu instid0(VALU_DEP_2) | instskip(NEXT) | instid1(VALU_DEP_2)
	v_and_b32_e32 v126, 0x100000, v126
	v_and_b32_e32 v127, 0x10000000, v127
	s_delay_alu instid0(VALU_DEP_1) | instskip(SKIP_2) | instid1(VALU_DEP_2)
	v_or3_b32 v126, v127, v195, v126
	v_lshlrev_b32_e32 v127, 4, v39
	v_lshlrev_b32_e32 v39, 11, v39
	v_and_b32_e32 v127, 16, v127
	s_delay_alu instid0(VALU_DEP_2) | instskip(NEXT) | instid1(VALU_DEP_1)
	v_and_b32_e32 v39, 0x1000, v39
	v_or3_b32 v126, v126, v127, v39
	global_load_b32 v39, v[33:34], off offset:146
	v_ashrrev_i32_e32 v127, v147, v37
	s_delay_alu instid0(VALU_DEP_1) | instskip(SKIP_1) | instid1(VALU_DEP_2)
	v_lshlrev_b32_e32 v195, 18, v127
	v_lshlrev_b32_e32 v202, 25, v127
	v_and_b32_e32 v195, 0x100000, v195
	s_delay_alu instid0(VALU_DEP_2) | instskip(SKIP_2) | instid1(VALU_DEP_1)
	v_and_b32_e32 v202, 0x10000000, v202
	s_waitcnt vmcnt(0)
	v_and_b32_e32 v39, 0xf0f0f0f, v39
	v_or3_b32 v39, v202, v39, v195
	v_lshlrev_b32_e32 v195, 4, v127
	v_lshlrev_b32_e32 v127, 11, v127
	s_delay_alu instid0(VALU_DEP_2) | instskip(NEXT) | instid1(VALU_DEP_2)
	v_and_b32_e32 v195, 16, v195
	v_and_b32_e32 v127, 0x1000, v127
	s_delay_alu instid0(VALU_DEP_1) | instskip(SKIP_3) | instid1(VALU_DEP_3)
	v_or3_b32 v195, v39, v195, v127
	v_ashrrev_i32_e32 v127, v148, v37
	v_lshrrev_b32_e32 v39, 4, v128
	v_ashrrev_i32_e32 v37, v167, v37
	v_lshlrev_b32_e32 v128, 18, v127
	v_lshlrev_b32_e32 v202, 25, v127
	s_delay_alu instid0(VALU_DEP_4) | instskip(NEXT) | instid1(VALU_DEP_3)
	v_and_b32_e32 v39, 0xf0f0f0f, v39
	v_and_b32_e32 v128, 0x100000, v128
	s_delay_alu instid0(VALU_DEP_3) | instskip(NEXT) | instid1(VALU_DEP_1)
	v_and_b32_e32 v202, 0x10000000, v202
	v_or3_b32 v39, v202, v39, v128
	v_lshlrev_b32_e32 v128, 4, v127
	v_lshlrev_b32_e32 v127, 11, v127
	s_delay_alu instid0(VALU_DEP_2) | instskip(NEXT) | instid1(VALU_DEP_2)
	v_and_b32_e32 v128, 16, v128
	v_and_b32_e32 v127, 0x1000, v127
	s_delay_alu instid0(VALU_DEP_1) | instskip(SKIP_4) | instid1(VALU_DEP_4)
	v_or3_b32 v241, v39, v128, v127
	v_lshlrev_b32_e32 v39, 4, v37
	v_lshlrev_b32_e32 v127, 18, v37
	;; [unrolled: 1-line block ×4, first 2 shown]
	v_and_b32_e32 v39, 16, v39
	s_delay_alu instid0(VALU_DEP_4) | instskip(NEXT) | instid1(VALU_DEP_4)
	v_and_b32_e32 v127, 0x100000, v127
	v_and_b32_e32 v128, 0x10000000, v128
	s_delay_alu instid0(VALU_DEP_4) | instskip(NEXT) | instid1(VALU_DEP_2)
	v_and_b32_e32 v37, 0x1000, v37
	v_or3_b32 v39, v127, v128, v39
	v_add_co_u32 v127, vcc_lo, v31, v165
	v_add_co_ci_u32_e32 v128, vcc_lo, 0, v32, vcc_lo
	global_load_b32 v127, v[127:128], off offset:138
	s_waitcnt vmcnt(0)
	v_lshrrev_b32_e32 v127, 4, v127
	s_delay_alu instid0(VALU_DEP_1) | instskip(NEXT) | instid1(VALU_DEP_1)
	v_and_b32_e32 v127, 0xf0f0f0f, v127
	v_or3_b32 v128, v39, v37, v127
	s_clause 0x2
	global_load_b32 v127, v[31:32], off offset:154
	global_load_u16 v37, v[31:32], off offset:158
	global_load_b32 v205, v[33:34], off offset:160
	v_add_co_u32 v31, vcc_lo, v31, v168
	v_add_co_ci_u32_e32 v32, vcc_lo, 0, v32, vcc_lo
	s_and_b32 vcc_lo, exec_lo, s18
	s_clause 0x1
	global_load_b32 v31, v[31:32], off offset:160
	global_load_b32 v33, v[33:34], off offset:168
	s_waitcnt vmcnt(3)
	v_perm_b32 v37, v127, v37, 0x1000706
	s_waitcnt vmcnt(2)
	v_and_b32_e32 v206, 0xf0f0f0f, v205
	s_delay_alu instid0(VALU_DEP_2) | instskip(SKIP_3) | instid1(VALU_DEP_3)
	v_ashrrev_i32_e32 v39, v140, v37
	v_ashrrev_i32_e32 v34, v147, v37
	s_waitcnt vmcnt(1)
	v_lshrrev_b32_e32 v31, 4, v31
	v_lshlrev_b32_e32 v202, 18, v39
	v_lshlrev_b32_e32 v203, 25, v39
	s_waitcnt vmcnt(0)
	v_and_b32_e32 v33, 0xf0f0f0f, v33
	v_and_b32_e32 v31, 0xf0f0f0f, v31
	;; [unrolled: 1-line block ×4, first 2 shown]
	s_delay_alu instid0(VALU_DEP_1) | instskip(SKIP_2) | instid1(VALU_DEP_2)
	v_or3_b32 v202, v203, v206, v202
	v_lshlrev_b32_e32 v203, 4, v39
	v_lshlrev_b32_e32 v39, 11, v39
	v_and_b32_e32 v203, 16, v203
	s_delay_alu instid0(VALU_DEP_2) | instskip(NEXT) | instid1(VALU_DEP_1)
	v_and_b32_e32 v39, 0x1000, v39
	v_or3_b32 v202, v202, v203, v39
	v_lshlrev_b32_e32 v39, 18, v34
	v_lshlrev_b32_e32 v203, 25, v34
	s_delay_alu instid0(VALU_DEP_2) | instskip(NEXT) | instid1(VALU_DEP_2)
	v_and_b32_e32 v39, 0x100000, v39
	v_and_b32_e32 v203, 0x10000000, v203
	s_delay_alu instid0(VALU_DEP_1) | instskip(SKIP_2) | instid1(VALU_DEP_2)
	v_or3_b32 v33, v203, v33, v39
	v_lshlrev_b32_e32 v39, 4, v34
	v_lshlrev_b32_e32 v34, 11, v34
	v_and_b32_e32 v39, 16, v39
	s_delay_alu instid0(VALU_DEP_2) | instskip(NEXT) | instid1(VALU_DEP_1)
	v_and_b32_e32 v34, 0x1000, v34
	v_or3_b32 v33, v33, v39, v34
	v_ashrrev_i32_e32 v39, v148, v37
	v_lshrrev_b32_e32 v34, 4, v205
	v_ashrrev_i32_e32 v37, v171, v37
	s_delay_alu instid0(VALU_DEP_3) | instskip(SKIP_1) | instid1(VALU_DEP_4)
	v_lshlrev_b32_e32 v203, 18, v39
	v_lshlrev_b32_e32 v205, 25, v39
	v_and_b32_e32 v34, 0xf0f0f0f, v34
	s_delay_alu instid0(VALU_DEP_4) | instskip(NEXT) | instid1(VALU_DEP_4)
	v_lshlrev_b32_e32 v32, 11, v37
	v_and_b32_e32 v203, 0x100000, v203
	s_delay_alu instid0(VALU_DEP_4) | instskip(NEXT) | instid1(VALU_DEP_3)
	v_and_b32_e32 v205, 0x10000000, v205
	v_and_b32_e32 v32, 0x1000, v32
	s_delay_alu instid0(VALU_DEP_2) | instskip(SKIP_3) | instid1(VALU_DEP_3)
	v_or3_b32 v34, v205, v34, v203
	v_lshlrev_b32_e32 v203, 4, v39
	v_lshlrev_b32_e32 v39, 11, v39
	;; [unrolled: 1-line block ×3, first 2 shown]
	v_and_b32_e32 v203, 16, v203
	s_delay_alu instid0(VALU_DEP_3) | instskip(NEXT) | instid1(VALU_DEP_3)
	v_and_b32_e32 v39, 0x1000, v39
	v_and_b32_e32 v205, 0x10000000, v205
	s_delay_alu instid0(VALU_DEP_2) | instskip(SKIP_3) | instid1(VALU_DEP_3)
	v_or3_b32 v34, v34, v203, v39
	v_lshlrev_b32_e32 v39, 4, v37
	v_lshlrev_b32_e32 v203, 18, v37
	v_dot4_i32_iu8 v37, v47, v62, 0 neg_lo:[1,1,0]
	v_and_b32_e32 v39, 16, v39
	s_delay_alu instid0(VALU_DEP_3) | instskip(NEXT) | instid1(VALU_DEP_3)
	v_and_b32_e32 v203, 0x100000, v203
	v_cvt_f32_i32_e32 v37, v37
	s_delay_alu instid0(VALU_DEP_2) | instskip(NEXT) | instid1(VALU_DEP_2)
	v_or3_b32 v39, v203, v205, v39
	v_fma_f32 v37, v0, v37, -v1
	s_delay_alu instid0(VALU_DEP_2) | instskip(SKIP_2) | instid1(VALU_DEP_2)
	v_or3_b32 v31, v39, v32, v31
	v_dot4_i32_iu8 v32, v46, v61, 0 neg_lo:[1,1,0]
	v_lshlrev_b32_e32 v39, 1, v144
	v_cvt_f32_i32_e32 v32, v32
	s_delay_alu instid0(VALU_DEP_1) | instskip(NEXT) | instid1(VALU_DEP_1)
	v_fma_f32 v32, v0, v32, -v1
	v_fma_mix_f32 v32, v32, v38, 0 op_sel_hi:[0,1,0]
	s_delay_alu instid0(VALU_DEP_1) | instskip(SKIP_1) | instid1(VALU_DEP_1)
	v_fma_mix_f32 v32, v37, v38, v32 op_sel_hi:[0,1,0]
	v_dot4_i32_iu8 v37, v45, v63, 0 neg_lo:[1,1,0]
	v_cvt_f32_i32_e32 v37, v37
	s_delay_alu instid0(VALU_DEP_1) | instskip(NEXT) | instid1(VALU_DEP_1)
	v_fma_f32 v37, v0, v37, -v1
	v_fma_mix_f32 v32, v37, v38, v32 op_sel_hi:[0,1,0]
	v_dot4_i32_iu8 v37, v51, v64, 0 neg_lo:[1,1,0]
	s_delay_alu instid0(VALU_DEP_1) | instskip(NEXT) | instid1(VALU_DEP_1)
	v_cvt_f32_i32_e32 v37, v37
	v_fma_f32 v37, v0, v37, -v1
	s_delay_alu instid0(VALU_DEP_1) | instskip(SKIP_1) | instid1(VALU_DEP_1)
	v_fma_mix_f32 v32, v37, v38, v32 op_sel_hi:[0,1,0]
	v_dot4_i32_iu8 v37, v50, v65, 0 neg_lo:[1,1,0]
	v_cvt_f32_i32_e32 v37, v37
	s_delay_alu instid0(VALU_DEP_1) | instskip(NEXT) | instid1(VALU_DEP_1)
	v_fma_f32 v37, v2, v37, -v3
	v_fma_mix_f32 v32, v37, v40, v32 op_sel_hi:[0,1,0]
	v_dot4_i32_iu8 v37, v49, v66, 0 neg_lo:[1,1,0]
	s_delay_alu instid0(VALU_DEP_1) | instskip(NEXT) | instid1(VALU_DEP_1)
	v_cvt_f32_i32_e32 v37, v37
	v_fma_f32 v37, v2, v37, -v3
	;; [unrolled: 11-line block ×15, first 2 shown]
	s_delay_alu instid0(VALU_DEP_1)
	v_fma_mix_f32 v32, v37, v127, v32 op_sel_hi:[0,1,0]
	ds_bpermute_b32 v37, v172, v32
	s_waitcnt lgkmcnt(0)
	v_add_f32_e32 v37, v32, v37
	s_cbranch_vccz .LBB28_23
; %bb.22:                               ;   in Loop: Header=BB28_21 Depth=1
	global_load_u16 v32, v39, s[4:5]
	s_waitcnt vmcnt(0)
	v_fma_mix_f32 v37, v135, v32, v37 op_sel_hi:[0,1,0]
.LBB28_23:                              ;   in Loop: Header=BB28_21 Depth=1
	v_dot4_i32_iu8 v32, v46, v93, 0 neg_lo:[1,1,0]
	v_dot4_i32_iu8 v46, v47, v94, 0 neg_lo:[1,1,0]
	v_cvt_f32_f16_e32 v38, v38
	v_dot4_i32_iu8 v45, v45, v95, 0 neg_lo:[1,1,0]
	v_dot4_i32_iu8 v47, v51, v96, 0 neg_lo:[1,1,0]
	v_cvt_f32_i32_e32 v32, v32
	v_cvt_f32_i32_e32 v46, v46
	v_dot4_i32_iu8 v50, v50, v97, 0 neg_lo:[1,1,0]
	v_cvt_f32_i32_e32 v45, v45
	v_cvt_f32_i32_e32 v47, v47
	v_fma_f32 v32, v16, v32, -v17
	v_fma_f32 v46, v16, v46, -v17
	v_cvt_f32_f16_e32 v40, v40
	v_fma_f32 v45, v16, v45, -v17
	v_fma_f32 v47, v16, v47, -v17
	v_fma_f32 v32, v32, v38, 0
	v_cvt_f32_f16_e32 v41, v41
	v_dot4_i32_iu8 v33, v33, v122, 0 neg_lo:[1,1,0]
	v_dot4_i32_iu8 v34, v34, v123, 0 neg_lo:[1,1,0]
	;; [unrolled: 1-line block ×3, first 2 shown]
	v_fmac_f32_e32 v32, v46, v38
	v_dot4_i32_iu8 v46, v49, v98, 0 neg_lo:[1,1,0]
	v_cvt_f32_i32_e32 v49, v50
	v_cvt_f32_i32_e32 v33, v33
	;; [unrolled: 1-line block ×3, first 2 shown]
	v_fmac_f32_e32 v32, v45, v38
	v_dot4_i32_iu8 v45, v48, v99, 0 neg_lo:[1,1,0]
	v_cvt_f32_i32_e32 v46, v46
	v_fma_f32 v48, v18, v49, -v19
	v_fma_f32 v33, v30, v33, -v181
	v_fmac_f32_e32 v32, v47, v38
	v_dot4_i32_iu8 v38, v55, v100, 0 neg_lo:[1,1,0]
	v_cvt_f32_i32_e32 v45, v45
	v_fma_f32 v46, v18, v46, -v19
	v_dot4_i32_iu8 v47, v54, v101, 0 neg_lo:[1,1,0]
	v_fmac_f32_e32 v32, v48, v40
	v_cvt_f32_i32_e32 v38, v38
	v_fma_f32 v45, v18, v45, -v19
	v_fma_f32 v34, v30, v34, -v181
	v_cvt_f32_i32_e32 v47, v47
	v_fmac_f32_e32 v32, v46, v40
	v_dot4_i32_iu8 v46, v53, v102, 0 neg_lo:[1,1,0]
	v_fma_f32 v38, v18, v38, -v19
	v_cvt_f32_i32_e32 v31, v31
	v_fma_f32 v47, v20, v47, -v21
	v_fmac_f32_e32 v32, v45, v40
	v_dot4_i32_iu8 v45, v52, v103, 0 neg_lo:[1,1,0]
	v_cvt_f32_i32_e32 v46, v46
	v_fma_f32 v31, v30, v31, -v181
	s_and_not1_b32 vcc_lo, exec_lo, s19
	v_fmac_f32_e32 v32, v38, v40
	v_dot4_i32_iu8 v38, v129, v104, 0 neg_lo:[1,1,0]
	v_cvt_f32_i32_e32 v40, v45
	v_fma_f32 v45, v20, v46, -v21
	v_dot4_i32_iu8 v46, v58, v105, 0 neg_lo:[1,1,0]
	v_fmac_f32_e32 v32, v47, v41
	v_cvt_f32_i32_e32 v38, v38
	v_fma_f32 v40, v20, v40, -v21
	s_delay_alu instid0(VALU_DEP_4) | instskip(NEXT) | instid1(VALU_DEP_4)
	v_cvt_f32_i32_e32 v46, v46
	v_fmac_f32_e32 v32, v45, v41
	v_dot4_i32_iu8 v45, v57, v106, 0 neg_lo:[1,1,0]
	v_fma_f32 v38, v20, v38, -v21
	s_delay_alu instid0(VALU_DEP_4) | instskip(NEXT) | instid1(VALU_DEP_4)
	v_fma_f32 v46, v22, v46, -v23
	v_fmac_f32_e32 v32, v40, v41
	v_cvt_f32_f16_e32 v40, v42
	v_dot4_i32_iu8 v42, v56, v107, 0 neg_lo:[1,1,0]
	v_cvt_f32_i32_e32 v45, v45
	s_delay_alu instid0(VALU_DEP_4) | instskip(SKIP_1) | instid1(VALU_DEP_4)
	v_fmac_f32_e32 v32, v38, v41
	v_dot4_i32_iu8 v38, v133, v108, 0 neg_lo:[1,1,0]
	v_cvt_f32_i32_e32 v41, v42
	s_delay_alu instid0(VALU_DEP_4) | instskip(SKIP_4) | instid1(VALU_DEP_4)
	v_fma_f32 v42, v22, v45, -v23
	v_dot4_i32_iu8 v45, v132, v109, 0 neg_lo:[1,1,0]
	v_fmac_f32_e32 v32, v46, v40
	v_cvt_f32_i32_e32 v38, v38
	v_fma_f32 v41, v22, v41, -v23
	v_cvt_f32_i32_e32 v45, v45
	s_delay_alu instid0(VALU_DEP_4) | instskip(SKIP_2) | instid1(VALU_DEP_4)
	v_fmac_f32_e32 v32, v42, v40
	v_dot4_i32_iu8 v42, v131, v110, 0 neg_lo:[1,1,0]
	v_fma_f32 v38, v22, v38, -v23
	v_fma_f32 v45, v24, v45, -v25
	s_delay_alu instid0(VALU_DEP_4) | instskip(SKIP_3) | instid1(VALU_DEP_4)
	v_fmac_f32_e32 v32, v41, v40
	v_cvt_f32_f16_e32 v41, v43
	v_dot4_i32_iu8 v43, v130, v111, 0 neg_lo:[1,1,0]
	v_cvt_f32_i32_e32 v42, v42
	v_fmac_f32_e32 v32, v38, v40
	v_dot4_i32_iu8 v38, v175, v112, 0 neg_lo:[1,1,0]
	s_delay_alu instid0(VALU_DEP_4) | instskip(NEXT) | instid1(VALU_DEP_4)
	v_cvt_f32_i32_e32 v40, v43
	v_fma_f32 v42, v24, v42, -v25
	v_dot4_i32_iu8 v43, v139, v113, 0 neg_lo:[1,1,0]
	v_fmac_f32_e32 v32, v45, v41
	v_cvt_f32_i32_e32 v38, v38
	v_fma_f32 v40, v24, v40, -v25
	s_delay_alu instid0(VALU_DEP_4) | instskip(NEXT) | instid1(VALU_DEP_4)
	v_cvt_f32_i32_e32 v43, v43
	v_fmac_f32_e32 v32, v42, v41
	v_dot4_i32_iu8 v42, v138, v114, 0 neg_lo:[1,1,0]
	v_fma_f32 v38, v24, v38, -v25
	s_delay_alu instid0(VALU_DEP_4) | instskip(NEXT) | instid1(VALU_DEP_4)
	v_fma_f32 v43, v26, v43, -v27
	v_fmac_f32_e32 v32, v40, v41
	v_cvt_f32_f16_e32 v40, v44
	v_dot4_i32_iu8 v44, v134, v115, 0 neg_lo:[1,1,0]
	v_cvt_f32_i32_e32 v42, v42
	s_delay_alu instid0(VALU_DEP_4) | instskip(SKIP_1) | instid1(VALU_DEP_4)
	v_fmac_f32_e32 v32, v38, v41
	v_dot4_i32_iu8 v38, v125, v116, 0 neg_lo:[1,1,0]
	v_cvt_f32_i32_e32 v41, v44
	s_delay_alu instid0(VALU_DEP_4)
	v_fma_f32 v42, v26, v42, -v27
	v_dot4_i32_iu8 v44, v241, v119, 0 neg_lo:[1,1,0]
	v_fmac_f32_e32 v32, v43, v40
	v_dot4_i32_iu8 v43, v126, v117, 0 neg_lo:[1,1,0]
	v_cvt_f32_i32_e32 v38, v38
	v_fma_f32 v41, v26, v41, -v27
	s_delay_alu instid0(VALU_DEP_4) | instskip(SKIP_3) | instid1(VALU_DEP_4)
	v_fmac_f32_e32 v32, v42, v40
	v_dot4_i32_iu8 v42, v195, v118, 0 neg_lo:[1,1,0]
	v_cvt_f32_i32_e32 v43, v43
	v_fma_f32 v38, v26, v38, -v27
	v_fmac_f32_e32 v32, v41, v40
	v_cvt_f32_f16_e64 v41, v185
	v_cvt_f32_i32_e32 v42, v42
	v_fma_f32 v43, v28, v43, -v29
	s_delay_alu instid0(VALU_DEP_4) | instskip(SKIP_3) | instid1(VALU_DEP_4)
	v_fmac_f32_e32 v32, v38, v40
	v_dot4_i32_iu8 v38, v128, v120, 0 neg_lo:[1,1,0]
	v_cvt_f32_i32_e32 v40, v44
	v_fma_f32 v42, v28, v42, -v29
	v_fmac_f32_e32 v32, v43, v41
	v_dot4_i32_iu8 v43, v202, v121, 0 neg_lo:[1,1,0]
	v_cvt_f32_i32_e32 v38, v38
	v_fma_f32 v40, v28, v40, -v29
	s_delay_alu instid0(VALU_DEP_4) | instskip(NEXT) | instid1(VALU_DEP_4)
	v_fmac_f32_e32 v32, v42, v41
	v_cvt_f32_i32_e32 v42, v43
	s_delay_alu instid0(VALU_DEP_4) | instskip(NEXT) | instid1(VALU_DEP_3)
	v_fma_f32 v38, v28, v38, -v29
	v_fmac_f32_e32 v32, v40, v41
	v_cvt_f32_f16_e32 v40, v127
	s_delay_alu instid0(VALU_DEP_4) | instskip(NEXT) | instid1(VALU_DEP_3)
	v_fma_f32 v42, v30, v42, -v181
	v_fmac_f32_e32 v32, v38, v41
	s_delay_alu instid0(VALU_DEP_1) | instskip(NEXT) | instid1(VALU_DEP_1)
	v_fmac_f32_e32 v32, v42, v40
	v_fmac_f32_e32 v32, v33, v40
	s_delay_alu instid0(VALU_DEP_1) | instskip(NEXT) | instid1(VALU_DEP_1)
	v_fmac_f32_e32 v32, v34, v40
	v_fmac_f32_e32 v32, v31, v40
	ds_bpermute_b32 v31, v172, v32
	s_waitcnt lgkmcnt(0)
	v_add_f32_e32 v38, v32, v31
	s_cbranch_vccnz .LBB28_25
; %bb.24:                               ;   in Loop: Header=BB28_21 Depth=1
	scratch_load_b64 v[31:32], off, off     ; 8-byte Folded Reload
	s_waitcnt vmcnt(0)
	v_add_co_u32 v31, vcc_lo, s4, v31
	v_add_co_ci_u32_e32 v32, vcc_lo, s5, v32, vcc_lo
	global_load_u16 v31, v[31:32], off
	s_waitcnt vmcnt(0)
	v_fma_mix_f32 v38, v135, v31, v38 op_sel_hi:[0,1,0]
.LBB28_25:                              ;   in Loop: Header=BB28_21 Depth=1
	v_ashrrev_i32_e32 v32, 31, v183
	v_add_co_u32 v31, vcc_lo, s13, v183
	s_delay_alu instid0(VALU_DEP_2)
	v_add_co_ci_u32_e32 v32, vcc_lo, s17, v32, vcc_lo
	s_clause 0x1
	global_load_b32 v40, v[31:32], off
	global_load_u16 v33, v[31:32], off offset:4
	s_waitcnt vmcnt(0)
	v_perm_b32 v41, v40, v33, 0x1000706
	v_add_co_u32 v33, vcc_lo, v31, v140
	v_add_co_ci_u32_e32 v34, vcc_lo, 0, v32, vcc_lo
	s_delay_alu instid0(VALU_DEP_3)
	v_ashrrev_i32_e32 v46, v140, v41
	v_ashrrev_i32_e32 v48, v147, v41
	;; [unrolled: 1-line block ×3, first 2 shown]
	global_load_b32 v44, v[33:34], off offset:6
	v_ashrrev_i32_e32 v49, v145, v41
	v_lshlrev_b32_e32 v42, 18, v46
	v_lshlrev_b32_e32 v43, 25, v46
	s_delay_alu instid0(VALU_DEP_3) | instskip(NEXT) | instid1(VALU_DEP_3)
	v_lshlrev_b32_e32 v41, 4, v49
	v_and_b32_e32 v42, 0x100000, v42
	s_delay_alu instid0(VALU_DEP_3) | instskip(NEXT) | instid1(VALU_DEP_3)
	v_and_b32_e32 v43, 0x10000000, v43
	v_and_b32_e32 v41, 16, v41
	s_waitcnt vmcnt(0)
	v_and_b32_e32 v45, 0xf0f0f0f, v44
	s_delay_alu instid0(VALU_DEP_1) | instskip(SKIP_3) | instid1(VALU_DEP_2)
	v_or3_b32 v47, v43, v45, v42
	global_load_b32 v42, v[33:34], off offset:14
	v_lshlrev_b32_e32 v43, 18, v48
	v_lshlrev_b32_e32 v45, 25, v48
	v_and_b32_e32 v43, 0x100000, v43
	s_delay_alu instid0(VALU_DEP_2) | instskip(SKIP_2) | instid1(VALU_DEP_1)
	v_and_b32_e32 v45, 0x10000000, v45
	s_waitcnt vmcnt(0)
	v_and_b32_e32 v42, 0xf0f0f0f, v42
	v_or3_b32 v129, v45, v42, v43
	v_lshrrev_b32_e32 v42, 4, v44
	v_lshlrev_b32_e32 v43, 18, v132
	v_lshlrev_b32_e32 v44, 25, v132
	s_delay_alu instid0(VALU_DEP_3) | instskip(NEXT) | instid1(VALU_DEP_3)
	v_and_b32_e32 v42, 0xf0f0f0f, v42
	v_and_b32_e32 v43, 0x100000, v43
	s_delay_alu instid0(VALU_DEP_3) | instskip(NEXT) | instid1(VALU_DEP_1)
	v_and_b32_e32 v44, 0x10000000, v44
	v_or3_b32 v134, v44, v42, v43
	v_lshlrev_b32_e32 v42, 18, v49
	v_lshlrev_b32_e32 v43, 25, v49
	;; [unrolled: 1-line block ×3, first 2 shown]
	s_delay_alu instid0(VALU_DEP_3) | instskip(NEXT) | instid1(VALU_DEP_3)
	v_and_b32_e32 v42, 0x100000, v42
	v_and_b32_e32 v43, 0x10000000, v43
	s_delay_alu instid0(VALU_DEP_3) | instskip(NEXT) | instid1(VALU_DEP_2)
	v_and_b32_e32 v49, 0x1000, v49
	v_or3_b32 v50, v42, v43, v41
	s_clause 0x2
	global_load_b32 v41, v[31:32], off offset:22
	global_load_u16 v42, v[31:32], off offset:26
	global_load_b32 v45, v[33:34], off offset:28
	s_waitcnt vmcnt(1)
	v_perm_b32 v42, v41, v42, 0x1000706
	s_waitcnt vmcnt(0)
	v_and_b32_e32 v51, 0xf0f0f0f, v45
	s_delay_alu instid0(VALU_DEP_2) | instskip(SKIP_2) | instid1(VALU_DEP_3)
	v_ashrrev_i32_e32 v53, v140, v42
	v_ashrrev_i32_e32 v55, v147, v42
	;; [unrolled: 1-line block ×3, first 2 shown]
	v_lshlrev_b32_e32 v43, 18, v53
	v_lshlrev_b32_e32 v44, 25, v53
	s_delay_alu instid0(VALU_DEP_2) | instskip(NEXT) | instid1(VALU_DEP_2)
	v_and_b32_e32 v43, 0x100000, v43
	v_and_b32_e32 v44, 0x10000000, v44
	s_delay_alu instid0(VALU_DEP_1) | instskip(SKIP_3) | instid1(VALU_DEP_2)
	v_or3_b32 v54, v44, v51, v43
	global_load_b32 v43, v[33:34], off offset:36
	v_lshlrev_b32_e32 v44, 18, v55
	v_lshlrev_b32_e32 v51, 25, v55
	v_and_b32_e32 v44, 0x100000, v44
	s_delay_alu instid0(VALU_DEP_2) | instskip(SKIP_2) | instid1(VALU_DEP_1)
	v_and_b32_e32 v51, 0x10000000, v51
	s_waitcnt vmcnt(0)
	v_and_b32_e32 v43, 0xf0f0f0f, v43
	v_or3_b32 v56, v51, v43, v44
	v_lshrrev_b32_e32 v43, 4, v45
	v_lshlrev_b32_e32 v44, 18, v57
	v_lshlrev_b32_e32 v45, 25, v57
	v_ashrrev_i32_e32 v51, v152, v42
	s_delay_alu instid0(VALU_DEP_4) | instskip(NEXT) | instid1(VALU_DEP_4)
	v_and_b32_e32 v43, 0xf0f0f0f, v43
	v_and_b32_e32 v44, 0x100000, v44
	s_delay_alu instid0(VALU_DEP_4) | instskip(NEXT) | instid1(VALU_DEP_4)
	v_and_b32_e32 v45, 0x10000000, v45
	v_lshlrev_b32_e32 v42, 4, v51
	s_delay_alu instid0(VALU_DEP_2) | instskip(SKIP_2) | instid1(VALU_DEP_4)
	v_or3_b32 v58, v45, v43, v44
	v_lshlrev_b32_e32 v43, 18, v51
	v_lshlrev_b32_e32 v44, 25, v51
	v_and_b32_e32 v42, 16, v42
	s_delay_alu instid0(VALU_DEP_3) | instskip(NEXT) | instid1(VALU_DEP_3)
	v_and_b32_e32 v43, 0x100000, v43
	v_and_b32_e32 v44, 0x10000000, v44
	s_delay_alu instid0(VALU_DEP_1)
	v_or3_b32 v52, v43, v44, v42
	s_clause 0x2
	global_load_b32 v42, v[31:32], off offset:44
	global_load_u16 v43, v[31:32], off offset:48
	global_load_b32 v125, v[33:34], off offset:50
	s_waitcnt vmcnt(1)
	v_perm_b32 v43, v42, v43, 0x1000706
	s_waitcnt vmcnt(0)
	v_and_b32_e32 v126, 0xf0f0f0f, v125
	s_delay_alu instid0(VALU_DEP_2) | instskip(SKIP_2) | instid1(VALU_DEP_3)
	v_ashrrev_i32_e32 v127, v140, v43
	v_ashrrev_i32_e32 v130, v147, v43
	;; [unrolled: 1-line block ×3, first 2 shown]
	v_lshlrev_b32_e32 v44, 18, v127
	v_lshlrev_b32_e32 v45, 25, v127
	s_delay_alu instid0(VALU_DEP_2) | instskip(NEXT) | instid1(VALU_DEP_2)
	v_and_b32_e32 v44, 0x100000, v44
	v_and_b32_e32 v45, 0x10000000, v45
	s_delay_alu instid0(VALU_DEP_1) | instskip(SKIP_3) | instid1(VALU_DEP_2)
	v_or3_b32 v128, v45, v126, v44
	global_load_b32 v44, v[33:34], off offset:58
	v_lshlrev_b32_e32 v45, 18, v130
	v_lshlrev_b32_e32 v126, 25, v130
	v_and_b32_e32 v45, 0x100000, v45
	s_delay_alu instid0(VALU_DEP_2) | instskip(SKIP_2) | instid1(VALU_DEP_1)
	v_and_b32_e32 v126, 0x10000000, v126
	s_waitcnt vmcnt(0)
	v_and_b32_e32 v44, 0xf0f0f0f, v44
	v_or3_b32 v131, v126, v44, v45
	v_lshrrev_b32_e32 v44, 4, v125
	v_lshlrev_b32_e32 v45, 18, v133
	v_lshlrev_b32_e32 v125, 25, v133
	s_delay_alu instid0(VALU_DEP_3) | instskip(NEXT) | instid1(VALU_DEP_3)
	v_and_b32_e32 v44, 0xf0f0f0f, v44
	v_and_b32_e32 v45, 0x100000, v45
	s_delay_alu instid0(VALU_DEP_3) | instskip(NEXT) | instid1(VALU_DEP_1)
	v_and_b32_e32 v125, 0x10000000, v125
	v_or3_b32 v138, v125, v44, v45
	v_ashrrev_i32_e32 v125, v155, v43
	s_delay_alu instid0(VALU_DEP_1) | instskip(SKIP_2) | instid1(VALU_DEP_3)
	v_lshlrev_b32_e32 v43, 4, v125
	v_lshlrev_b32_e32 v44, 18, v125
	;; [unrolled: 1-line block ×3, first 2 shown]
	v_and_b32_e32 v43, 16, v43
	s_delay_alu instid0(VALU_DEP_3) | instskip(NEXT) | instid1(VALU_DEP_3)
	v_and_b32_e32 v44, 0x100000, v44
	v_and_b32_e32 v45, 0x10000000, v45
	s_delay_alu instid0(VALU_DEP_1)
	v_or3_b32 v126, v44, v45, v43
	s_clause 0x2
	global_load_b32 v43, v[31:32], off offset:66
	global_load_u16 v44, v[31:32], off offset:70
	global_load_b32 v195, v[33:34], off offset:72
	s_waitcnt vmcnt(1)
	v_perm_b32 v44, v43, v44, 0x1000706
	s_waitcnt vmcnt(0)
	v_and_b32_e32 v185, 0xf0f0f0f, v195
	s_delay_alu instid0(VALU_DEP_2) | instskip(SKIP_3) | instid1(VALU_DEP_4)
	v_ashrrev_i32_e32 v175, v140, v44
	v_ashrrev_i32_e32 v205, v147, v44
	;; [unrolled: 1-line block ×4, first 2 shown]
	v_lshlrev_b32_e32 v45, 18, v175
	v_lshlrev_b32_e32 v139, 25, v175
	;; [unrolled: 1-line block ×3, first 2 shown]
	s_delay_alu instid0(VALU_DEP_4) | instskip(NEXT) | instid1(VALU_DEP_4)
	v_lshlrev_b32_e32 v44, 4, v210
	v_and_b32_e32 v45, 0x100000, v45
	s_delay_alu instid0(VALU_DEP_4) | instskip(NEXT) | instid1(VALU_DEP_4)
	v_and_b32_e32 v139, 0x10000000, v139
	v_and_b32_e32 v202, 0x10000000, v202
	s_delay_alu instid0(VALU_DEP_4) | instskip(NEXT) | instid1(VALU_DEP_3)
	v_and_b32_e32 v44, 16, v44
	v_or3_b32 v185, v139, v185, v45
	global_load_b32 v45, v[33:34], off offset:80
	v_lshlrev_b32_e32 v139, 18, v205
	s_delay_alu instid0(VALU_DEP_1) | instskip(SKIP_2) | instid1(VALU_DEP_1)
	v_and_b32_e32 v139, 0x100000, v139
	s_waitcnt vmcnt(0)
	v_and_b32_e32 v45, 0xf0f0f0f, v45
	v_or3_b32 v206, v202, v45, v139
	v_lshrrev_b32_e32 v45, 4, v195
	v_lshlrev_b32_e32 v139, 18, v207
	v_lshlrev_b32_e32 v195, 25, v207
	s_delay_alu instid0(VALU_DEP_3) | instskip(NEXT) | instid1(VALU_DEP_3)
	v_and_b32_e32 v45, 0xf0f0f0f, v45
	v_and_b32_e32 v139, 0x100000, v139
	s_delay_alu instid0(VALU_DEP_3) | instskip(NEXT) | instid1(VALU_DEP_1)
	v_and_b32_e32 v195, 0x10000000, v195
	v_or3_b32 v208, v195, v45, v139
	v_lshlrev_b32_e32 v45, 18, v210
	v_lshlrev_b32_e32 v139, 25, v210
	s_delay_alu instid0(VALU_DEP_2) | instskip(NEXT) | instid1(VALU_DEP_2)
	v_and_b32_e32 v45, 0x100000, v45
	v_and_b32_e32 v139, 0x10000000, v139
	s_delay_alu instid0(VALU_DEP_1)
	v_or3_b32 v211, v45, v139, v44
	s_clause 0x2
	global_load_b32 v45, v[31:32], off offset:88
	global_load_u16 v44, v[31:32], off offset:92
	global_load_b32 v202, v[33:34], off offset:94
	s_waitcnt vmcnt(1)
	v_perm_b32 v44, v45, v44, 0x1000706
	s_waitcnt vmcnt(0)
	v_and_b32_e32 v203, 0xf0f0f0f, v202
	s_delay_alu instid0(VALU_DEP_2) | instskip(SKIP_3) | instid1(VALU_DEP_4)
	v_ashrrev_i32_e32 v212, v140, v44
	v_ashrrev_i32_e32 v215, v147, v44
	;; [unrolled: 1-line block ×4, first 2 shown]
	v_lshlrev_b32_e32 v139, 18, v212
	v_lshlrev_b32_e32 v195, 25, v212
	s_delay_alu instid0(VALU_DEP_3) | instskip(NEXT) | instid1(VALU_DEP_3)
	v_lshlrev_b32_e32 v44, 4, v220
	v_and_b32_e32 v139, 0x100000, v139
	s_delay_alu instid0(VALU_DEP_3) | instskip(NEXT) | instid1(VALU_DEP_3)
	v_and_b32_e32 v195, 0x10000000, v195
	v_and_b32_e32 v44, 16, v44
	s_delay_alu instid0(VALU_DEP_2) | instskip(SKIP_3) | instid1(VALU_DEP_2)
	v_or3_b32 v213, v195, v203, v139
	global_load_b32 v139, v[33:34], off offset:102
	v_lshlrev_b32_e32 v195, 18, v215
	v_lshlrev_b32_e32 v203, 25, v215
	v_and_b32_e32 v195, 0x100000, v195
	s_delay_alu instid0(VALU_DEP_2) | instskip(SKIP_2) | instid1(VALU_DEP_1)
	v_and_b32_e32 v203, 0x10000000, v203
	s_waitcnt vmcnt(0)
	v_and_b32_e32 v139, 0xf0f0f0f, v139
	v_or3_b32 v216, v203, v139, v195
	v_lshrrev_b32_e32 v139, 4, v202
	v_lshlrev_b32_e32 v195, 18, v217
	v_lshlrev_b32_e32 v202, 25, v217
	s_delay_alu instid0(VALU_DEP_3) | instskip(NEXT) | instid1(VALU_DEP_3)
	v_and_b32_e32 v139, 0xf0f0f0f, v139
	v_and_b32_e32 v195, 0x100000, v195
	s_delay_alu instid0(VALU_DEP_3) | instskip(NEXT) | instid1(VALU_DEP_1)
	v_and_b32_e32 v202, 0x10000000, v202
	v_or3_b32 v218, v202, v139, v195
	v_lshlrev_b32_e32 v139, 18, v220
	v_lshlrev_b32_e32 v195, 25, v220
	s_delay_alu instid0(VALU_DEP_2) | instskip(NEXT) | instid1(VALU_DEP_2)
	v_and_b32_e32 v139, 0x100000, v139
	v_and_b32_e32 v195, 0x10000000, v195
	s_delay_alu instid0(VALU_DEP_1)
	v_or3_b32 v221, v139, v195, v44
	s_clause 0x2
	global_load_b32 v44, v[31:32], off offset:110
	global_load_u16 v139, v[31:32], off offset:114
	global_load_b32 v203, v[33:34], off offset:116
	s_waitcnt vmcnt(1)
	v_perm_b32 v195, v44, v139, 0x1000706
	s_waitcnt vmcnt(0)
	v_and_b32_e32 v223, 0xf0f0f0f, v203
	s_delay_alu instid0(VALU_DEP_2) | instskip(SKIP_2) | instid1(VALU_DEP_3)
	v_ashrrev_i32_e32 v222, v140, v195
	v_ashrrev_i32_e32 v243, v147, v195
	;; [unrolled: 1-line block ×3, first 2 shown]
	v_lshlrev_b32_e32 v139, 18, v222
	v_lshlrev_b32_e32 v202, 25, v222
	s_delay_alu instid0(VALU_DEP_4) | instskip(NEXT) | instid1(VALU_DEP_3)
	v_lshlrev_b32_e32 v241, 25, v243
	v_and_b32_e32 v139, 0x100000, v139
	s_delay_alu instid0(VALU_DEP_3) | instskip(NEXT) | instid1(VALU_DEP_3)
	v_and_b32_e32 v202, 0x10000000, v202
	v_and_b32_e32 v241, 0x10000000, v241
	s_delay_alu instid0(VALU_DEP_2) | instskip(SKIP_2) | instid1(VALU_DEP_1)
	v_or3_b32 v223, v202, v223, v139
	global_load_b32 v139, v[33:34], off offset:124
	v_lshlrev_b32_e32 v202, 18, v243
	v_and_b32_e32 v202, 0x100000, v202
	s_waitcnt vmcnt(0)
	v_and_b32_e32 v139, 0xf0f0f0f, v139
	s_delay_alu instid0(VALU_DEP_1) | instskip(SKIP_3) | instid1(VALU_DEP_3)
	v_or3_b32 v244, v241, v139, v202
	v_lshrrev_b32_e32 v139, 4, v203
	v_lshlrev_b32_e32 v202, 18, v245
	v_lshlrev_b32_e32 v203, 25, v245
	v_and_b32_e32 v139, 0xf0f0f0f, v139
	s_delay_alu instid0(VALU_DEP_3) | instskip(NEXT) | instid1(VALU_DEP_3)
	v_and_b32_e32 v202, 0x100000, v202
	v_and_b32_e32 v203, 0x10000000, v203
	s_delay_alu instid0(VALU_DEP_1) | instskip(SKIP_4) | instid1(VALU_DEP_4)
	v_or3_b32 v246, v203, v139, v202
	v_lshlrev_b32_e32 v139, 4, v46
	v_lshlrev_b32_e32 v46, 11, v46
	v_add_co_u32 v202, vcc_lo, v31, v149
	v_add_co_ci_u32_e32 v203, vcc_lo, 0, v32, vcc_lo
	v_and_b32_e32 v139, 16, v139
	s_delay_alu instid0(VALU_DEP_4) | instskip(NEXT) | instid1(VALU_DEP_1)
	v_and_b32_e32 v46, 0x1000, v46
	v_or3_b32 v47, v47, v139, v46
	v_lshlrev_b32_e32 v46, 4, v48
	v_lshlrev_b32_e32 v48, 11, v48
	s_delay_alu instid0(VALU_DEP_2) | instskip(NEXT) | instid1(VALU_DEP_2)
	v_and_b32_e32 v46, 16, v46
	v_and_b32_e32 v48, 0x1000, v48
	s_delay_alu instid0(VALU_DEP_1) | instskip(SKIP_2) | instid1(VALU_DEP_2)
	v_or3_b32 v48, v129, v46, v48
	v_lshlrev_b32_e32 v46, 4, v132
	v_lshlrev_b32_e32 v129, 11, v132
	v_and_b32_e32 v46, 16, v46
	s_delay_alu instid0(VALU_DEP_2) | instskip(NEXT) | instid1(VALU_DEP_1)
	v_and_b32_e32 v129, 0x1000, v129
	v_or3_b32 v46, v134, v46, v129
	global_load_b32 v129, v[202:203], off offset:6
	s_waitcnt vmcnt(0)
	v_lshrrev_b32_e32 v129, 4, v129
	s_delay_alu instid0(VALU_DEP_1) | instskip(NEXT) | instid1(VALU_DEP_1)
	v_and_b32_e32 v129, 0xf0f0f0f, v129
	v_or3_b32 v242, v50, v49, v129
	v_lshlrev_b32_e32 v49, 4, v53
	v_lshlrev_b32_e32 v50, 11, v53
	v_lshlrev_b32_e32 v53, 11, v220
	s_delay_alu instid0(VALU_DEP_3) | instskip(NEXT) | instid1(VALU_DEP_3)
	v_and_b32_e32 v49, 16, v49
	v_and_b32_e32 v50, 0x1000, v50
	s_delay_alu instid0(VALU_DEP_3) | instskip(NEXT) | instid1(VALU_DEP_2)
	v_and_b32_e32 v53, 0x1000, v53
	v_or3_b32 v134, v54, v49, v50
	v_lshlrev_b32_e32 v49, 4, v55
	v_lshlrev_b32_e32 v50, 11, v55
	s_delay_alu instid0(VALU_DEP_2) | instskip(NEXT) | instid1(VALU_DEP_2)
	v_and_b32_e32 v49, 16, v49
	v_and_b32_e32 v50, 0x1000, v50
	s_delay_alu instid0(VALU_DEP_1) | instskip(SKIP_2) | instid1(VALU_DEP_2)
	v_or3_b32 v129, v56, v49, v50
	v_lshlrev_b32_e32 v49, 4, v57
	v_lshlrev_b32_e32 v50, 11, v57
	v_and_b32_e32 v49, 16, v49
	s_delay_alu instid0(VALU_DEP_2) | instskip(NEXT) | instid1(VALU_DEP_1)
	v_and_b32_e32 v50, 0x1000, v50
	v_or3_b32 v54, v58, v49, v50
	v_add_co_u32 v49, vcc_lo, v31, v151
	v_add_co_ci_u32_e32 v50, vcc_lo, 0, v32, vcc_lo
	global_load_b32 v49, v[49:50], off offset:28
	v_lshlrev_b32_e32 v50, 11, v51
	s_delay_alu instid0(VALU_DEP_1) | instskip(SKIP_2) | instid1(VALU_DEP_1)
	v_and_b32_e32 v50, 0x1000, v50
	s_waitcnt vmcnt(0)
	v_lshrrev_b32_e32 v49, 4, v49
	v_and_b32_e32 v49, 0xf0f0f0f, v49
	s_delay_alu instid0(VALU_DEP_1) | instskip(SKIP_3) | instid1(VALU_DEP_3)
	v_or3_b32 v241, v52, v50, v49
	v_lshlrev_b32_e32 v49, 4, v127
	v_lshlrev_b32_e32 v50, 11, v127
	v_ashrrev_i32_e32 v127, v164, v195
	v_and_b32_e32 v49, 16, v49
	s_delay_alu instid0(VALU_DEP_3) | instskip(NEXT) | instid1(VALU_DEP_1)
	v_and_b32_e32 v50, 0x1000, v50
	v_or3_b32 v132, v128, v49, v50
	v_lshlrev_b32_e32 v49, 4, v130
	v_lshlrev_b32_e32 v50, 11, v130
	v_lshlrev_b32_e32 v128, 25, v127
	s_delay_alu instid0(VALU_DEP_3) | instskip(NEXT) | instid1(VALU_DEP_3)
	v_and_b32_e32 v49, 16, v49
	v_and_b32_e32 v50, 0x1000, v50
	s_delay_alu instid0(VALU_DEP_3) | instskip(NEXT) | instid1(VALU_DEP_2)
	v_and_b32_e32 v128, 0x10000000, v128
	v_or3_b32 v57, v131, v49, v50
	v_lshlrev_b32_e32 v49, 4, v133
	v_lshlrev_b32_e32 v50, 11, v133
	s_delay_alu instid0(VALU_DEP_2) | instskip(NEXT) | instid1(VALU_DEP_2)
	v_and_b32_e32 v49, 16, v49
	v_and_b32_e32 v50, 0x1000, v50
	s_delay_alu instid0(VALU_DEP_1) | instskip(SKIP_4) | instid1(VALU_DEP_1)
	v_or3_b32 v52, v138, v49, v50
	v_add_co_u32 v49, vcc_lo, v31, v154
	v_add_co_ci_u32_e32 v50, vcc_lo, 0, v32, vcc_lo
	global_load_b32 v49, v[49:50], off offset:50
	v_lshlrev_b32_e32 v50, 11, v125
	v_and_b32_e32 v50, 0x1000, v50
	s_waitcnt vmcnt(0)
	v_lshrrev_b32_e32 v49, 4, v49
	s_delay_alu instid0(VALU_DEP_1) | instskip(NEXT) | instid1(VALU_DEP_1)
	v_and_b32_e32 v49, 0xf0f0f0f, v49
	v_or3_b32 v139, v126, v50, v49
	v_lshlrev_b32_e32 v49, 4, v175
	v_lshlrev_b32_e32 v50, 11, v175
	s_delay_alu instid0(VALU_DEP_2) | instskip(NEXT) | instid1(VALU_DEP_2)
	v_and_b32_e32 v49, 16, v49
	v_and_b32_e32 v50, 0x1000, v50
	s_delay_alu instid0(VALU_DEP_1) | instskip(SKIP_2) | instid1(VALU_DEP_2)
	v_or3_b32 v131, v185, v49, v50
	v_lshlrev_b32_e32 v49, 4, v205
	v_lshlrev_b32_e32 v50, 11, v205
	v_and_b32_e32 v49, 16, v49
	s_delay_alu instid0(VALU_DEP_2) | instskip(NEXT) | instid1(VALU_DEP_1)
	v_and_b32_e32 v50, 0x1000, v50
	v_or3_b32 v56, v206, v49, v50
	v_lshlrev_b32_e32 v49, 4, v207
	v_lshlrev_b32_e32 v50, 11, v207
	s_delay_alu instid0(VALU_DEP_2) | instskip(NEXT) | instid1(VALU_DEP_2)
	v_and_b32_e32 v49, 16, v49
	v_and_b32_e32 v50, 0x1000, v50
	s_delay_alu instid0(VALU_DEP_1)
	v_or3_b32 v51, v208, v49, v50
	v_add_co_u32 v49, vcc_lo, v31, v156
	v_add_co_ci_u32_e32 v50, vcc_lo, 0, v32, vcc_lo
	v_add_co_u32 v125, vcc_lo, v31, v159
	v_add_co_ci_u32_e32 v126, vcc_lo, 0, v32, vcc_lo
	global_load_b32 v49, v[49:50], off offset:72
	v_lshlrev_b32_e32 v50, 11, v210
	s_delay_alu instid0(VALU_DEP_1) | instskip(SKIP_2) | instid1(VALU_DEP_1)
	v_and_b32_e32 v50, 0x1000, v50
	s_waitcnt vmcnt(0)
	v_lshrrev_b32_e32 v49, 4, v49
	v_and_b32_e32 v49, 0xf0f0f0f, v49
	s_delay_alu instid0(VALU_DEP_1) | instskip(SKIP_2) | instid1(VALU_DEP_2)
	v_or3_b32 v138, v211, v50, v49
	v_lshlrev_b32_e32 v49, 4, v212
	v_lshlrev_b32_e32 v50, 11, v212
	v_and_b32_e32 v49, 16, v49
	s_delay_alu instid0(VALU_DEP_2) | instskip(NEXT) | instid1(VALU_DEP_1)
	v_and_b32_e32 v50, 0x1000, v50
	v_or3_b32 v130, v213, v49, v50
	v_lshlrev_b32_e32 v49, 4, v215
	v_lshlrev_b32_e32 v50, 11, v215
	s_delay_alu instid0(VALU_DEP_2) | instskip(NEXT) | instid1(VALU_DEP_2)
	v_and_b32_e32 v49, 16, v49
	v_and_b32_e32 v50, 0x1000, v50
	s_delay_alu instid0(VALU_DEP_1) | instskip(SKIP_2) | instid1(VALU_DEP_2)
	v_or3_b32 v55, v216, v49, v50
	v_lshlrev_b32_e32 v49, 4, v217
	v_lshlrev_b32_e32 v50, 11, v217
	v_and_b32_e32 v49, 16, v49
	s_delay_alu instid0(VALU_DEP_2) | instskip(NEXT) | instid1(VALU_DEP_1)
	v_and_b32_e32 v50, 0x1000, v50
	v_or3_b32 v50, v218, v49, v50
	global_load_b32 v49, v[125:126], off offset:94
	v_lshlrev_b32_e32 v125, 11, v245
	v_lshlrev_b32_e32 v126, 18, v127
	s_delay_alu instid0(VALU_DEP_2) | instskip(NEXT) | instid1(VALU_DEP_2)
	v_and_b32_e32 v125, 0x1000, v125
	v_and_b32_e32 v126, 0x100000, v126
	s_waitcnt vmcnt(0)
	v_lshrrev_b32_e32 v49, 4, v49
	s_delay_alu instid0(VALU_DEP_1) | instskip(NEXT) | instid1(VALU_DEP_1)
	v_and_b32_e32 v49, 0xf0f0f0f, v49
	v_or3_b32 v133, v221, v53, v49
	v_lshlrev_b32_e32 v49, 4, v222
	v_lshlrev_b32_e32 v53, 11, v222
	s_delay_alu instid0(VALU_DEP_2) | instskip(NEXT) | instid1(VALU_DEP_2)
	v_and_b32_e32 v49, 16, v49
	v_and_b32_e32 v53, 0x1000, v53
	s_delay_alu instid0(VALU_DEP_1) | instskip(SKIP_2) | instid1(VALU_DEP_2)
	v_or3_b32 v58, v223, v49, v53
	v_lshlrev_b32_e32 v49, 4, v243
	v_lshlrev_b32_e32 v53, 11, v243
	v_and_b32_e32 v49, 16, v49
	s_delay_alu instid0(VALU_DEP_2) | instskip(NEXT) | instid1(VALU_DEP_1)
	v_and_b32_e32 v53, 0x1000, v53
	v_or3_b32 v53, v244, v49, v53
	v_lshlrev_b32_e32 v49, 4, v245
	s_delay_alu instid0(VALU_DEP_1) | instskip(NEXT) | instid1(VALU_DEP_1)
	v_and_b32_e32 v49, 16, v49
	v_or3_b32 v49, v246, v49, v125
	v_lshlrev_b32_e32 v125, 4, v127
	s_delay_alu instid0(VALU_DEP_1) | instskip(NEXT) | instid1(VALU_DEP_1)
	v_and_b32_e32 v125, 16, v125
	v_or3_b32 v128, v126, v128, v125
	v_add_co_u32 v125, vcc_lo, v31, v162
	v_add_co_ci_u32_e32 v126, vcc_lo, 0, v32, vcc_lo
	global_load_b32 v125, v[125:126], off offset:116
	v_lshlrev_b32_e32 v126, 11, v127
	s_delay_alu instid0(VALU_DEP_1) | instskip(SKIP_2) | instid1(VALU_DEP_1)
	v_and_b32_e32 v126, 0x1000, v126
	s_waitcnt vmcnt(0)
	v_lshrrev_b32_e32 v125, 4, v125
	v_and_b32_e32 v125, 0xf0f0f0f, v125
	s_delay_alu instid0(VALU_DEP_1)
	v_or3_b32 v185, v128, v126, v125
	s_clause 0x2
	global_load_b32 v175, v[31:32], off offset:132
	global_load_u16 v125, v[31:32], off offset:136
	global_load_b32 v195, v[33:34], off offset:138
	s_waitcnt vmcnt(1)
	v_perm_b32 v125, v175, v125, 0x1000706
	s_waitcnt vmcnt(0)
	v_and_b32_e32 v202, 0xf0f0f0f, v195
	s_delay_alu instid0(VALU_DEP_2) | instskip(NEXT) | instid1(VALU_DEP_1)
	v_ashrrev_i32_e32 v126, v140, v125
	v_lshlrev_b32_e32 v127, 18, v126
	v_lshlrev_b32_e32 v128, 25, v126
	s_delay_alu instid0(VALU_DEP_2) | instskip(NEXT) | instid1(VALU_DEP_2)
	v_and_b32_e32 v127, 0x100000, v127
	v_and_b32_e32 v128, 0x10000000, v128
	s_delay_alu instid0(VALU_DEP_1) | instskip(SKIP_2) | instid1(VALU_DEP_2)
	v_or3_b32 v127, v128, v202, v127
	v_lshlrev_b32_e32 v128, 4, v126
	v_lshlrev_b32_e32 v126, 11, v126
	v_and_b32_e32 v128, 16, v128
	s_delay_alu instid0(VALU_DEP_2) | instskip(NEXT) | instid1(VALU_DEP_1)
	v_and_b32_e32 v126, 0x1000, v126
	v_or3_b32 v243, v127, v128, v126
	global_load_b32 v126, v[33:34], off offset:146
	v_ashrrev_i32_e32 v127, v147, v125
	s_delay_alu instid0(VALU_DEP_1) | instskip(SKIP_1) | instid1(VALU_DEP_2)
	v_lshlrev_b32_e32 v128, 18, v127
	v_lshlrev_b32_e32 v202, 25, v127
	v_and_b32_e32 v128, 0x100000, v128
	s_delay_alu instid0(VALU_DEP_2) | instskip(SKIP_2) | instid1(VALU_DEP_1)
	v_and_b32_e32 v202, 0x10000000, v202
	s_waitcnt vmcnt(0)
	v_and_b32_e32 v126, 0xf0f0f0f, v126
	v_or3_b32 v126, v202, v126, v128
	v_lshlrev_b32_e32 v128, 4, v127
	v_lshlrev_b32_e32 v127, 11, v127
	s_delay_alu instid0(VALU_DEP_2) | instskip(NEXT) | instid1(VALU_DEP_2)
	v_and_b32_e32 v128, 16, v128
	v_and_b32_e32 v127, 0x1000, v127
	s_delay_alu instid0(VALU_DEP_1) | instskip(SKIP_2) | instid1(VALU_DEP_2)
	v_or3_b32 v244, v126, v128, v127
	v_ashrrev_i32_e32 v127, v148, v125
	v_lshrrev_b32_e32 v126, 4, v195
	v_lshlrev_b32_e32 v128, 18, v127
	v_lshlrev_b32_e32 v195, 25, v127
	s_delay_alu instid0(VALU_DEP_3) | instskip(NEXT) | instid1(VALU_DEP_3)
	v_and_b32_e32 v126, 0xf0f0f0f, v126
	v_and_b32_e32 v128, 0x100000, v128
	s_delay_alu instid0(VALU_DEP_3) | instskip(NEXT) | instid1(VALU_DEP_1)
	v_and_b32_e32 v195, 0x10000000, v195
	v_or3_b32 v126, v195, v126, v128
	v_lshlrev_b32_e32 v128, 4, v127
	v_lshlrev_b32_e32 v127, 11, v127
	s_delay_alu instid0(VALU_DEP_2) | instskip(NEXT) | instid1(VALU_DEP_2)
	v_and_b32_e32 v128, 16, v128
	v_and_b32_e32 v127, 0x1000, v127
	s_delay_alu instid0(VALU_DEP_1) | instskip(SKIP_1) | instid1(VALU_DEP_1)
	v_or3_b32 v245, v126, v128, v127
	v_ashrrev_i32_e32 v127, v167, v125
	v_lshlrev_b32_e32 v125, 4, v127
	v_lshlrev_b32_e32 v126, 18, v127
	;; [unrolled: 1-line block ×3, first 2 shown]
	s_delay_alu instid0(VALU_DEP_3) | instskip(NEXT) | instid1(VALU_DEP_3)
	v_and_b32_e32 v125, 16, v125
	v_and_b32_e32 v126, 0x100000, v126
	s_delay_alu instid0(VALU_DEP_3) | instskip(NEXT) | instid1(VALU_DEP_1)
	v_and_b32_e32 v128, 0x10000000, v128
	v_or3_b32 v128, v126, v128, v125
	v_add_co_u32 v125, vcc_lo, v31, v165
	v_add_co_ci_u32_e32 v126, vcc_lo, 0, v32, vcc_lo
	global_load_b32 v125, v[125:126], off offset:138
	v_lshlrev_b32_e32 v126, 11, v127
	s_delay_alu instid0(VALU_DEP_1) | instskip(SKIP_2) | instid1(VALU_DEP_1)
	v_and_b32_e32 v126, 0x1000, v126
	s_waitcnt vmcnt(0)
	v_lshrrev_b32_e32 v125, 4, v125
	v_and_b32_e32 v125, 0xf0f0f0f, v125
	s_delay_alu instid0(VALU_DEP_1)
	v_or3_b32 v126, v128, v126, v125
	s_clause 0x2
	global_load_b32 v125, v[31:32], off offset:154
	global_load_u16 v127, v[31:32], off offset:158
	global_load_b32 v203, v[33:34], off offset:160
	v_add_co_u32 v31, vcc_lo, v31, v168
	v_add_co_ci_u32_e32 v32, vcc_lo, 0, v32, vcc_lo
	s_and_not1_b32 vcc_lo, exec_lo, s18
	s_clause 0x1
	global_load_b32 v31, v[31:32], off offset:160
	global_load_b32 v33, v[33:34], off offset:168
	s_waitcnt vmcnt(3)
	v_perm_b32 v127, v125, v127, 0x1000706
	s_waitcnt vmcnt(2)
	v_and_b32_e32 v205, 0xf0f0f0f, v203
	s_delay_alu instid0(VALU_DEP_2) | instskip(SKIP_3) | instid1(VALU_DEP_3)
	v_ashrrev_i32_e32 v128, v140, v127
	v_ashrrev_i32_e32 v34, v147, v127
	s_waitcnt vmcnt(1)
	v_lshrrev_b32_e32 v31, 4, v31
	v_lshlrev_b32_e32 v195, 18, v128
	v_lshlrev_b32_e32 v202, 25, v128
	s_waitcnt vmcnt(0)
	v_and_b32_e32 v33, 0xf0f0f0f, v33
	v_and_b32_e32 v31, 0xf0f0f0f, v31
	;; [unrolled: 1-line block ×4, first 2 shown]
	s_delay_alu instid0(VALU_DEP_1) | instskip(SKIP_2) | instid1(VALU_DEP_2)
	v_or3_b32 v195, v202, v205, v195
	v_lshlrev_b32_e32 v202, 4, v128
	v_lshlrev_b32_e32 v128, 11, v128
	v_and_b32_e32 v202, 16, v202
	s_delay_alu instid0(VALU_DEP_2) | instskip(NEXT) | instid1(VALU_DEP_1)
	v_and_b32_e32 v128, 0x1000, v128
	v_or3_b32 v195, v195, v202, v128
	v_lshlrev_b32_e32 v128, 18, v34
	v_lshlrev_b32_e32 v202, 25, v34
	s_delay_alu instid0(VALU_DEP_2) | instskip(NEXT) | instid1(VALU_DEP_2)
	v_and_b32_e32 v128, 0x100000, v128
	v_and_b32_e32 v202, 0x10000000, v202
	s_delay_alu instid0(VALU_DEP_1) | instskip(SKIP_2) | instid1(VALU_DEP_2)
	v_or3_b32 v33, v202, v33, v128
	v_lshlrev_b32_e32 v128, 4, v34
	v_lshlrev_b32_e32 v34, 11, v34
	v_and_b32_e32 v128, 16, v128
	s_delay_alu instid0(VALU_DEP_2) | instskip(NEXT) | instid1(VALU_DEP_1)
	v_and_b32_e32 v34, 0x1000, v34
	v_or3_b32 v33, v33, v128, v34
	v_ashrrev_i32_e32 v128, v148, v127
	v_lshrrev_b32_e32 v34, 4, v203
	v_ashrrev_i32_e32 v127, v171, v127
	s_delay_alu instid0(VALU_DEP_3) | instskip(SKIP_1) | instid1(VALU_DEP_4)
	v_lshlrev_b32_e32 v202, 18, v128
	v_lshlrev_b32_e32 v203, 25, v128
	v_and_b32_e32 v34, 0xf0f0f0f, v34
	s_delay_alu instid0(VALU_DEP_4) | instskip(NEXT) | instid1(VALU_DEP_4)
	v_lshlrev_b32_e32 v32, 11, v127
	v_and_b32_e32 v202, 0x100000, v202
	s_delay_alu instid0(VALU_DEP_4) | instskip(NEXT) | instid1(VALU_DEP_3)
	v_and_b32_e32 v203, 0x10000000, v203
	v_and_b32_e32 v32, 0x1000, v32
	s_delay_alu instid0(VALU_DEP_2) | instskip(SKIP_3) | instid1(VALU_DEP_3)
	v_or3_b32 v34, v203, v34, v202
	v_lshlrev_b32_e32 v202, 4, v128
	v_lshlrev_b32_e32 v128, 11, v128
	;; [unrolled: 1-line block ×3, first 2 shown]
	v_and_b32_e32 v202, 16, v202
	s_delay_alu instid0(VALU_DEP_3) | instskip(NEXT) | instid1(VALU_DEP_3)
	v_and_b32_e32 v128, 0x1000, v128
	v_and_b32_e32 v203, 0x10000000, v203
	s_delay_alu instid0(VALU_DEP_2) | instskip(SKIP_3) | instid1(VALU_DEP_3)
	v_or3_b32 v34, v34, v202, v128
	v_lshlrev_b32_e32 v128, 4, v127
	v_lshlrev_b32_e32 v202, 18, v127
	v_dot4_i32_iu8 v127, v48, v62, 0 neg_lo:[1,1,0]
	v_and_b32_e32 v128, 16, v128
	s_delay_alu instid0(VALU_DEP_3) | instskip(NEXT) | instid1(VALU_DEP_3)
	v_and_b32_e32 v202, 0x100000, v202
	v_cvt_f32_i32_e32 v127, v127
	s_delay_alu instid0(VALU_DEP_2) | instskip(NEXT) | instid1(VALU_DEP_2)
	v_or3_b32 v128, v202, v203, v128
	v_fma_f32 v127, v0, v127, -v1
	s_delay_alu instid0(VALU_DEP_2) | instskip(SKIP_1) | instid1(VALU_DEP_1)
	v_or3_b32 v31, v128, v32, v31
	v_dot4_i32_iu8 v32, v47, v61, 0 neg_lo:[1,1,0]
	v_cvt_f32_i32_e32 v32, v32
	s_delay_alu instid0(VALU_DEP_1) | instskip(NEXT) | instid1(VALU_DEP_1)
	v_fma_f32 v32, v0, v32, -v1
	v_fma_mix_f32 v32, v32, v40, 0 op_sel_hi:[0,1,0]
	s_delay_alu instid0(VALU_DEP_1) | instskip(SKIP_1) | instid1(VALU_DEP_1)
	v_fma_mix_f32 v32, v127, v40, v32 op_sel_hi:[0,1,0]
	v_dot4_i32_iu8 v127, v46, v63, 0 neg_lo:[1,1,0]
	v_cvt_f32_i32_e32 v127, v127
	s_delay_alu instid0(VALU_DEP_1) | instskip(NEXT) | instid1(VALU_DEP_1)
	v_fma_f32 v127, v0, v127, -v1
	v_fma_mix_f32 v32, v127, v40, v32 op_sel_hi:[0,1,0]
	v_dot4_i32_iu8 v127, v242, v64, 0 neg_lo:[1,1,0]
	s_delay_alu instid0(VALU_DEP_1) | instskip(NEXT) | instid1(VALU_DEP_1)
	v_cvt_f32_i32_e32 v127, v127
	v_fma_f32 v127, v0, v127, -v1
	s_delay_alu instid0(VALU_DEP_1) | instskip(SKIP_1) | instid1(VALU_DEP_1)
	v_fma_mix_f32 v32, v127, v40, v32 op_sel_hi:[0,1,0]
	v_dot4_i32_iu8 v127, v134, v65, 0 neg_lo:[1,1,0]
	v_cvt_f32_i32_e32 v127, v127
	s_delay_alu instid0(VALU_DEP_1) | instskip(NEXT) | instid1(VALU_DEP_1)
	v_fma_f32 v127, v2, v127, -v3
	v_fma_mix_f32 v32, v127, v41, v32 op_sel_hi:[0,1,0]
	v_dot4_i32_iu8 v127, v129, v66, 0 neg_lo:[1,1,0]
	s_delay_alu instid0(VALU_DEP_1) | instskip(NEXT) | instid1(VALU_DEP_1)
	v_cvt_f32_i32_e32 v127, v127
	v_fma_f32 v127, v2, v127, -v3
	;; [unrolled: 11-line block ×15, first 2 shown]
	s_delay_alu instid0(VALU_DEP_1)
	v_fma_mix_f32 v32, v127, v125, v32 op_sel_hi:[0,1,0]
	ds_bpermute_b32 v127, v172, v32
	s_waitcnt lgkmcnt(0)
	v_add_f32_e32 v202, v32, v127
	s_cbranch_vccnz .LBB28_27
; %bb.26:                               ;   in Loop: Header=BB28_21 Depth=1
	global_load_u16 v32, v39, s[4:5] offset:2
	s_waitcnt vmcnt(0)
	v_fma_mix_f32 v202, v135, v32, v202 op_sel_hi:[0,1,0]
.LBB28_27:                              ;   in Loop: Header=BB28_21 Depth=1
	v_dot4_i32_iu8 v32, v47, v93, 0 neg_lo:[1,1,0]
	v_dot4_i32_iu8 v39, v48, v94, 0 neg_lo:[1,1,0]
	v_cvt_f32_f16_e32 v40, v40
	v_dot4_i32_iu8 v33, v33, v122, 0 neg_lo:[1,1,0]
	v_dot4_i32_iu8 v31, v31, v124, 0 neg_lo:[1,1,0]
	v_cvt_f32_i32_e32 v32, v32
	v_cvt_f32_i32_e32 v39, v39
	s_and_not1_b32 vcc_lo, exec_lo, s19
	v_cvt_f32_i32_e32 v33, v33
	v_cvt_f32_i32_e32 v31, v31
	v_fma_f32 v32, v16, v32, -v17
	v_fma_f32 v39, v16, v39, -v17
	s_delay_alu instid0(VALU_DEP_4) | instskip(NEXT) | instid1(VALU_DEP_4)
	v_fma_f32 v33, v30, v33, -v181
	v_fma_f32 v31, v30, v31, -v181
	s_delay_alu instid0(VALU_DEP_4) | instskip(NEXT) | instid1(VALU_DEP_1)
	v_fma_f32 v32, v32, v40, 0
	v_fmac_f32_e32 v32, v39, v40
	v_dot4_i32_iu8 v39, v46, v95, 0 neg_lo:[1,1,0]
	s_delay_alu instid0(VALU_DEP_1) | instskip(NEXT) | instid1(VALU_DEP_1)
	v_cvt_f32_i32_e32 v39, v39
	v_fma_f32 v39, v16, v39, -v17
	s_delay_alu instid0(VALU_DEP_1) | instskip(SKIP_1) | instid1(VALU_DEP_1)
	v_fmac_f32_e32 v32, v39, v40
	v_dot4_i32_iu8 v39, v242, v96, 0 neg_lo:[1,1,0]
	v_cvt_f32_i32_e32 v39, v39
	s_delay_alu instid0(VALU_DEP_1) | instskip(NEXT) | instid1(VALU_DEP_1)
	v_fma_f32 v39, v16, v39, -v17
	v_fmac_f32_e32 v32, v39, v40
	v_dot4_i32_iu8 v39, v134, v97, 0 neg_lo:[1,1,0]
	v_cvt_f32_f16_e32 v40, v41
	s_delay_alu instid0(VALU_DEP_2) | instskip(NEXT) | instid1(VALU_DEP_1)
	v_cvt_f32_i32_e32 v39, v39
	v_fma_f32 v39, v18, v39, -v19
	s_delay_alu instid0(VALU_DEP_1) | instskip(SKIP_1) | instid1(VALU_DEP_1)
	v_fmac_f32_e32 v32, v39, v40
	v_dot4_i32_iu8 v39, v129, v98, 0 neg_lo:[1,1,0]
	v_cvt_f32_i32_e32 v39, v39
	s_delay_alu instid0(VALU_DEP_1) | instskip(NEXT) | instid1(VALU_DEP_1)
	v_fma_f32 v39, v18, v39, -v19
	v_fmac_f32_e32 v32, v39, v40
	v_dot4_i32_iu8 v39, v54, v99, 0 neg_lo:[1,1,0]
	s_delay_alu instid0(VALU_DEP_1) | instskip(NEXT) | instid1(VALU_DEP_1)
	v_cvt_f32_i32_e32 v39, v39
	v_fma_f32 v39, v18, v39, -v19
	s_delay_alu instid0(VALU_DEP_1) | instskip(SKIP_1) | instid1(VALU_DEP_1)
	v_fmac_f32_e32 v32, v39, v40
	v_dot4_i32_iu8 v39, v241, v100, 0 neg_lo:[1,1,0]
	v_cvt_f32_i32_e32 v39, v39
	s_delay_alu instid0(VALU_DEP_1) | instskip(NEXT) | instid1(VALU_DEP_1)
	v_fma_f32 v39, v18, v39, -v19
	v_fmac_f32_e32 v32, v39, v40
	v_dot4_i32_iu8 v39, v132, v101, 0 neg_lo:[1,1,0]
	v_cvt_f32_f16_e32 v40, v42
	s_delay_alu instid0(VALU_DEP_2) | instskip(NEXT) | instid1(VALU_DEP_1)
	v_cvt_f32_i32_e32 v39, v39
	v_fma_f32 v39, v20, v39, -v21
	s_delay_alu instid0(VALU_DEP_1) | instskip(SKIP_1) | instid1(VALU_DEP_1)
	v_fmac_f32_e32 v32, v39, v40
	v_dot4_i32_iu8 v39, v57, v102, 0 neg_lo:[1,1,0]
	v_cvt_f32_i32_e32 v39, v39
	s_delay_alu instid0(VALU_DEP_1) | instskip(NEXT) | instid1(VALU_DEP_1)
	v_fma_f32 v39, v20, v39, -v21
	;; [unrolled: 23-line block ×5, first 2 shown]
	v_fmac_f32_e32 v32, v39, v40
	v_dot4_i32_iu8 v39, v49, v115, 0 neg_lo:[1,1,0]
	s_delay_alu instid0(VALU_DEP_1) | instskip(NEXT) | instid1(VALU_DEP_1)
	v_cvt_f32_i32_e32 v39, v39
	v_fma_f32 v39, v26, v39, -v27
	s_delay_alu instid0(VALU_DEP_1) | instskip(SKIP_1) | instid1(VALU_DEP_1)
	v_fmac_f32_e32 v32, v39, v40
	v_dot4_i32_iu8 v39, v185, v116, 0 neg_lo:[1,1,0]
	v_cvt_f32_i32_e32 v39, v39
	s_delay_alu instid0(VALU_DEP_1) | instskip(NEXT) | instid1(VALU_DEP_1)
	v_fma_f32 v39, v26, v39, -v27
	v_fmac_f32_e32 v32, v39, v40
	v_dot4_i32_iu8 v39, v243, v117, 0 neg_lo:[1,1,0]
	v_cvt_f32_f16_e64 v40, v175
	s_delay_alu instid0(VALU_DEP_2) | instskip(NEXT) | instid1(VALU_DEP_1)
	v_cvt_f32_i32_e32 v39, v39
	v_fma_f32 v39, v28, v39, -v29
	s_delay_alu instid0(VALU_DEP_1) | instskip(SKIP_1) | instid1(VALU_DEP_1)
	v_fmac_f32_e32 v32, v39, v40
	v_dot4_i32_iu8 v39, v244, v118, 0 neg_lo:[1,1,0]
	v_cvt_f32_i32_e32 v39, v39
	s_delay_alu instid0(VALU_DEP_1) | instskip(NEXT) | instid1(VALU_DEP_1)
	v_fma_f32 v39, v28, v39, -v29
	v_fmac_f32_e32 v32, v39, v40
	v_dot4_i32_iu8 v39, v245, v119, 0 neg_lo:[1,1,0]
	s_delay_alu instid0(VALU_DEP_1) | instskip(NEXT) | instid1(VALU_DEP_1)
	v_cvt_f32_i32_e32 v39, v39
	v_fma_f32 v39, v28, v39, -v29
	s_delay_alu instid0(VALU_DEP_1) | instskip(SKIP_1) | instid1(VALU_DEP_1)
	v_fmac_f32_e32 v32, v39, v40
	v_dot4_i32_iu8 v39, v126, v120, 0 neg_lo:[1,1,0]
	v_cvt_f32_i32_e32 v39, v39
	s_delay_alu instid0(VALU_DEP_1) | instskip(NEXT) | instid1(VALU_DEP_1)
	v_fma_f32 v39, v28, v39, -v29
	v_fmac_f32_e32 v32, v39, v40
	v_dot4_i32_iu8 v39, v195, v121, 0 neg_lo:[1,1,0]
	v_cvt_f32_f16_e32 v40, v125
	s_delay_alu instid0(VALU_DEP_2) | instskip(NEXT) | instid1(VALU_DEP_1)
	v_cvt_f32_i32_e32 v39, v39
	v_fma_f32 v39, v30, v39, -v181
	s_delay_alu instid0(VALU_DEP_1) | instskip(NEXT) | instid1(VALU_DEP_1)
	v_fmac_f32_e32 v32, v39, v40
	v_fmac_f32_e32 v32, v33, v40
	v_dot4_i32_iu8 v33, v34, v123, 0 neg_lo:[1,1,0]
	s_delay_alu instid0(VALU_DEP_1) | instskip(NEXT) | instid1(VALU_DEP_1)
	v_cvt_f32_i32_e32 v33, v33
	v_fma_f32 v33, v30, v33, -v181
	s_delay_alu instid0(VALU_DEP_1) | instskip(NEXT) | instid1(VALU_DEP_1)
	v_fmac_f32_e32 v32, v33, v40
	v_fmac_f32_e32 v32, v31, v40
	ds_bpermute_b32 v31, v172, v32
	s_waitcnt lgkmcnt(0)
	v_add_f32_e32 v31, v32, v31
	s_cbranch_vccnz .LBB28_29
; %bb.28:                               ;   in Loop: Header=BB28_21 Depth=1
	scratch_load_b64 v[32:33], off, off offset:8 ; 8-byte Folded Reload
	s_waitcnt vmcnt(0)
	v_add_co_u32 v32, vcc_lo, s4, v32
	v_add_co_ci_u32_e32 v33, vcc_lo, s5, v33, vcc_lo
	global_load_u16 v32, v[32:33], off offset:2
	s_waitcnt vmcnt(0)
	v_fma_mix_f32 v31, v135, v32, v31 op_sel_hi:[0,1,0]
.LBB28_29:                              ;   in Loop: Header=BB28_21 Depth=1
	v_ashrrev_i32_e32 v32, 31, v141
	v_mul_u32_u24_e32 v241, 20, v200
	v_add_co_u32 v34, vcc_lo, s7, v141
	v_mul_hi_u32_u24_e32 v242, 20, v200
	s_delay_alu instid0(VALU_DEP_4) | instskip(NEXT) | instid1(VALU_DEP_3)
	v_add_co_ci_u32_e32 v42, vcc_lo, s9, v32, vcc_lo
	v_add_co_u32 v32, vcc_lo, v34, v241
	v_ashrrev_i32_e32 v41, 31, v142
	s_delay_alu instid0(VALU_DEP_3) | instskip(NEXT) | instid1(VALU_DEP_3)
	v_add_co_ci_u32_e32 v33, vcc_lo, v42, v242, vcc_lo
	v_add_co_u32 v39, vcc_lo, v32, v201
	v_mul_u32_u24_e32 v244, 20, v197
	s_delay_alu instid0(VALU_DEP_3) | instskip(SKIP_4) | instid1(VALU_DEP_4)
	v_add_co_ci_u32_e32 v40, vcc_lo, 0, v33, vcc_lo
	v_mul_hi_u32_u24_e32 v243, 20, v197
	v_add_co_u32 v49, vcc_lo, s7, v142
	v_add_co_ci_u32_e32 v50, vcc_lo, s9, v41, vcc_lo
	v_add_co_u32 v41, vcc_lo, v34, v244
	v_add_co_ci_u32_e32 v42, vcc_lo, v42, v243, vcc_lo
	s_delay_alu instid0(VALU_DEP_4) | instskip(NEXT) | instid1(VALU_DEP_4)
	v_add_co_u32 v43, vcc_lo, v49, v241
	v_add_co_ci_u32_e32 v44, vcc_lo, v50, v242, vcc_lo
	s_delay_alu instid0(VALU_DEP_4) | instskip(NEXT) | instid1(VALU_DEP_4)
	v_add_co_u32 v45, vcc_lo, v41, v198
	v_add_co_ci_u32_e32 v46, vcc_lo, 0, v42, vcc_lo
	s_delay_alu instid0(VALU_DEP_4) | instskip(SKIP_3) | instid1(VALU_DEP_3)
	v_add_co_u32 v47, vcc_lo, v43, v201
	v_ashrrev_i32_e32 v51, 31, v143
	v_add_co_ci_u32_e32 v48, vcc_lo, 0, v44, vcc_lo
	v_add_co_u32 v34, vcc_lo, s7, v143
	v_add_co_ci_u32_e32 v56, vcc_lo, s9, v51, vcc_lo
	v_add_co_u32 v49, vcc_lo, v49, v244
	v_add_co_ci_u32_e32 v50, vcc_lo, v50, v243, vcc_lo
	s_delay_alu instid0(VALU_DEP_4) | instskip(NEXT) | instid1(VALU_DEP_4)
	v_add_co_u32 v125, vcc_lo, v34, v241
	v_add_co_ci_u32_e32 v126, vcc_lo, v56, v242, vcc_lo
	s_delay_alu instid0(VALU_DEP_4) | instskip(NEXT) | instid1(VALU_DEP_4)
	;; [unrolled: 3-line block ×3, first 2 shown]
	v_add_co_u32 v53, vcc_lo, v125, v201
	v_add_co_ci_u32_e32 v54, vcc_lo, 0, v126, vcc_lo
	s_clause 0x8
	global_load_b32 v133, v[39:40], off offset:4
	global_load_b32 v138, v[45:46], off offset:4
	global_load_b32 v175, v[47:48], off offset:4
	global_load_b32 v185, v[51:52], off offset:4
	global_load_b32 v195, v[53:54], off offset:4
	global_load_b32 v53, v[49:50], off
	global_load_b32 v54, v[43:44], off
	global_load_b32 v55, v[41:42], off
	global_load_b32 v58, v[32:33], off
	v_dual_add_f32 v32, 0x40051340, v37 :: v_dual_add_f32 v33, 0x40051340, v202
	v_ashrrev_i32_e32 v42, 31, v146
	v_dual_add_f32 v39, 0x40051340, v38 :: v_dual_add_f32 v40, 0x40051340, v31
	v_add_co_u32 v41, vcc_lo, s7, v146
	s_delay_alu instid0(VALU_DEP_4) | instskip(NEXT) | instid1(VALU_DEP_4)
	v_max3_f32 v45, v36, v32, v33
	v_add_co_ci_u32_e32 v42, vcc_lo, s9, v42, vcc_lo
	s_delay_alu instid0(VALU_DEP_4)
	v_max3_f32 v46, v35, v39, v40
	v_add_co_u32 v32, vcc_lo, v34, v244
	ds_bpermute_b32 v34, v189, v45
	v_add_co_ci_u32_e32 v33, vcc_lo, v56, v243, vcc_lo
	v_add_co_u32 v39, vcc_lo, v41, v241
	v_add_co_ci_u32_e32 v40, vcc_lo, v42, v242, vcc_lo
	ds_bpermute_b32 v47, v189, v46
	v_add_co_u32 v41, vcc_lo, v41, v244
	v_add_co_ci_u32_e32 v42, vcc_lo, v42, v243, vcc_lo
	v_add_co_u32 v43, vcc_lo, v32, v198
	v_add_co_ci_u32_e32 v44, vcc_lo, 0, v33, vcc_lo
	s_clause 0x4
	global_load_b32 v51, v[41:42], off
	global_load_b32 v56, v[39:40], off
	;; [unrolled: 1-line block ×4, first 2 shown]
	global_load_b32 v128, v[43:44], off offset:4
	v_add_co_u32 v32, vcc_lo, v39, v201
	v_add_co_ci_u32_e32 v33, vcc_lo, 0, v40, vcc_lo
	s_waitcnt lgkmcnt(1)
	v_max_f32_e32 v34, v34, v34
	v_cndmask_b32_e64 v52, v31, v38, s1
	v_ashrrev_i32_e32 v43, 31, v150
	global_load_b32 v127, v[32:33], off offset:4
	v_add_co_u32 v32, vcc_lo, v41, v198
	s_waitcnt lgkmcnt(0)
	v_dual_max_f32 v39, v47, v47 :: v_dual_max_f32 v40, v45, v34
	v_add_co_ci_u32_e32 v33, vcc_lo, 0, v42, vcc_lo
	v_add_co_u32 v42, vcc_lo, s7, v150
	s_delay_alu instid0(VALU_DEP_3)
	v_max_f32_e32 v41, v46, v39
	ds_bpermute_b32 v38, v190, v40
	v_ashrrev_i32_e32 v45, 31, v153
	v_add_co_ci_u32_e32 v43, vcc_lo, s9, v43, vcc_lo
	ds_bpermute_b32 v39, v190, v41
	v_add_co_u32 v44, vcc_lo, s7, v153
	v_ashrrev_i32_e32 v46, 31, v157
	v_add_co_ci_u32_e32 v45, vcc_lo, s9, v45, vcc_lo
	v_add_co_u32 v125, vcc_lo, s7, v157
	s_delay_alu instid0(VALU_DEP_3)
	v_add_co_ci_u32_e32 v126, vcc_lo, s9, v46, vcc_lo
	v_ashrrev_i32_e32 v46, 31, v161
	v_add_co_u32 v132, vcc_lo, s7, v161
	v_cndmask_b32_e64 v37, v240, v37, s1
	global_load_b32 v131, v[32:33], off offset:4
	v_add_co_ci_u32_e32 v134, vcc_lo, s9, v46, vcc_lo
	s_waitcnt lgkmcnt(1)
	v_max_f32_e32 v46, v38, v38
	v_cndmask_b32_e64 v139, v202, v37, s1
	v_add_co_u32 v37, vcc_lo, v42, v241
	s_waitcnt lgkmcnt(0)
	s_delay_alu instid0(VALU_DEP_3) | instskip(SKIP_2) | instid1(VALU_DEP_3)
	v_dual_max_f32 v129, v39, v39 :: v_dual_max_f32 v130, v40, v46
	v_add_co_ci_u32_e32 v38, vcc_lo, v43, v242, vcc_lo
	v_add_co_u32 v39, vcc_lo, v42, v244
	v_max_f32_e32 v129, v41, v129
	v_add_co_ci_u32_e32 v40, vcc_lo, v43, v243, vcc_lo
	ds_bpermute_b32 v202, v191, v130
	v_add_co_u32 v41, vcc_lo, v44, v241
	v_add_co_ci_u32_e32 v42, vcc_lo, v45, v242, vcc_lo
	v_add_co_u32 v43, vcc_lo, v44, v244
	v_add_co_ci_u32_e32 v44, vcc_lo, v45, v243, vcc_lo
	;; [unrolled: 2-line block ×4, first 2 shown]
	ds_bpermute_b32 v203, v191, v129
	v_add_co_u32 v125, vcc_lo, v37, v201
	v_add_co_ci_u32_e32 v126, vcc_lo, 0, v38, vcc_lo
	ds_load_b128 v[31:34], v137
	ds_load_b128 v[47:50], v137 offset:16
	s_waitcnt lgkmcnt(3)
	v_max_f32_e32 v210, v202, v202
	v_add_co_u32 v207, vcc_lo, v132, v241
	global_load_b32 v202, v[125:126], off offset:4
	v_add_co_ci_u32_e32 v208, vcc_lo, v134, v242, vcc_lo
	v_add_co_u32 v125, vcc_lo, v41, v201
	v_add_co_ci_u32_e32 v126, vcc_lo, 0, v42, vcc_lo
	s_add_i32 s8, s10, s8
	s_add_u32 s13, s13, s16
	s_addc_u32 s17, s17, 0
	s_waitcnt lgkmcnt(2)
	v_dual_max_f32 v203, v203, v203 :: v_dual_max_f32 v212, v130, v210
	s_delay_alu instid0(VALU_DEP_1)
	v_max_f32_e32 v203, v129, v203
	v_add_co_u32 v129, vcc_lo, v43, v198
	v_add_co_ci_u32_e32 v130, vcc_lo, 0, v44, vcc_lo
	v_add_co_u32 v210, vcc_lo, v39, v198
	v_add_co_ci_u32_e32 v211, vcc_lo, 0, v40, vcc_lo
	s_clause 0x6
	global_load_b32 v250, v[129:130], off offset:4
	global_load_b32 v248, v[43:44], off
	global_load_b32 v125, v[125:126], off offset:4
	global_load_b32 v251, v[41:42], off
	;; [unrolled: 2-line block ×3, first 2 shown]
	global_load_b32 v247, v[37:38], off
	ds_bpermute_b32 v213, v193, v212
	ds_bpermute_b32 v215, v193, v203
	v_add_co_u32 v37, vcc_lo, v132, v244
	v_add_co_ci_u32_e32 v38, vcc_lo, v134, v243, vcc_lo
	v_add_co_u32 v39, vcc_lo, v45, v201
	v_add_co_ci_u32_e32 v40, vcc_lo, 0, v46, vcc_lo
	s_waitcnt lgkmcnt(0)
	v_max_f32_e32 v43, v215, v215
	s_delay_alu instid0(VALU_DEP_1) | instskip(NEXT) | instid1(VALU_DEP_1)
	v_dual_max_f32 v41, v213, v213 :: v_dual_max_f32 v130, v203, v43
	v_max_f32_e32 v129, v212, v41
	v_add_co_u32 v41, vcc_lo, v205, v198
	v_add_co_ci_u32_e32 v42, vcc_lo, 0, v206, vcc_lo
	s_delay_alu instid0(VALU_DEP_3) | instskip(SKIP_3) | instid1(VALU_DEP_4)
	v_sub_f32_e32 v134, v36, v129
	v_sub_f32_e32 v210, v52, v130
	v_add_co_u32 v43, vcc_lo, v207, v201
	v_add_co_ci_u32_e32 v44, vcc_lo, 0, v208, vcc_lo
	v_dual_mul_f32 v52, 0x3fb8aa3b, v134 :: v_dual_sub_f32 v139, v139, v129
	s_delay_alu instid0(VALU_DEP_4) | instskip(SKIP_2) | instid1(VALU_DEP_4)
	v_mul_f32_e32 v212, 0x3fb8aa3b, v210
	v_sub_f32_e32 v203, v35, v130
	v_add_co_u32 v35, vcc_lo, v37, v198
	v_mul_f32_e32 v132, 0x3fb8aa3b, v139
	v_fma_f32 v213, 0x3fb8aa3b, v134, -v52
	v_rndne_f32_e32 v215, v52
	v_add_co_ci_u32_e32 v36, vcc_lo, 0, v38, vcc_lo
	v_mul_f32_e32 v211, 0x3fb8aa3b, v203
	v_fma_f32 v216, 0x3fb8aa3b, v139, -v132
	v_rndne_f32_e32 v217, v132
	v_rndne_f32_e32 v222, v212
	v_fmac_f32_e32 v213, 0x32a5705f, v134
	v_sub_f32_e32 v223, v52, v215
	v_fma_f32 v218, 0x3fb8aa3b, v203, -v211
	v_rndne_f32_e32 v220, v211
	v_fma_f32 v221, 0x3fb8aa3b, v210, -v212
	v_fmac_f32_e32 v216, 0x32a5705f, v139
	v_sub_f32_e32 v132, v132, v217
	v_sub_f32_e32 v212, v212, v222
	s_clause 0x1
	global_load_b32 v245, v[35:36], off offset:4
	global_load_b32 v52, v[37:38], off
	v_dual_add_f32 v35, v223, v213 :: v_dual_fmac_f32 v218, 0x32a5705f, v203
	v_fmac_f32_e32 v221, 0x32a5705f, v210
	v_sub_f32_e32 v211, v211, v220
	v_add_f32_e32 v36, v132, v216
	s_delay_alu instid0(VALU_DEP_4)
	v_exp_f32_e32 v35, v35
	s_clause 0x1
	global_load_b32 v252, v[43:44], off offset:4
	global_load_b32 v246, v[207:208], off
	v_cvt_i32_f32_e32 v43, v215
	v_add_f32_e32 v37, v211, v218
	v_exp_f32_e32 v36, v36
	v_cvt_i32_f32_e32 v44, v217
	v_cmp_ngt_f32_e32 vcc_lo, 0xc2ce8ed0, v134
	v_cvt_i32_f32_e32 v207, v220
	v_exp_f32_e32 v37, v37
	v_cvt_i32_f32_e32 v208, v222
	v_ldexp_f32 v35, v35, v43
	v_add_f32_e32 v38, v212, v221
	s_clause 0x1
	global_load_b32 v132, v[41:42], off offset:4
	global_load_b32 v249, v[205:206], off
	v_ldexp_f32 v36, v36, v44
	v_cndmask_b32_e32 v35, 0, v35, vcc_lo
	v_exp_f32_e32 v38, v38
	v_cmp_ngt_f32_e32 vcc_lo, 0xc2ce8ed0, v139
	v_ldexp_f32 v37, v37, v207
	v_cndmask_b32_e32 v36, 0, v36, vcc_lo
	v_cmp_ngt_f32_e32 vcc_lo, 0xc2ce8ed0, v203
	s_waitcnt_depctr 0xfff
	v_ldexp_f32 v38, v38, v208
	v_cndmask_b32_e32 v37, 0, v37, vcc_lo
	v_cmp_ngt_f32_e32 vcc_lo, 0xc2ce8ed0, v210
	s_delay_alu instid0(VALU_DEP_3)
	v_cndmask_b32_e32 v38, 0, v38, vcc_lo
	v_cmp_nlt_f32_e32 vcc_lo, 0x42b17218, v134
	s_waitcnt vmcnt(29)
	v_ashrrev_i32_e32 v133, v174, v133
	v_cndmask_b32_e32 v35, 0x7f800000, v35, vcc_lo
	v_cmp_nlt_f32_e32 vcc_lo, 0x42b17218, v139
	s_clause 0x1
	global_load_b32 v139, v[39:40], off offset:4
	global_load_b32 v134, v[45:46], off
	s_waitcnt vmcnt(30)
	v_ashrrev_i32_e32 v138, v174, v138
	s_waitcnt vmcnt(29)
	v_ashrrev_i32_e32 v175, v174, v175
	v_lshrrev_b32_e32 v212, 16, v133
	v_cndmask_b32_e32 v240, 0x7f800000, v36, vcc_lo
	v_cmp_nlt_f32_e32 vcc_lo, 0x42b17218, v203
	v_and_b32_e32 v213, 15, v138
	v_lshrrev_b32_e32 v211, 8, v133
	v_and_b32_e32 v217, 15, v175
	v_and_b32_e32 v212, 15, v212
	v_cndmask_b32_e32 v36, 0x7f800000, v37, vcc_lo
	v_cmp_nlt_f32_e32 vcc_lo, 0x42b17218, v210
	v_and_b32_e32 v210, 15, v133
	v_fma_f32 v59, v59, v35, v240
	v_cvt_f16_f32_e32 v35, v35
	v_lshrrev_b32_e32 v215, 8, v138
	v_cndmask_b32_e32 v37, 0x7f800000, v38, vcc_lo
	v_cvt_f16_f32_e64 v38, v240
	v_lshrrev_b32_e32 v216, 16, v138
	v_lshrrev_b32_e32 v218, 8, v175
	v_lshrrev_b32_e32 v220, 16, v175
	v_fma_f32 v60, v60, v36, v37
	v_cvt_f16_f32_e32 v37, v37
	ds_store_b16 v136, v38
	ds_store_b16 v136, v37 offset:256
	v_and_b32_e32 v211, 15, v211
	v_cvt_f16_f32_e64 v203, v36
	v_pk_mul_f16 v208, v35, v31 op_sel_hi:[0,1]
	v_pk_mul_f16 v207, v35, v32 op_sel_hi:[0,1]
	;; [unrolled: 1-line block ×4, first 2 shown]
	ds_load_b128 v[43:46], v194
	ds_load_b128 v[35:38], v194 offset:16
	ds_load_b128 v[39:42], v194 offset:256
	;; [unrolled: 1-line block ×3, first 2 shown]
	v_bfe_u32 v133, v133, 24, 4
	v_bfe_u32 v138, v138, 24, 4
	;; [unrolled: 1-line block ×3, first 2 shown]
	v_cvt_f16_u16_e64 v210, v210
	v_and_b32_e32 v215, 15, v215
	v_and_b32_e32 v216, 15, v216
	;; [unrolled: 1-line block ×4, first 2 shown]
	v_cvt_f16_u16_e64 v211, v211
	v_cvt_f16_u16_e64 v133, v133
	;; [unrolled: 1-line block ×11, first 2 shown]
	v_pack_b32_f16 v210, v210, v211
	s_waitcnt vmcnt(28)
	v_ashrrev_i32_e32 v185, v174, v185
	v_pack_b32_f16 v133, v212, v133
	v_pack_b32_f16 v211, v213, v215
	;; [unrolled: 1-line block ×5, first 2 shown]
	s_waitcnt vmcnt(23)
	v_pk_fma_f16 v210, v58, v210, v58 op_sel:[0,0,1] op_sel_hi:[0,1,1]
	v_lshrrev_b32_e32 v222, 8, v185
	v_ashrrev_i32_e32 v195, v174, v195
	v_pk_fma_f16 v58, v58, v133, v58 op_sel:[0,0,1] op_sel_hi:[0,1,1]
	v_pk_fma_f16 v133, v55, v211, v55 op_sel:[0,0,1] op_sel_hi:[0,1,1]
	;; [unrolled: 1-line block ×5, first 2 shown]
	s_waitcnt lgkmcnt(3)
	v_pk_fma_f16 v54, v210, v43, v208 op_sel_hi:[1,0,1]
	s_waitcnt lgkmcnt(1)
	v_pk_mul_f16 v208, v210, v39 op_sel_hi:[1,0]
	v_and_b32_e32 v221, 15, v185
	v_and_b32_e32 v222, 15, v222
	v_pk_mul_f16 v49, v203, v49 op_sel_hi:[0,1]
	v_pk_mul_f16 v50, v203, v50 op_sel_hi:[0,1]
	v_lshrrev_b32_e32 v223, 16, v185
	v_bfe_u32 v185, v185, 24, 4
	v_pk_fma_f16 v47, v203, v47, v208 op_sel_hi:[0,1,1]
	v_pk_fma_f16 v210, v138, v43, v54 op_sel:[0,1,0]
	v_lshrrev_b32_e32 v54, 8, v195
	v_pk_fma_f16 v211, v58, v43, v207 op_sel_hi:[1,0,1]
	v_pk_fma_f16 v212, v133, v43, v205 op_sel_hi:[1,0,1]
	v_pk_fma_f16 v213, v55, v43, v206 op_sel_hi:[1,0,1]
	v_cvt_f16_u16_e64 v221, v221
	v_cvt_f16_u16_e64 v222, v222
	v_pk_mul_f16 v58, v58, v39 op_sel_hi:[1,0]
	ds_store_b64 v137, v[49:50] offset:24
	ds_store_b32 v137, v47 offset:16
	ds_store_b128 v137, v[210:213]
	v_pk_fma_f16 v47, v138, v39, v47 op_sel:[0,1,0]
	v_cvt_f16_u16_e64 v138, v185
	v_and_b32_e32 v185, 15, v54
	v_ashrrev_i32_e32 v54, 31, v163
	v_pack_b32_f16 v215, v221, v222
	v_pk_fma_f16 v48, v203, v48, v58 op_sel_hi:[0,1,1]
	v_add_co_u32 v203, vcc_lo, s7, v163
	s_delay_alu instid0(VALU_DEP_4) | instskip(NEXT) | instid1(VALU_DEP_4)
	v_add_co_ci_u32_e32 v217, vcc_lo, s9, v54, vcc_lo
	v_pk_fma_f16 v58, v53, v215, v53 op_sel:[0,0,1] op_sel_hi:[0,1,1]
	s_delay_alu instid0(VALU_DEP_3)
	v_add_co_u32 v215, vcc_lo, v203, v241
	v_and_b32_e32 v223, 15, v223
	v_pk_fma_f16 v50, v55, v39, v50 op_sel_hi:[1,0,1]
	v_and_b32_e32 v55, 15, v195
	v_add_co_ci_u32_e32 v216, vcc_lo, v217, v242, vcc_lo
	v_lshrrev_b32_e32 v205, 16, v195
	v_add_co_u32 v54, vcc_lo, v215, v201
	v_pk_fma_f16 v49, v133, v39, v49 op_sel_hi:[1,0,1]
	v_cvt_f16_u16_e64 v133, v223
	v_cvt_f16_u16_e64 v207, v55
	v_add_co_ci_u32_e32 v55, vcc_lo, 0, v216, vcc_lo
	v_cvt_f16_u16_e64 v185, v185
	v_and_b32_e32 v205, 15, v205
	v_bfe_u32 v208, v195, 24, 4
	v_pack_b32_f16 v133, v133, v138
	global_load_b32 v195, v[54:55], off offset:4
	v_pack_b32_f16 v54, v207, v185
	v_cvt_f16_u16_e64 v55, v205
	v_cvt_f16_u16_e64 v138, v208
	v_pk_fma_f16 v53, v53, v133, v53 op_sel:[0,0,1] op_sel_hi:[0,1,1]
	v_pk_fma_f16 v206, v175, v43, v211 op_sel:[0,1,0]
	s_waitcnt vmcnt(20)
	v_pk_fma_f16 v54, v254, v54, v254 op_sel:[0,0,1] op_sel_hi:[0,1,1]
	v_pk_fma_f16 v207, v58, v43, v212 op_sel:[0,1,0]
	v_pack_b32_f16 v55, v55, v138
	v_pk_fma_f16 v208, v53, v43, v213 op_sel:[0,1,0]
	v_pk_fma_f16 v211, v175, v39, v48 op_sel:[0,1,0]
	v_pk_fma_f16 v205, v54, v44, v210 op_sel_hi:[1,0,1]
	v_pk_fma_f16 v212, v58, v39, v49 op_sel:[0,1,0]
	v_pk_fma_f16 v213, v53, v39, v50 op_sel:[0,1,0]
	v_pk_fma_f16 v39, v254, v55, v254 op_sel:[0,0,1] op_sel_hi:[0,1,1]
	ds_store_b128 v137, v[47:50] offset:16
	ds_store_b128 v137, v[205:208]
	v_ashrrev_i32_e32 v49, 31, v166
	s_waitcnt vmcnt(18)
	v_ashrrev_i32_e32 v175, v174, v127
	v_ashrrev_i32_e32 v43, v174, v128
	v_pk_fma_f16 v48, v39, v44, v206 op_sel_hi:[1,0,1]
	v_pk_fma_f16 v206, v39, v40, v211 op_sel_hi:[1,0,1]
	v_add_co_u32 v39, vcc_lo, s7, v166
	v_add_co_ci_u32_e32 v53, vcc_lo, s9, v49, vcc_lo
	v_add_co_u32 v49, vcc_lo, v203, v244
	v_add_co_ci_u32_e32 v50, vcc_lo, v217, v243, vcc_lo
	s_delay_alu instid0(VALU_DEP_4) | instskip(NEXT) | instid1(VALU_DEP_4)
	v_add_co_u32 v127, vcc_lo, v39, v241
	v_add_co_ci_u32_e32 v128, vcc_lo, v53, v242, vcc_lo
	v_add_co_u32 v217, vcc_lo, v39, v244
	v_add_co_ci_u32_e32 v218, vcc_lo, v53, v243, vcc_lo
	s_delay_alu instid0(VALU_DEP_4) | instskip(NEXT) | instid1(VALU_DEP_4)
	v_add_co_u32 v254, vcc_lo, v127, v201
	v_add_co_ci_u32_e32 v255, vcc_lo, 0, v128, vcc_lo
	s_delay_alu instid0(VALU_DEP_4)
	v_add_co_u32 v53, vcc_lo, v217, v198
	v_pk_fma_f16 v210, v54, v40, v47 op_sel_hi:[1,0,1]
	v_add_co_ci_u32_e32 v54, vcc_lo, 0, v218, vcc_lo
	v_add_co_u32 v220, vcc_lo, v49, v198
	v_add_co_ci_u32_e32 v221, vcc_lo, 0, v50, vcc_lo
	s_clause 0x6
	global_load_b32 v54, v[53:54], off offset:4
	global_load_b32 v53, v[217:218], off
	global_load_b32 v138, v[254:255], off offset:4
	global_load_b32 v55, v[127:128], off
	;; [unrolled: 2-line block ×3, first 2 shown]
	global_load_b32 v39, v[215:216], off
	v_lshrrev_b32_e32 v47, 8, v43
	v_lshrrev_b32_e32 v133, 16, v43
	v_and_b32_e32 v49, 15, v43
	v_lshrrev_b32_e32 v128, 8, v175
	v_bfe_u32 v43, v43, 24, 4
	v_and_b32_e32 v47, 15, v47
	v_and_b32_e32 v50, 15, v133
	v_cvt_f16_u16_e32 v49, v49
	v_and_b32_e32 v133, 15, v175
	v_and_b32_e32 v128, 15, v128
	v_cvt_f16_u16_e32 v47, v47
	v_cvt_f16_u16_e32 v50, v50
	v_lshrrev_b32_e32 v185, 16, v175
	v_cvt_f16_u16_e32 v43, v43
	v_cvt_f16_u16_e64 v133, v133
	v_cvt_f16_u16_e64 v128, v128
	v_pack_b32_f16 v47, v49, v47
	v_and_b32_e32 v49, 15, v185
	v_bfe_u32 v175, v175, 24, 4
	v_pack_b32_f16 v43, v50, v43
	v_pack_b32_f16 v50, v133, v128
	v_pk_fma_f16 v47, v57, v47, v57 op_sel:[0,0,1] op_sel_hi:[0,1,1]
	v_cvt_f16_u16_e64 v128, v49
	v_cvt_f16_u16_e64 v133, v175
	v_pk_fma_f16 v43, v57, v43, v57 op_sel:[0,0,1] op_sel_hi:[0,1,1]
	v_pk_fma_f16 v57, v56, v50, v56 op_sel:[0,0,1] op_sel_hi:[0,1,1]
	v_pk_fma_f16 v49, v47, v44, v207 op_sel_hi:[1,0,1]
	v_pk_fma_f16 v207, v47, v40, v212 op_sel_hi:[1,0,1]
	v_pack_b32_f16 v128, v128, v133
	v_pk_fma_f16 v50, v43, v44, v208 op_sel_hi:[1,0,1]
	v_pk_fma_f16 v208, v43, v40, v213 op_sel_hi:[1,0,1]
	s_waitcnt vmcnt(24)
	v_ashrrev_i32_e32 v43, v174, v131
	s_waitcnt vmcnt(23)
	v_ashrrev_i32_e32 v131, v174, v202
	v_pk_fma_f16 v56, v56, v128, v56 op_sel:[0,0,1] op_sel_hi:[0,1,1]
	v_pk_fma_f16 v47, v57, v44, v205 op_sel:[0,1,0]
	v_pk_fma_f16 v205, v57, v40, v210 op_sel:[0,1,0]
	v_lshrrev_b32_e32 v128, 16, v43
	v_lshrrev_b32_e32 v57, 8, v43
	v_and_b32_e32 v133, 15, v43
	v_bfe_u32 v43, v43, 24, 4
	v_lshrrev_b32_e32 v175, 8, v131
	v_and_b32_e32 v128, 15, v128
	v_and_b32_e32 v57, 15, v57
	;; [unrolled: 1-line block ×3, first 2 shown]
	v_cvt_f16_u16_e32 v43, v43
	v_and_b32_e32 v175, 15, v175
	v_cvt_f16_u16_e64 v128, v128
	v_cvt_f16_u16_e64 v133, v133
	v_cvt_f16_u16_e32 v57, v57
	v_lshrrev_b32_e32 v202, 16, v131
	v_cvt_f16_u16_e64 v185, v185
	v_pack_b32_f16 v43, v128, v43
	v_cvt_f16_u16_e64 v175, v175
	v_pack_b32_f16 v57, v133, v57
	v_and_b32_e32 v133, 15, v202
	v_bfe_u32 v131, v131, 24, 4
	v_pk_fma_f16 v43, v51, v43, v51 op_sel:[0,0,1] op_sel_hi:[0,1,1]
	v_pack_b32_f16 v128, v185, v175
	ds_store_b128 v137, v[210:213] offset:16
	ds_store_b128 v137, v[47:50]
	v_cvt_f16_u16_e64 v133, v133
	v_cvt_f16_u16_e64 v131, v131
	v_pk_fma_f16 v50, v43, v44, v50 op_sel:[0,1,0]
	v_pk_fma_f16 v213, v43, v40, v208 op_sel:[0,1,0]
	v_ashrrev_i32_e32 v43, 31, v170
	v_pk_fma_f16 v57, v51, v57, v51 op_sel:[0,0,1] op_sel_hi:[0,1,1]
	s_waitcnt vmcnt(16)
	v_pk_fma_f16 v51, v247, v128, v247 op_sel:[0,0,1] op_sel_hi:[0,1,1]
	v_add_co_u32 v128, vcc_lo, s7, v170
	v_pk_fma_f16 v48, v56, v44, v48 op_sel:[0,1,0]
	v_pk_fma_f16 v211, v56, v40, v206 op_sel:[0,1,0]
	v_pack_b32_f16 v56, v133, v131
	v_add_co_ci_u32_e32 v131, vcc_lo, s9, v43, vcc_lo
	v_add_co_u32 v43, vcc_lo, v128, v241
	v_pk_fma_f16 v49, v57, v44, v49 op_sel:[0,1,0]
	s_delay_alu instid0(VALU_DEP_3)
	v_add_co_ci_u32_e32 v44, vcc_lo, v131, v242, vcc_lo
	v_pk_fma_f16 v212, v57, v40, v207 op_sel:[0,1,0]
	v_pk_fma_f16 v40, v247, v56, v247 op_sel:[0,0,1] op_sel_hi:[0,1,1]
	v_add_co_u32 v56, vcc_lo, v43, v201
	v_pk_fma_f16 v47, v51, v45, v47 op_sel_hi:[1,0,1]
	v_add_co_ci_u32_e32 v57, vcc_lo, 0, v44, vcc_lo
	ds_store_b128 v137, v[205:208] offset:16
	ds_store_b128 v137, v[47:50]
	v_ashrrev_i32_e32 v222, v174, v125
	global_load_b32 v125, v[56:57], off offset:4
	v_ashrrev_i32_e32 v56, 31, v173
	v_pk_fma_f16 v210, v51, v41, v205 op_sel_hi:[1,0,1]
	v_add_co_u32 v51, vcc_lo, s7, v173
	v_ashrrev_i32_e32 v126, v174, v126
	s_delay_alu instid0(VALU_DEP_4) | instskip(SKIP_3) | instid1(VALU_DEP_4)
	v_add_co_ci_u32_e32 v56, vcc_lo, s9, v56, vcc_lo
	v_add_co_u32 v202, vcc_lo, v128, v244
	v_add_co_ci_u32_e32 v203, vcc_lo, v131, v243, vcc_lo
	v_add_co_u32 v205, vcc_lo, v51, v241
	;; [unrolled: 2-line block ×3, first 2 shown]
	v_add_co_ci_u32_e32 v208, vcc_lo, v56, v243, vcc_lo
	s_delay_alu instid0(VALU_DEP_4) | instskip(NEXT) | instid1(VALU_DEP_4)
	v_add_co_u32 v215, vcc_lo, v205, v201
	v_add_co_ci_u32_e32 v216, vcc_lo, 0, v206, vcc_lo
	s_delay_alu instid0(VALU_DEP_4) | instskip(NEXT) | instid1(VALU_DEP_4)
	v_add_co_u32 v56, vcc_lo, v207, v198
	v_add_co_ci_u32_e32 v57, vcc_lo, 0, v208, vcc_lo
	v_add_co_u32 v217, vcc_lo, v202, v198
	v_add_co_ci_u32_e32 v218, vcc_lo, 0, v203, vcc_lo
	s_clause 0x6
	global_load_b32 v56, v[56:57], off offset:4
	global_load_b32 v51, v[207:208], off
	global_load_b32 v133, v[215:216], off offset:4
	global_load_b32 v57, v[205:206], off
	;; [unrolled: 2-line block ×3, first 2 shown]
	global_load_b32 v185, v[43:44], off
	v_lshrrev_b32_e32 v220, 8, v126
	v_pk_fma_f16 v48, v40, v45, v48 op_sel_hi:[1,0,1]
	v_lshrrev_b32_e32 v221, 16, v126
	v_pk_fma_f16 v206, v40, v41, v211 op_sel_hi:[1,0,1]
	v_and_b32_e32 v40, 15, v126
	v_and_b32_e32 v43, 15, v220
	v_lshrrev_b32_e32 v128, 8, v222
	v_and_b32_e32 v44, 15, v221
	v_bfe_u32 v126, v126, 24, 4
	v_cvt_f16_u16_e32 v40, v40
	v_cvt_f16_u16_e32 v43, v43
	v_and_b32_e32 v131, 15, v222
	v_and_b32_e32 v128, 15, v128
	v_lshrrev_b32_e32 v202, 16, v222
	v_cvt_f16_u16_e32 v44, v44
	v_cvt_f16_u16_e32 v126, v126
	v_cvt_f16_u16_e64 v131, v131
	v_cvt_f16_u16_e64 v128, v128
	v_pack_b32_f16 v40, v40, v43
	v_and_b32_e32 v43, 15, v202
	v_bfe_u32 v202, v222, 24, 4
	v_pack_b32_f16 v44, v44, v126
	v_pack_b32_f16 v126, v131, v128
	v_pk_fma_f16 v40, v253, v40, v253 op_sel:[0,0,1] op_sel_hi:[0,1,1]
	v_cvt_f16_u16_e32 v43, v43
	v_cvt_f16_u16_e64 v128, v202
	v_pk_fma_f16 v44, v253, v44, v253 op_sel:[0,0,1] op_sel_hi:[0,1,1]
	v_pk_fma_f16 v126, v251, v126, v251 op_sel:[0,0,1] op_sel_hi:[0,1,1]
	v_pk_fma_f16 v49, v40, v45, v49 op_sel_hi:[1,0,1]
	v_pk_fma_f16 v207, v40, v41, v212 op_sel_hi:[1,0,1]
	v_pack_b32_f16 v40, v43, v128
	v_ashrrev_i32_e32 v43, v174, v250
	v_pk_fma_f16 v50, v44, v45, v50 op_sel_hi:[1,0,1]
	v_pk_fma_f16 v208, v44, v41, v213 op_sel_hi:[1,0,1]
	v_pk_fma_f16 v47, v126, v45, v47 op_sel:[0,1,0]
	v_pk_fma_f16 v40, v251, v40, v251 op_sel:[0,0,1] op_sel_hi:[0,1,1]
	v_lshrrev_b32_e32 v44, 8, v43
	ds_store_b128 v137, v[210:213] offset:16
	ds_store_b128 v137, v[47:50]
	v_pk_fma_f16 v205, v126, v41, v210 op_sel:[0,1,0]
	v_lshrrev_b32_e32 v126, 16, v43
	v_pk_fma_f16 v48, v40, v45, v48 op_sel:[0,1,0]
	v_pk_fma_f16 v211, v40, v41, v206 op_sel:[0,1,0]
	v_and_b32_e32 v40, 15, v43
	v_and_b32_e32 v44, 15, v44
	s_waitcnt vmcnt(17)
	v_ashrrev_i32_e32 v128, v174, v139
	v_and_b32_e32 v126, 15, v126
	v_bfe_u32 v43, v43, 24, 4
	v_cvt_f16_u16_e32 v40, v40
	v_cvt_f16_u16_e32 v44, v44
	v_lshrrev_b32_e32 v131, 8, v128
	v_cvt_f16_u16_e32 v126, v126
	v_cvt_f16_u16_e32 v43, v43
	v_lshrrev_b32_e32 v139, 16, v128
	v_pack_b32_f16 v40, v40, v44
	v_and_b32_e32 v44, 15, v128
	v_and_b32_e32 v131, 15, v131
	v_pack_b32_f16 v43, v126, v43
	v_and_b32_e32 v126, 15, v139
	v_pk_fma_f16 v40, v248, v40, v248 op_sel:[0,0,1] op_sel_hi:[0,1,1]
	v_cvt_f16_u16_e32 v44, v44
	v_cvt_f16_u16_e64 v131, v131
	v_pk_fma_f16 v43, v248, v43, v248 op_sel:[0,0,1] op_sel_hi:[0,1,1]
	v_bfe_u32 v128, v128, 24, 4
	v_pk_fma_f16 v49, v40, v45, v49 op_sel:[0,1,0]
	v_cvt_f16_u16_e32 v126, v126
	v_pack_b32_f16 v44, v44, v131
	v_ashrrev_i32_e32 v131, v174, v132
	v_pk_fma_f16 v50, v43, v45, v50 op_sel:[0,1,0]
	v_cvt_f16_u16_e64 v128, v128
	v_pk_fma_f16 v212, v40, v41, v207 op_sel:[0,1,0]
	s_waitcnt vmcnt(16)
	v_pk_fma_f16 v44, v134, v44, v134 op_sel:[0,0,1] op_sel_hi:[0,1,1]
	v_lshrrev_b32_e32 v45, 8, v131
	v_pk_fma_f16 v213, v43, v41, v208 op_sel:[0,1,0]
	v_and_b32_e32 v41, 15, v131
	v_pack_b32_f16 v40, v126, v128
	v_pk_fma_f16 v47, v44, v46, v47 op_sel_hi:[1,0,1]
	v_and_b32_e32 v43, 15, v45
	v_lshrrev_b32_e32 v45, 16, v131
	v_pk_fma_f16 v210, v44, v42, v205 op_sel_hi:[1,0,1]
	v_cvt_f16_u16_e32 v41, v41
	v_ashrrev_i32_e32 v126, v174, v252
	v_cvt_f16_u16_e32 v43, v43
	v_and_b32_e32 v44, 15, v45
	v_bfe_u32 v45, v131, 24, 4
	v_pk_fma_f16 v40, v134, v40, v134 op_sel:[0,0,1] op_sel_hi:[0,1,1]
	ds_store_b128 v137, v[205:208] offset:16
	ds_store_b128 v137, v[47:50]
	v_pack_b32_f16 v41, v41, v43
	v_cvt_f16_u16_e32 v43, v44
	v_cvt_f16_u16_e32 v44, v45
	v_lshrrev_b32_e32 v45, 16, v126
	v_pk_fma_f16 v206, v40, v46, v48 op_sel_hi:[1,0,1]
	v_pk_fma_f16 v48, v40, v42, v211 op_sel_hi:[1,0,1]
	v_lshrrev_b32_e32 v40, 8, v126
	v_pk_fma_f16 v128, v249, v41, v249 op_sel:[0,0,1] op_sel_hi:[0,1,1]
	v_pack_b32_f16 v43, v43, v44
	v_and_b32_e32 v41, 15, v126
	v_and_b32_e32 v44, 15, v45
	v_bfe_u32 v45, v126, 24, 4
	v_ashrrev_i32_e32 v126, 31, v176
	v_add_co_u32 v131, vcc_lo, s7, v176
	v_and_b32_e32 v40, 15, v40
	v_pk_fma_f16 v43, v249, v43, v249 op_sel:[0,0,1] op_sel_hi:[0,1,1]
	s_delay_alu instid0(VALU_DEP_4) | instskip(NEXT) | instid1(VALU_DEP_4)
	v_add_co_ci_u32_e32 v132, vcc_lo, s9, v126, vcc_lo
	v_add_co_u32 v202, vcc_lo, v131, v241
	v_cvt_f16_u16_e32 v126, v41
	s_delay_alu instid0(VALU_DEP_3) | instskip(SKIP_1) | instid1(VALU_DEP_4)
	v_add_co_ci_u32_e32 v203, vcc_lo, v132, v242, vcc_lo
	v_cvt_f16_u16_e64 v134, v40
	v_add_co_u32 v40, vcc_lo, v202, v201
	s_delay_alu instid0(VALU_DEP_3) | instskip(NEXT) | instid1(VALU_DEP_3)
	v_add_co_ci_u32_e32 v41, vcc_lo, 0, v203, vcc_lo
	v_pack_b32_f16 v134, v126, v134
	v_ashrrev_i32_e32 v139, 31, v177
	v_pk_fma_f16 v207, v128, v46, v49 op_sel_hi:[1,0,1]
	global_load_b32 v126, v[40:41], off offset:4
	v_pk_fma_f16 v208, v43, v46, v50 op_sel_hi:[1,0,1]
	v_pk_fma_f16 v40, v246, v134, v246 op_sel:[0,0,1] op_sel_hi:[0,1,1]
	v_add_co_u32 v134, vcc_lo, s7, v177
	v_add_co_ci_u32_e32 v139, vcc_lo, s9, v139, vcc_lo
	s_delay_alu instid0(VALU_DEP_3)
	v_pk_fma_f16 v205, v40, v46, v47 op_sel:[0,1,0]
	ds_store_b128 v137, v[210:213] offset:16
	ds_store_b128 v137, v[205:208]
	v_pk_fma_f16 v47, v40, v42, v210 op_sel:[0,1,0]
	v_add_co_u32 v210, vcc_lo, v131, v244
	v_add_co_ci_u32_e32 v211, vcc_lo, v132, v243, vcc_lo
	v_add_co_u32 v131, vcc_lo, v134, v241
	v_add_co_ci_u32_e32 v132, vcc_lo, v139, v242, vcc_lo
	v_pk_fma_f16 v49, v128, v42, v212 op_sel_hi:[1,0,1]
	v_add_co_u32 v212, vcc_lo, v134, v244
	v_pk_fma_f16 v50, v43, v42, v213 op_sel_hi:[1,0,1]
	v_add_co_ci_u32_e32 v213, vcc_lo, v139, v243, vcc_lo
	v_add_co_u32 v215, vcc_lo, v131, v201
	v_add_co_ci_u32_e32 v216, vcc_lo, 0, v132, vcc_lo
	v_cvt_f16_u16_e32 v44, v44
	v_cvt_f16_u16_e32 v45, v45
	v_add_co_u32 v217, vcc_lo, v212, v198
	v_add_co_ci_u32_e32 v218, vcc_lo, 0, v213, vcc_lo
	v_add_co_u32 v220, vcc_lo, v210, v198
	s_delay_alu instid0(VALU_DEP_4)
	v_pack_b32_f16 v41, v44, v45
	v_ashrrev_i32_e32 v43, v174, v245
	s_waitcnt vmcnt(16)
	v_ashrrev_i32_e32 v195, v174, v195
	v_add_co_ci_u32_e32 v221, vcc_lo, 0, v211, vcc_lo
	s_clause 0x6
	global_load_b32 v248, v[217:218], off offset:4
	global_load_b32 v245, v[212:213], off
	global_load_b32 v134, v[215:216], off offset:4
	global_load_b32 v249, v[131:132], off
	;; [unrolled: 2-line block ×3, first 2 shown]
	global_load_b32 v139, v[202:203], off
	v_pk_fma_f16 v41, v246, v41, v246 op_sel:[0,0,1] op_sel_hi:[0,1,1]
	v_lshrrev_b32_e32 v45, 8, v43
	v_lshrrev_b32_e32 v128, 16, v43
	;; [unrolled: 1-line block ×4, first 2 shown]
	v_pk_fma_f16 v44, v41, v46, v206 op_sel:[0,1,0]
	v_pk_fma_f16 v40, v41, v42, v48 op_sel:[0,1,0]
	v_and_b32_e32 v41, 15, v43
	v_and_b32_e32 v45, 15, v45
	v_and_b32_e32 v128, 15, v128
	v_bfe_u32 v43, v43, 24, 4
	v_and_b32_e32 v206, 15, v195
	v_and_b32_e32 v132, 15, v222
	v_cvt_f16_u16_e32 v41, v41
	v_cvt_f16_u16_e32 v45, v45
	v_cvt_f16_u16_e64 v128, v128
	v_cvt_f16_u16_e32 v43, v43
	v_cvt_f16_u16_e64 v203, v206
	v_cvt_f16_u16_e64 v132, v132
	v_pack_b32_f16 v41, v41, v45
	v_and_b32_e32 v45, 15, v202
	v_bfe_u32 v195, v195, 24, 4
	v_pack_b32_f16 v43, v128, v43
	v_pack_b32_f16 v128, v203, v132
	v_pk_fma_f16 v41, v52, v41, v52 op_sel:[0,0,1] op_sel_hi:[0,1,1]
	v_cvt_f16_u16_e64 v132, v45
	v_cvt_f16_u16_e64 v195, v195
	v_pk_fma_f16 v52, v52, v43, v52 op_sel:[0,0,1] op_sel_hi:[0,1,1]
	s_waitcnt vmcnt(22)
	v_ashrrev_i32_e32 v54, v174, v54
	v_pk_fma_f16 v45, v41, v46, v207 op_sel:[0,1,0]
	v_pk_fma_f16 v41, v41, v42, v49 op_sel:[0,1,0]
	v_pack_b32_f16 v132, v132, v195
	v_pk_fma_f16 v46, v52, v46, v208 op_sel:[0,1,0]
	v_pk_fma_f16 v42, v52, v42, v50 op_sel:[0,1,0]
	s_waitcnt vmcnt(16)
	v_pk_fma_f16 v128, v39, v128, v39 op_sel:[0,0,1] op_sel_hi:[0,1,1]
	v_ashrrev_i32_e32 v52, v174, v127
	v_pk_fma_f16 v127, v39, v132, v39 op_sel:[0,0,1] op_sel_hi:[0,1,1]
	v_ashrrev_i32_e32 v132, v174, v138
	s_delay_alu instid0(VALU_DEP_4)
	v_pk_fma_f16 v43, v128, v35, v205 op_sel_hi:[1,0,1]
	ds_store_b128 v137, v[47:50] offset:16
	ds_store_b128 v137, v[43:46]
	s_waitcnt lgkmcnt(17)
	v_pk_fma_f16 v39, v128, v31, v47 op_sel_hi:[1,0,1]
	v_lshrrev_b32_e32 v47, 8, v52
	v_lshrrev_b32_e32 v48, 16, v52
	v_and_b32_e32 v49, 15, v52
	v_bfe_u32 v50, v52, 24, 4
	v_add_co_u32 v52, vcc_lo, s7, v178
	v_and_b32_e32 v47, 15, v47
	v_pk_fma_f16 v44, v127, v35, v44 op_sel_hi:[1,0,1]
	v_pk_fma_f16 v206, v127, v31, v40 op_sel_hi:[1,0,1]
	v_and_b32_e32 v48, 15, v48
	v_cvt_f16_u16_e64 v138, v49
	v_cvt_f16_u16_e64 v195, v47
	v_ashrrev_i32_e32 v47, 31, v178
	v_and_b32_e32 v49, 15, v132
	v_cvt_f16_u16_e64 v205, v48
	v_cvt_f16_u16_e64 v217, v50
	v_lshrrev_b32_e32 v218, 16, v132
	v_add_co_ci_u32_e32 v127, vcc_lo, s9, v47, vcc_lo
	v_lshrrev_b32_e32 v47, 8, v132
	v_add_co_u32 v207, vcc_lo, v52, v241
	s_delay_alu instid0(VALU_DEP_3) | instskip(NEXT) | instid1(VALU_DEP_3)
	v_add_co_ci_u32_e32 v208, vcc_lo, v127, v242, vcc_lo
	v_and_b32_e32 v128, 15, v47
	s_delay_alu instid0(VALU_DEP_3) | instskip(NEXT) | instid1(VALU_DEP_3)
	v_add_co_u32 v47, vcc_lo, v207, v201
	v_add_co_ci_u32_e32 v48, vcc_lo, 0, v208, vcc_lo
	v_cvt_f16_u16_e64 v220, v49
	v_ashrrev_i32_e32 v49, 31, v179
	v_cvt_f16_u16_e64 v221, v128
	global_load_b32 v48, v[47:48], off offset:4
	v_add_co_u32 v47, vcc_lo, s7, v179
	v_add_co_ci_u32_e32 v50, vcc_lo, s9, v49, vcc_lo
	v_add_co_u32 v210, vcc_lo, v52, v244
	v_add_co_ci_u32_e32 v211, vcc_lo, v127, v243, vcc_lo
	s_delay_alu instid0(VALU_DEP_4) | instskip(NEXT) | instid1(VALU_DEP_4)
	v_add_co_u32 v127, vcc_lo, v47, v241
	v_add_co_ci_u32_e32 v128, vcc_lo, v50, v242, vcc_lo
	v_add_co_u32 v49, vcc_lo, v47, v244
	v_add_co_ci_u32_e32 v50, vcc_lo, v50, v243, vcc_lo
	s_delay_alu instid0(VALU_DEP_4) | instskip(NEXT) | instid1(VALU_DEP_4)
	v_add_co_u32 v202, vcc_lo, v127, v201
	v_add_co_ci_u32_e32 v203, vcc_lo, 0, v128, vcc_lo
	s_delay_alu instid0(VALU_DEP_4) | instskip(NEXT) | instid1(VALU_DEP_4)
	v_add_co_u32 v212, vcc_lo, v49, v198
	v_add_co_ci_u32_e32 v213, vcc_lo, 0, v50, vcc_lo
	v_add_co_u32 v215, vcc_lo, v210, v198
	v_add_co_ci_u32_e32 v216, vcc_lo, 0, v211, vcc_lo
	s_clause 0x6
	global_load_b32 v47, v[212:213], off offset:4
	global_load_b32 v52, v[49:50], off
	global_load_b32 v50, v[202:203], off offset:4
	global_load_b32 v127, v[127:128], off
	;; [unrolled: 2-line block ×3, first 2 shown]
	global_load_b32 v128, v[207:208], off
	v_pack_b32_f16 v138, v138, v195
	v_pack_b32_f16 v203, v205, v217
	;; [unrolled: 1-line block ×3, first 2 shown]
	v_and_b32_e32 v195, 15, v218
	v_bfe_u32 v132, v132, 24, 4
	v_pk_fma_f16 v138, v58, v138, v58 op_sel:[0,0,1] op_sel_hi:[0,1,1]
	v_pk_fma_f16 v58, v58, v203, v58 op_sel:[0,0,1] op_sel_hi:[0,1,1]
	;; [unrolled: 1-line block ×3, first 2 shown]
	v_cvt_f16_u16_e64 v195, v195
	v_cvt_f16_u16_e64 v132, v132
	v_pk_fma_f16 v45, v138, v35, v45 op_sel_hi:[1,0,1]
	v_pk_fma_f16 v46, v58, v35, v46 op_sel_hi:[1,0,1]
	v_pk_fma_f16 v43, v203, v35, v43 op_sel:[0,1,0]
	v_pk_fma_f16 v208, v58, v31, v42 op_sel_hi:[1,0,1]
	v_pack_b32_f16 v132, v195, v132
	ds_store_b128 v137, v[39:42] offset:16
	ds_store_b128 v137, v[43:46]
	s_waitcnt vmcnt(23)
	v_ashrrev_i32_e32 v42, v174, v125
	v_pk_fma_f16 v207, v138, v31, v41 op_sel_hi:[1,0,1]
	v_pk_fma_f16 v55, v55, v132, v55 op_sel:[0,0,1] op_sel_hi:[0,1,1]
	v_pk_fma_f16 v205, v203, v31, v39 op_sel:[0,1,0]
	v_lshrrev_b32_e32 v39, 8, v54
	v_lshrrev_b32_e32 v41, 16, v54
	;; [unrolled: 1-line block ×3, first 2 shown]
	v_pk_fma_f16 v40, v55, v35, v44 op_sel:[0,1,0]
	v_and_b32_e32 v44, 15, v54
	v_and_b32_e32 v39, 15, v39
	;; [unrolled: 1-line block ×3, first 2 shown]
	v_bfe_u32 v54, v54, 24, 4
	v_lshrrev_b32_e32 v132, 16, v42
	v_and_b32_e32 v125, 15, v42
	v_and_b32_e32 v58, 15, v58
	v_cvt_f16_u16_e32 v44, v44
	v_cvt_f16_u16_e32 v39, v39
	;; [unrolled: 1-line block ×4, first 2 shown]
	v_and_b32_e32 v132, 15, v132
	v_bfe_u32 v42, v42, 24, 4
	v_cvt_f16_u16_e32 v125, v125
	v_cvt_f16_u16_e32 v58, v58
	v_pack_b32_f16 v39, v44, v39
	v_pack_b32_f16 v41, v41, v54
	v_cvt_f16_u16_e64 v54, v132
	v_cvt_f16_u16_e32 v42, v42
	v_pack_b32_f16 v44, v125, v58
	v_pk_fma_f16 v58, v53, v39, v53 op_sel:[0,0,1] op_sel_hi:[0,1,1]
	v_pk_fma_f16 v53, v53, v41, v53 op_sel:[0,0,1] op_sel_hi:[0,1,1]
	v_pk_fma_f16 v211, v55, v31, v206 op_sel:[0,1,0]
	v_pack_b32_f16 v54, v54, v42
	s_waitcnt vmcnt(16)
	v_pk_fma_f16 v44, v185, v44, v185 op_sel:[0,0,1] op_sel_hi:[0,1,1]
	v_pk_fma_f16 v41, v58, v35, v45 op_sel:[0,1,0]
	v_pk_fma_f16 v42, v53, v35, v46 op_sel:[0,1,0]
	v_pk_fma_f16 v212, v58, v31, v207 op_sel:[0,1,0]
	v_pk_fma_f16 v35, v185, v54, v185 op_sel:[0,0,1] op_sel_hi:[0,1,1]
	v_pk_fma_f16 v39, v44, v36, v43 op_sel_hi:[1,0,1]
	ds_store_b128 v137, v[205:208] offset:16
	ds_store_b128 v137, v[39:42]
	v_pk_fma_f16 v210, v44, v32, v205 op_sel_hi:[1,0,1]
	v_pk_fma_f16 v44, v35, v36, v40 op_sel_hi:[1,0,1]
	;; [unrolled: 1-line block ×3, first 2 shown]
	v_ashrrev_i32_e32 v35, 31, v180
	v_pk_fma_f16 v213, v53, v31, v208 op_sel:[0,1,0]
	v_add_co_u32 v31, vcc_lo, s7, v180
	v_ashrrev_i32_e32 v43, v174, v175
	s_delay_alu instid0(VALU_DEP_4) | instskip(NEXT) | instid1(VALU_DEP_3)
	v_add_co_ci_u32_e32 v55, vcc_lo, s9, v35, vcc_lo
	v_add_co_u32 v45, vcc_lo, v31, v241
	s_delay_alu instid0(VALU_DEP_3) | instskip(NEXT) | instid1(VALU_DEP_3)
	v_lshrrev_b32_e32 v35, 8, v43
	v_add_co_ci_u32_e32 v46, vcc_lo, v55, v242, vcc_lo
	s_delay_alu instid0(VALU_DEP_3) | instskip(NEXT) | instid1(VALU_DEP_3)
	v_add_co_u32 v53, vcc_lo, v45, v201
	v_and_b32_e32 v175, 15, v35
	s_delay_alu instid0(VALU_DEP_3)
	v_add_co_ci_u32_e32 v54, vcc_lo, 0, v46, vcc_lo
	v_add_co_u32 v125, vcc_lo, s7, v182
	v_ashrrev_i32_e32 v185, v174, v133
	global_load_b32 v35, v[53:54], off offset:4
	v_ashrrev_i32_e32 v53, 31, v182
	v_lshrrev_b32_e32 v58, 16, v43
	v_and_b32_e32 v138, 15, v43
	v_bfe_u32 v43, v43, 24, 4
	s_delay_alu instid0(VALU_DEP_4) | instskip(SKIP_3) | instid1(VALU_DEP_4)
	v_add_co_ci_u32_e32 v133, vcc_lo, s9, v53, vcc_lo
	v_add_co_u32 v53, vcc_lo, v31, v244
	v_add_co_ci_u32_e32 v54, vcc_lo, v55, v243, vcc_lo
	v_add_co_u32 v205, vcc_lo, v125, v241
	;; [unrolled: 2-line block ×3, first 2 shown]
	v_add_co_ci_u32_e32 v133, vcc_lo, v133, v243, vcc_lo
	s_delay_alu instid0(VALU_DEP_4) | instskip(NEXT) | instid1(VALU_DEP_4)
	v_add_co_u32 v207, vcc_lo, v205, v201
	v_add_co_ci_u32_e32 v208, vcc_lo, 0, v206, vcc_lo
	s_delay_alu instid0(VALU_DEP_4) | instskip(NEXT) | instid1(VALU_DEP_4)
	v_add_co_u32 v215, vcc_lo, v132, v198
	v_add_co_ci_u32_e32 v216, vcc_lo, 0, v133, vcc_lo
	v_add_co_u32 v217, vcc_lo, v53, v198
	v_add_co_ci_u32_e32 v218, vcc_lo, 0, v54, vcc_lo
	s_clause 0x6
	global_load_b32 v253, v[215:216], off offset:4
	global_load_b32 v246, v[132:133], off
	global_load_b32 v133, v[207:208], off offset:4
	global_load_b32 v252, v[205:206], off
	;; [unrolled: 2-line block ×3, first 2 shown]
	global_load_b32 v125, v[45:46], off
	v_and_b32_e32 v58, 15, v58
	v_lshrrev_b32_e32 v45, 8, v185
	v_cvt_f16_u16_e64 v46, v138
	v_cvt_f16_u16_e64 v53, v175
	v_and_b32_e32 v54, 15, v185
	v_cvt_f16_u16_e32 v55, v58
	v_and_b32_e32 v45, 15, v45
	v_lshrrev_b32_e32 v58, 16, v185
	v_pack_b32_f16 v46, v46, v53
	v_cvt_f16_u16_e32 v54, v54
	v_ashrrev_i32_e32 v132, v174, v56
	v_cvt_f16_u16_e32 v45, v45
	v_and_b32_e32 v53, 15, v58
	v_bfe_u32 v58, v185, 24, 4
	v_cvt_f16_u16_e32 v43, v43
	v_pk_fma_f16 v46, v247, v46, v247 op_sel:[0,0,1] op_sel_hi:[0,1,1]
	v_pack_b32_f16 v45, v54, v45
	v_cvt_f16_u16_e32 v53, v53
	v_cvt_f16_u16_e32 v54, v58
	v_pack_b32_f16 v43, v55, v43
	v_bfe_u32 v216, v132, 24, 4
	v_pk_fma_f16 v58, v57, v45, v57 op_sel:[0,0,1] op_sel_hi:[0,1,1]
	v_pk_fma_f16 v45, v46, v36, v41 op_sel_hi:[1,0,1]
	v_pack_b32_f16 v53, v53, v54
	v_lshrrev_b32_e32 v54, 16, v132
	v_pk_fma_f16 v55, v247, v43, v247 op_sel:[0,0,1] op_sel_hi:[0,1,1]
	v_pk_fma_f16 v43, v58, v36, v39 op_sel:[0,1,0]
	v_pk_fma_f16 v39, v58, v32, v210 op_sel:[0,1,0]
	v_pk_fma_f16 v203, v57, v53, v57 op_sel:[0,0,1] op_sel_hi:[0,1,1]
	v_lshrrev_b32_e32 v53, 8, v132
	v_and_b32_e32 v215, 15, v54
	v_ashrrev_i32_e32 v54, 31, v184
	v_add_co_u32 v58, vcc_lo, s7, v184
	s_delay_alu instid0(VALU_DEP_4) | instskip(SKIP_1) | instid1(VALU_DEP_4)
	v_and_b32_e32 v53, 15, v53
	v_pk_fma_f16 v41, v46, v32, v212 op_sel_hi:[1,0,1]
	v_add_co_ci_u32_e32 v138, vcc_lo, s9, v54, vcc_lo
	v_pk_fma_f16 v46, v55, v36, v42 op_sel_hi:[1,0,1]
	v_pk_fma_f16 v42, v55, v32, v213 op_sel_hi:[1,0,1]
	v_and_b32_e32 v55, 15, v132
	v_cvt_f16_u16_e64 v175, v53
	v_add_co_u32 v53, vcc_lo, v58, v241
	v_add_co_ci_u32_e32 v54, vcc_lo, v138, v242, vcc_lo
	s_delay_alu instid0(VALU_DEP_4) | instskip(NEXT) | instid1(VALU_DEP_3)
	v_cvt_f16_u16_e32 v57, v55
	v_add_co_u32 v55, vcc_lo, v53, v201
	s_delay_alu instid0(VALU_DEP_3)
	v_add_co_ci_u32_e32 v56, vcc_lo, 0, v54, vcc_lo
	ds_store_b128 v137, v[210:213] offset:16
	ds_store_b128 v137, v[43:46]
	v_pack_b32_f16 v217, v57, v175
	v_add_co_u32 v57, vcc_lo, s7, v186
	global_load_b32 v195, v[55:56], off offset:4
	v_ashrrev_i32_e32 v55, 31, v186
	s_waitcnt vmcnt(24)
	v_ashrrev_i32_e32 v126, v174, v126
	v_pk_fma_f16 v44, v203, v36, v44 op_sel:[0,1,0]
	s_delay_alu instid0(VALU_DEP_3) | instskip(SKIP_3) | instid1(VALU_DEP_4)
	v_add_co_ci_u32_e32 v132, vcc_lo, s9, v55, vcc_lo
	v_add_co_u32 v55, vcc_lo, v58, v244
	v_add_co_ci_u32_e32 v56, vcc_lo, v138, v243, vcc_lo
	v_add_co_u32 v205, vcc_lo, v57, v241
	;; [unrolled: 2-line block ×3, first 2 shown]
	v_add_co_ci_u32_e32 v58, vcc_lo, v132, v243, vcc_lo
	s_delay_alu instid0(VALU_DEP_4) | instskip(NEXT) | instid1(VALU_DEP_4)
	v_add_co_u32 v207, vcc_lo, v205, v201
	v_add_co_ci_u32_e32 v208, vcc_lo, 0, v206, vcc_lo
	s_delay_alu instid0(VALU_DEP_4) | instskip(NEXT) | instid1(VALU_DEP_4)
	v_add_co_u32 v210, vcc_lo, v57, v198
	v_add_co_ci_u32_e32 v211, vcc_lo, 0, v58, vcc_lo
	v_add_co_u32 v212, vcc_lo, v55, v198
	v_add_co_ci_u32_e32 v213, vcc_lo, 0, v56, vcc_lo
	s_clause 0x6
	global_load_b32 v251, v[210:211], off offset:4
	global_load_b32 v58, v[57:58], off
	global_load_b32 v132, v[207:208], off offset:4
	global_load_b32 v250, v[205:206], off
	;; [unrolled: 2-line block ×3, first 2 shown]
	global_load_b32 v185, v[53:54], off
	v_lshrrev_b32_e32 v220, 8, v126
	v_and_b32_e32 v218, 15, v126
	v_cvt_f16_u16_e64 v55, v215
	v_cvt_f16_u16_e64 v56, v216
	v_lshrrev_b32_e32 v54, 16, v126
	v_and_b32_e32 v53, 15, v220
	v_cvt_f16_u16_e64 v57, v218
	v_bfe_u32 v126, v126, 24, 4
	v_pack_b32_f16 v55, v55, v56
	v_and_b32_e32 v54, 15, v54
	v_cvt_f16_u16_e32 v53, v53
	v_pk_fma_f16 v205, v51, v217, v51 op_sel:[0,0,1] op_sel_hi:[0,1,1]
	s_delay_alu instid0(VALU_DEP_4) | instskip(NEXT) | instid1(VALU_DEP_4)
	v_pk_fma_f16 v51, v51, v55, v51 op_sel:[0,0,1] op_sel_hi:[0,1,1]
	v_cvt_f16_u16_e32 v56, v54
	s_delay_alu instid0(VALU_DEP_4)
	v_pack_b32_f16 v53, v57, v53
	v_cvt_f16_u16_e32 v57, v126
	v_pk_fma_f16 v45, v205, v36, v45 op_sel:[0,1,0]
	v_pk_fma_f16 v46, v51, v36, v46 op_sel:[0,1,0]
	s_waitcnt vmcnt(26)
	v_ashrrev_i32_e32 v36, v174, v131
	s_waitcnt vmcnt(24)
	v_pk_fma_f16 v53, v139, v53, v139 op_sel:[0,0,1] op_sel_hi:[0,1,1]
	v_pack_b32_f16 v57, v56, v57
	v_pk_fma_f16 v56, v51, v32, v42 op_sel:[0,1,0]
	v_pk_fma_f16 v54, v203, v32, v40 op_sel:[0,1,0]
	;; [unrolled: 1-line block ×3, first 2 shown]
	v_pk_fma_f16 v43, v53, v37, v43 op_sel_hi:[1,0,1]
	ds_store_b128 v137, v[39:42] offset:16
	ds_store_b128 v137, v[43:46]
	v_ashrrev_i32_e32 v42, v174, v134
	v_pk_fma_f16 v32, v139, v57, v139 op_sel:[0,0,1] op_sel_hi:[0,1,1]
	v_pk_fma_f16 v53, v53, v33, v39 op_sel_hi:[1,0,1]
	v_lshrrev_b32_e32 v39, 8, v36
	v_lshrrev_b32_e32 v41, 16, v36
	;; [unrolled: 1-line block ×3, first 2 shown]
	v_pk_fma_f16 v40, v32, v37, v44 op_sel_hi:[1,0,1]
	v_pk_fma_f16 v44, v32, v33, v54 op_sel_hi:[1,0,1]
	v_and_b32_e32 v32, 15, v36
	v_and_b32_e32 v39, 15, v39
	;; [unrolled: 1-line block ×3, first 2 shown]
	v_bfe_u32 v36, v36, 24, 4
	v_and_b32_e32 v57, 15, v42
	v_and_b32_e32 v51, 15, v51
	v_cvt_f16_u16_e32 v32, v32
	v_cvt_f16_u16_e32 v39, v39
	;; [unrolled: 1-line block ×3, first 2 shown]
	v_lshrrev_b32_e32 v126, 16, v42
	v_cvt_f16_u16_e32 v36, v36
	v_cvt_f16_u16_e32 v57, v57
	v_cvt_f16_u16_e32 v51, v51
	v_pack_b32_f16 v32, v32, v39
	v_and_b32_e32 v39, 15, v126
	v_bfe_u32 v42, v42, 24, 4
	v_pack_b32_f16 v36, v41, v36
	v_pack_b32_f16 v41, v57, v51
	v_pk_fma_f16 v32, v255, v32, v255 op_sel:[0,0,1] op_sel_hi:[0,1,1]
	v_cvt_f16_u16_e32 v39, v39
	v_cvt_f16_u16_e32 v42, v42
	v_pk_fma_f16 v36, v255, v36, v255 op_sel:[0,0,1] op_sel_hi:[0,1,1]
	v_pk_fma_f16 v51, v249, v41, v249 op_sel:[0,0,1] op_sel_hi:[0,1,1]
	v_pk_fma_f16 v41, v32, v37, v45 op_sel_hi:[1,0,1]
	v_pk_fma_f16 v45, v32, v33, v55 op_sel_hi:[1,0,1]
	v_pack_b32_f16 v32, v39, v42
	v_pk_fma_f16 v42, v36, v37, v46 op_sel_hi:[1,0,1]
	v_pk_fma_f16 v46, v36, v33, v56 op_sel_hi:[1,0,1]
	v_ashrrev_i32_e32 v36, v174, v248
	v_pk_fma_f16 v39, v51, v37, v43 op_sel:[0,1,0]
	v_pk_fma_f16 v32, v249, v32, v249 op_sel:[0,0,1] op_sel_hi:[0,1,1]
	ds_store_b128 v137, v[53:56] offset:16
	ds_store_b128 v137, v[39:42]
	v_pk_fma_f16 v43, v51, v33, v53 op_sel:[0,1,0]
	v_lshrrev_b32_e32 v51, 8, v36
	v_lshrrev_b32_e32 v53, 16, v36
	v_and_b32_e32 v55, 15, v36
	v_pk_fma_f16 v40, v32, v37, v40 op_sel:[0,1,0]
	v_pk_fma_f16 v54, v32, v33, v44 op_sel:[0,1,0]
	v_and_b32_e32 v32, 15, v51
	v_and_b32_e32 v51, 15, v53
	v_cvt_f16_u16_e32 v53, v55
	v_ashrrev_i32_e32 v55, 31, v187
	v_add_co_u32 v57, vcc_lo, s7, v187
	v_cvt_f16_u16_e32 v32, v32
	v_bfe_u32 v36, v36, 24, 4
	s_delay_alu instid0(VALU_DEP_4) | instskip(NEXT) | instid1(VALU_DEP_4)
	v_add_co_ci_u32_e32 v131, vcc_lo, s9, v55, vcc_lo
	v_add_co_u32 v207, vcc_lo, v57, v241
	s_waitcnt vmcnt(23)
	v_ashrrev_i32_e32 v48, v174, v48
	s_delay_alu instid0(VALU_DEP_3) | instskip(NEXT) | instid1(VALU_DEP_3)
	v_add_co_ci_u32_e32 v208, vcc_lo, v131, v242, vcc_lo
	v_add_co_u32 v55, vcc_lo, v207, v201
	s_delay_alu instid0(VALU_DEP_3) | instskip(NEXT) | instid1(VALU_DEP_3)
	v_lshrrev_b32_e32 v134, 8, v48
	v_add_co_ci_u32_e32 v56, vcc_lo, 0, v208, vcc_lo
	v_pack_b32_f16 v32, v53, v32
	v_and_b32_e32 v53, 15, v48
	v_cvt_f16_u16_e32 v51, v51
	global_load_b32 v126, v[55:56], off offset:4
	v_and_b32_e32 v55, 15, v134
	v_lshrrev_b32_e32 v56, 16, v48
	v_cvt_f16_u16_e32 v36, v36
	v_cvt_f16_u16_e32 v53, v53
	v_bfe_u32 v48, v48, 24, 4
	v_cvt_f16_u16_e32 v55, v55
	v_and_b32_e32 v56, 15, v56
	v_pack_b32_f16 v36, v51, v36
	v_pk_fma_f16 v32, v245, v32, v245 op_sel:[0,0,1] op_sel_hi:[0,1,1]
	v_cvt_f16_u16_e32 v48, v48
	v_pack_b32_f16 v51, v53, v55
	v_cvt_f16_u16_e32 v53, v56
	v_pk_fma_f16 v36, v245, v36, v245 op_sel:[0,0,1] op_sel_hi:[0,1,1]
	v_pk_fma_f16 v41, v32, v37, v41 op_sel:[0,1,0]
	v_pk_fma_f16 v55, v32, v33, v45 op_sel:[0,1,0]
	s_waitcnt vmcnt(19)
	v_ashrrev_i32_e32 v205, v174, v202
	v_pack_b32_f16 v32, v53, v48
	s_waitcnt vmcnt(17)
	v_pk_fma_f16 v51, v128, v51, v128 op_sel:[0,0,1] op_sel_hi:[0,1,1]
	v_pk_fma_f16 v56, v36, v33, v46 op_sel:[0,1,0]
	v_pk_fma_f16 v42, v36, v37, v42 op_sel:[0,1,0]
	v_lshrrev_b32_e32 v33, 8, v205
	v_pk_fma_f16 v32, v128, v32, v128 op_sel:[0,0,1] op_sel_hi:[0,1,1]
	v_pk_fma_f16 v39, v51, v38, v39 op_sel_hi:[1,0,1]
	ds_store_b128 v137, v[43:46] offset:16
	ds_store_b128 v137, v[39:42]
	v_pk_fma_f16 v206, v32, v38, v40 op_sel_hi:[1,0,1]
	v_pk_fma_f16 v48, v32, v34, v54 op_sel_hi:[1,0,1]
	v_ashrrev_i32_e32 v32, 31, v188
	v_pk_fma_f16 v53, v51, v34, v43 op_sel_hi:[1,0,1]
	v_and_b32_e32 v33, 15, v33
	v_add_co_u32 v43, vcc_lo, s7, v188
	v_and_b32_e32 v36, 15, v205
	v_add_co_ci_u32_e32 v44, vcc_lo, s9, v32, vcc_lo
	v_add_co_u32 v32, vcc_lo, v57, v244
	v_cvt_f16_u16_e64 v210, v33
	v_add_co_ci_u32_e32 v33, vcc_lo, v131, v243, vcc_lo
	v_cvt_f16_u16_e64 v128, v36
	v_add_co_u32 v36, vcc_lo, v43, v241
	v_add_co_ci_u32_e32 v37, vcc_lo, v44, v242, vcc_lo
	v_add_co_u32 v43, vcc_lo, v43, v244
	v_add_co_ci_u32_e32 v44, vcc_lo, v44, v243, vcc_lo
	s_delay_alu instid0(VALU_DEP_4) | instskip(NEXT) | instid1(VALU_DEP_4)
	v_add_co_u32 v45, vcc_lo, v36, v201
	v_add_co_ci_u32_e32 v46, vcc_lo, 0, v37, vcc_lo
	v_ashrrev_i32_e32 v211, v174, v50
	v_add_co_u32 v50, vcc_lo, v43, v198
	v_add_co_ci_u32_e32 v51, vcc_lo, 0, v44, vcc_lo
	v_add_co_u32 v202, vcc_lo, v32, v198
	v_add_co_ci_u32_e32 v203, vcc_lo, 0, v33, vcc_lo
	s_clause 0x6
	global_load_b32 v248, v[50:51], off offset:4
	global_load_b32 v245, v[43:44], off
	global_load_b32 v131, v[45:46], off offset:4
	global_load_b32 v247, v[36:37], off
	;; [unrolled: 2-line block ×3, first 2 shown]
	global_load_b32 v134, v[207:208], off
	v_lshrrev_b32_e32 v40, 16, v205
	v_lshrrev_b32_e32 v32, 8, v211
	v_bfe_u32 v36, v205, 24, 4
	v_lshrrev_b32_e32 v43, 16, v211
	v_pack_b32_f16 v37, v128, v210
	v_and_b32_e32 v33, 15, v40
	v_and_b32_e32 v40, 15, v211
	v_and_b32_e32 v32, 15, v32
	v_cvt_f16_u16_e32 v36, v36
	v_and_b32_e32 v43, 15, v43
	v_cvt_f16_u16_e32 v33, v33
	v_cvt_f16_u16_e32 v40, v40
	;; [unrolled: 1-line block ×3, first 2 shown]
	v_bfe_u32 v44, v211, 24, 4
	s_delay_alu instid0(VALU_DEP_4) | instskip(SKIP_1) | instid1(VALU_DEP_4)
	v_pack_b32_f16 v33, v33, v36
	v_pk_fma_f16 v36, v49, v37, v49 op_sel:[0,0,1] op_sel_hi:[0,1,1]
	v_pack_b32_f16 v32, v40, v32
	v_cvt_f16_u16_e32 v37, v43
	v_cvt_f16_u16_e32 v40, v44
	v_pk_fma_f16 v33, v49, v33, v49 op_sel:[0,0,1] op_sel_hi:[0,1,1]
	v_pk_fma_f16 v207, v36, v38, v41 op_sel_hi:[1,0,1]
	v_pk_fma_f16 v49, v36, v34, v55 op_sel_hi:[1,0,1]
	v_pk_fma_f16 v32, v127, v32, v127 op_sel:[0,0,1] op_sel_hi:[0,1,1]
	v_pack_b32_f16 v36, v37, v40
	v_ashrrev_i32_e32 v37, v174, v47
	v_pk_fma_f16 v208, v33, v38, v42 op_sel_hi:[1,0,1]
	v_pk_fma_f16 v50, v33, v34, v56 op_sel_hi:[1,0,1]
	v_pk_fma_f16 v205, v32, v38, v39 op_sel:[0,1,0]
	v_pk_fma_f16 v33, v127, v36, v127 op_sel:[0,0,1] op_sel_hi:[0,1,1]
	v_lshrrev_b32_e32 v36, 8, v37
	v_pk_fma_f16 v47, v32, v34, v53 op_sel:[0,1,0]
	s_waitcnt vmcnt(23)
	v_ashrrev_i32_e32 v35, v174, v35
	v_and_b32_e32 v32, 15, v37
	v_lshrrev_b32_e32 v39, 16, v37
	v_and_b32_e32 v36, 15, v36
	ds_store_b128 v137, v[53:56] offset:16
	ds_store_b128 v137, v[205:208]
	v_pk_fma_f16 v55, v33, v38, v206 op_sel:[0,1,0]
	v_pk_fma_f16 v51, v33, v34, v48 op_sel:[0,1,0]
	v_lshrrev_b32_e32 v33, 8, v35
	v_cvt_f16_u16_e32 v32, v32
	v_cvt_f16_u16_e32 v36, v36
	v_and_b32_e32 v39, 15, v39
	v_bfe_u32 v37, v37, 24, 4
	v_and_b32_e32 v53, 15, v35
	v_and_b32_e32 v33, 15, v33
	ds_load_b128 v[43:46], v194 offset:32
	v_pack_b32_f16 v32, v32, v36
	v_cvt_f16_u16_e32 v36, v39
	v_lshrrev_b32_e32 v54, 16, v35
	ds_load_b128 v[39:42], v194 offset:288
	v_cvt_f16_u16_e32 v37, v37
	v_cvt_f16_u16_e32 v53, v53
	;; [unrolled: 1-line block ×3, first 2 shown]
	v_and_b32_e32 v54, 15, v54
	v_bfe_u32 v35, v35, 24, 4
	v_pack_b32_f16 v36, v36, v37
	v_pk_fma_f16 v32, v52, v32, v52 op_sel:[0,0,1] op_sel_hi:[0,1,1]
	v_pack_b32_f16 v33, v53, v33
	v_cvt_f16_u16_e32 v37, v54
	v_cvt_f16_u16_e32 v35, v35
	v_pk_fma_f16 v53, v52, v36, v52 op_sel:[0,0,1] op_sel_hi:[0,1,1]
	v_pk_fma_f16 v56, v32, v38, v207 op_sel:[0,1,0]
	v_pk_fma_f16 v52, v32, v34, v49 op_sel:[0,1,0]
	s_waitcnt vmcnt(16)
	v_pk_fma_f16 v127, v125, v33, v125 op_sel:[0,0,1] op_sel_hi:[0,1,1]
	v_pack_b32_f16 v32, v37, v35
	v_ashrrev_i32_e32 v128, v174, v31
	v_pk_fma_f16 v57, v53, v38, v208 op_sel:[0,1,0]
	ds_load_b128 v[35:38], v194 offset:48
	s_waitcnt lgkmcnt(2)
	v_pk_fma_f16 v54, v127, v43, v205 op_sel_hi:[1,0,1]
	v_pk_fma_f16 v53, v53, v34, v50 op_sel:[0,1,0]
	v_pk_fma_f16 v125, v125, v32, v125 op_sel:[0,0,1] op_sel_hi:[0,1,1]
	ds_store_b128 v137, v[47:50] offset:16
	ds_store_b128 v137, v[54:57]
	s_waitcnt lgkmcnt(3)
	v_pk_fma_f16 v50, v127, v39, v47 op_sel_hi:[1,0,1]
	v_lshrrev_b32_e32 v47, 8, v128
	v_ashrrev_i32_e32 v49, v174, v133
	v_pk_fma_f16 v55, v125, v43, v55 op_sel_hi:[1,0,1]
	v_lshrrev_b32_e32 v48, 16, v128
	v_pk_fma_f16 v206, v125, v39, v51 op_sel_hi:[1,0,1]
	v_and_b32_e32 v125, 15, v128
	v_and_b32_e32 v47, 15, v47
	v_bfe_u32 v127, v128, 24, 4
	v_lshrrev_b32_e32 v128, 8, v49
	v_and_b32_e32 v48, 15, v48
	v_cvt_f16_u16_e32 v125, v125
	v_cvt_f16_u16_e32 v47, v47
	v_and_b32_e32 v133, 15, v49
	v_and_b32_e32 v128, 15, v128
	v_cvt_f16_u16_e32 v48, v48
	v_cvt_f16_u16_e32 v127, v127
	v_pack_b32_f16 v47, v125, v47
	v_cvt_f16_u16_e64 v125, v133
	v_cvt_f16_u16_e64 v128, v128
	v_lshrrev_b32_e32 v202, 16, v49
	v_pack_b32_f16 v48, v48, v127
	v_pk_fma_f16 v47, v254, v47, v254 op_sel:[0,0,1] op_sel_hi:[0,1,1]
	v_bfe_u32 v49, v49, 24, 4
	v_pack_b32_f16 v125, v125, v128
	v_and_b32_e32 v127, 15, v202
	v_pk_fma_f16 v48, v254, v48, v254 op_sel:[0,0,1] op_sel_hi:[0,1,1]
	v_pk_fma_f16 v56, v47, v43, v56 op_sel_hi:[1,0,1]
	v_pk_fma_f16 v207, v47, v39, v52 op_sel_hi:[1,0,1]
	v_ashrrev_i32_e32 v47, v174, v253
	v_pk_fma_f16 v125, v252, v125, v252 op_sel:[0,0,1] op_sel_hi:[0,1,1]
	v_cvt_f16_u16_e32 v127, v127
	v_cvt_f16_u16_e32 v49, v49
	v_pk_fma_f16 v57, v48, v43, v57 op_sel_hi:[1,0,1]
	v_pk_fma_f16 v208, v48, v39, v53 op_sel_hi:[1,0,1]
	v_lshrrev_b32_e32 v48, 8, v47
	v_pk_fma_f16 v54, v125, v43, v54 op_sel:[0,1,0]
	ds_load_b128 v[31:34], v194 offset:304
	v_pack_b32_f16 v49, v127, v49
	ds_store_b128 v137, v[50:53] offset:16
	ds_store_b128 v137, v[54:57]
	v_and_b32_e32 v51, 15, v47
	v_and_b32_e32 v52, 15, v48
	v_lshrrev_b32_e32 v53, 16, v47
	v_pk_fma_f16 v49, v252, v49, v252 op_sel:[0,0,1] op_sel_hi:[0,1,1]
	v_pk_fma_f16 v205, v125, v39, v50 op_sel:[0,1,0]
	v_cvt_f16_u16_e32 v50, v51
	v_cvt_f16_u16_e32 v51, v52
	v_and_b32_e32 v52, 15, v53
	v_bfe_u32 v47, v47, 24, 4
	s_waitcnt vmcnt(15)
	v_ashrrev_i32_e32 v53, v174, v195
	v_pk_fma_f16 v48, v49, v43, v55 op_sel:[0,1,0]
	v_pk_fma_f16 v253, v49, v39, v206 op_sel:[0,1,0]
	v_pack_b32_f16 v49, v50, v51
	v_cvt_f16_u16_e32 v50, v52
	v_cvt_f16_u16_e32 v47, v47
	v_lshrrev_b32_e32 v51, 8, v53
	v_lshrrev_b32_e32 v52, 16, v53
	v_ashrrev_i32_e32 v125, 31, v192
	v_pk_fma_f16 v55, v246, v49, v246 op_sel:[0,0,1] op_sel_hi:[0,1,1]
	v_and_b32_e32 v49, 15, v53
	v_pack_b32_f16 v47, v50, v47
	v_and_b32_e32 v50, 15, v51
	v_and_b32_e32 v51, 15, v52
	v_bfe_u32 v52, v53, 24, 4
	v_add_co_u32 v53, vcc_lo, s7, v192
	v_add_co_ci_u32_e32 v125, vcc_lo, s9, v125, vcc_lo
	v_cvt_f16_u16_e32 v49, v49
	v_cvt_f16_u16_e32 v50, v50
	s_delay_alu instid0(VALU_DEP_4) | instskip(NEXT) | instid1(VALU_DEP_4)
	v_add_co_u32 v210, vcc_lo, v53, v241
	v_add_co_ci_u32_e32 v211, vcc_lo, v125, v242, vcc_lo
	s_delay_alu instid0(VALU_DEP_3) | instskip(NEXT) | instid1(VALU_DEP_3)
	v_pack_b32_f16 v127, v49, v50
	v_add_co_u32 v49, vcc_lo, v210, v201
	s_delay_alu instid0(VALU_DEP_3)
	v_add_co_ci_u32_e32 v50, vcc_lo, 0, v211, vcc_lo
	v_pk_fma_f16 v128, v246, v47, v246 op_sel:[0,0,1] op_sel_hi:[0,1,1]
	v_cvt_f16_u16_e32 v47, v51
	v_cvt_f16_u16_e32 v51, v52
	global_load_b32 v195, v[49:50], off offset:4
	s_waitcnt vmcnt(9)
	v_pk_fma_f16 v52, v185, v127, v185 op_sel:[0,0,1] op_sel_hi:[0,1,1]
	v_add_co_u32 v53, vcc_lo, v53, v244
	v_pack_b32_f16 v51, v47, v51
	v_pk_fma_f16 v49, v55, v43, v56 op_sel:[0,1,0]
	s_delay_alu instid0(VALU_DEP_4)
	v_pk_fma_f16 v47, v52, v44, v54 op_sel_hi:[1,0,1]
	v_add_co_ci_u32_e32 v54, vcc_lo, v125, v243, vcc_lo
	v_pk_fma_f16 v50, v128, v43, v57 op_sel:[0,1,0]
	v_pk_fma_f16 v43, v185, v51, v185 op_sel:[0,0,1] op_sel_hi:[0,1,1]
	v_add_co_u32 v51, vcc_lo, v53, v198
	v_pk_fma_f16 v252, v52, v40, v205 op_sel_hi:[1,0,1]
	v_add_co_ci_u32_e32 v52, vcc_lo, 0, v54, vcc_lo
	ds_store_b128 v137, v[205:208] offset:16
	ds_store_b128 v137, v[47:50]
	v_pk_fma_f16 v254, v55, v39, v207 op_sel:[0,1,0]
	v_pk_fma_f16 v255, v128, v39, v208 op_sel:[0,1,0]
	global_load_b32 v127, v[51:52], off offset:4
	v_ashrrev_i32_e32 v39, v174, v175
	v_ashrrev_i32_e32 v125, v174, v132
	v_pk_fma_f16 v48, v43, v44, v48 op_sel_hi:[1,0,1]
	v_add_co_u32 v128, vcc_lo, s7, v196
	s_delay_alu instid0(VALU_DEP_4)
	v_lshrrev_b32_e32 v56, 8, v39
	v_lshrrev_b32_e32 v57, 16, v39
	v_and_b32_e32 v55, 15, v39
	v_bfe_u32 v39, v39, 24, 4
	v_add_co_ci_u32_e32 v133, vcc_lo, s9, v230, vcc_lo
	v_and_b32_e32 v56, 15, v56
	v_and_b32_e32 v57, 15, v57
	v_cvt_f16_u16_e32 v51, v55
	v_cvt_f16_u16_e32 v39, v39
	s_delay_alu instid0(VALU_DEP_4) | instskip(SKIP_2) | instid1(VALU_DEP_3)
	v_cvt_f16_u16_e32 v52, v56
	v_lshrrev_b32_e32 v56, 8, v125
	v_cvt_f16_u16_e32 v55, v57
	v_pack_b32_f16 v51, v51, v52
	v_pk_fma_f16 v52, v43, v40, v253 op_sel_hi:[1,0,1]
	v_and_b32_e32 v43, 15, v125
	v_and_b32_e32 v56, 15, v56
	v_pack_b32_f16 v39, v55, v39
	v_lshrrev_b32_e32 v55, 16, v125
	v_bfe_u32 v125, v125, 24, 4
	v_cvt_f16_u16_e32 v43, v43
	v_cvt_f16_u16_e32 v56, v56
	v_pk_fma_f16 v51, v138, v51, v138 op_sel:[0,0,1] op_sel_hi:[0,1,1]
	v_and_b32_e32 v57, 15, v55
	v_add_co_u32 v55, vcc_lo, v128, v244
	s_delay_alu instid0(VALU_DEP_4) | instskip(SKIP_4) | instid1(VALU_DEP_4)
	v_pack_b32_f16 v43, v43, v56
	v_add_co_ci_u32_e32 v56, vcc_lo, v133, v243, vcc_lo
	v_add_co_u32 v132, vcc_lo, v128, v241
	v_add_co_ci_u32_e32 v133, vcc_lo, v133, v242, vcc_lo
	v_add_co_u32 v202, vcc_lo, v55, v198
	v_add_co_ci_u32_e32 v203, vcc_lo, 0, v56, vcc_lo
	s_delay_alu instid0(VALU_DEP_4) | instskip(NEXT) | instid1(VALU_DEP_4)
	v_add_co_u32 v207, vcc_lo, v132, v201
	v_add_co_ci_u32_e32 v208, vcc_lo, 0, v133, vcc_lo
	v_pk_fma_f16 v39, v138, v39, v138 op_sel:[0,0,1] op_sel_hi:[0,1,1]
	v_pk_fma_f16 v138, v250, v43, v250 op_sel:[0,0,1] op_sel_hi:[0,1,1]
	s_clause 0x5
	global_load_b32 v206, v[202:203], off offset:4
	global_load_b32 v43, v[55:56], off
	global_load_b32 v208, v[207:208], off offset:4
	global_load_b32 v203, v[132:133], off
	global_load_b32 v207, v[53:54], off
	;; [unrolled: 1-line block ×3, first 2 shown]
	v_cvt_f16_u16_e32 v57, v57
	v_cvt_f16_u16_e32 v125, v125
	v_ashrrev_i32_e32 v55, v174, v251
	v_pk_fma_f16 v49, v51, v44, v49 op_sel_hi:[1,0,1]
	v_pk_fma_f16 v53, v51, v40, v254 op_sel_hi:[1,0,1]
	;; [unrolled: 1-line block ×3, first 2 shown]
	v_pack_b32_f16 v51, v57, v125
	v_lshrrev_b32_e32 v125, 16, v55
	v_lshrrev_b32_e32 v56, 8, v55
	v_and_b32_e32 v57, 15, v55
	v_pk_fma_f16 v47, v138, v44, v47 op_sel:[0,1,0]
	v_pk_fma_f16 v54, v39, v40, v255 op_sel_hi:[1,0,1]
	v_and_b32_e32 v125, 15, v125
	v_and_b32_e32 v56, 15, v56
	v_pk_fma_f16 v39, v250, v51, v250 op_sel:[0,0,1] op_sel_hi:[0,1,1]
	v_pk_fma_f16 v51, v138, v40, v252 op_sel:[0,1,0]
	v_add_co_u32 v185, vcc_lo, s7, v199
	v_cvt_f16_u16_e64 v138, v125
	v_cvt_f16_u16_e32 v57, v57
	v_add_co_ci_u32_e32 v202, vcc_lo, s9, v231, vcc_lo
	ds_store_b128 v137, v[252:255] offset:16
	ds_store_b128 v137, v[47:50]
	v_pk_fma_f16 v48, v39, v44, v48 op_sel:[0,1,0]
	v_bfe_u32 v55, v55, 24, 4
	s_waitcnt vmcnt(15)
	v_ashrrev_i32_e32 v128, v174, v126
	v_cvt_f16_u16_e32 v126, v56
	v_pk_fma_f16 v56, v39, v40, v52 op_sel:[0,1,0]
	v_cvt_f16_u16_e32 v55, v55
	s_delay_alu instid0(VALU_DEP_4) | instskip(NEXT) | instid1(VALU_DEP_4)
	v_lshrrev_b32_e32 v125, 16, v128
	v_pack_b32_f16 v57, v57, v126
	v_lshrrev_b32_e32 v39, 8, v128
	v_and_b32_e32 v175, 15, v128
	v_pack_b32_f16 v55, v138, v55
	v_and_b32_e32 v222, 15, v125
	v_add_co_u32 v125, vcc_lo, v185, v241
	v_add_co_ci_u32_e32 v126, vcc_lo, v202, v242, vcc_lo
	v_and_b32_e32 v39, 15, v39
	s_delay_alu instid0(VALU_DEP_3) | instskip(NEXT) | instid1(VALU_DEP_3)
	v_add_co_u32 v132, vcc_lo, v125, v201
	v_add_co_ci_u32_e32 v133, vcc_lo, 0, v126, vcc_lo
	v_add_co_u32 v212, vcc_lo, v185, v244
	v_add_co_ci_u32_e32 v213, vcc_lo, v202, v243, vcc_lo
	global_load_b32 v210, v[132:133], off offset:4
	v_add_co_u32 v132, vcc_lo, v212, v198
	v_add_co_ci_u32_e32 v133, vcc_lo, 0, v213, vcc_lo
	v_add_co_u32 v185, vcc_lo, s7, v204
	v_add_co_ci_u32_e32 v202, vcc_lo, s9, v232, vcc_lo
	global_load_b32 v205, v[132:133], off offset:4
	v_add_co_u32 v132, vcc_lo, v185, v244
	v_add_co_ci_u32_e32 v133, vcc_lo, v202, v243, vcc_lo
	v_add_co_u32 v215, vcc_lo, v185, v241
	v_add_co_ci_u32_e32 v216, vcc_lo, v202, v242, vcc_lo
	s_delay_alu instid0(VALU_DEP_4) | instskip(NEXT) | instid1(VALU_DEP_4)
	v_add_co_u32 v217, vcc_lo, v132, v198
	v_add_co_ci_u32_e32 v218, vcc_lo, 0, v133, vcc_lo
	s_delay_alu instid0(VALU_DEP_4) | instskip(NEXT) | instid1(VALU_DEP_4)
	v_add_co_u32 v220, vcc_lo, v215, v201
	v_add_co_ci_u32_e32 v221, vcc_lo, 0, v216, vcc_lo
	v_cvt_f16_u16_e64 v175, v175
	v_cvt_f16_u16_e64 v185, v39
	s_clause 0x5
	global_load_b32 v251, v[217:218], off offset:4
	global_load_b32 v246, v[132:133], off
	global_load_b32 v252, v[220:221], off offset:4
	global_load_b32 v250, v[215:216], off
	global_load_b32 v133, v[212:213], off
	;; [unrolled: 1-line block ×3, first 2 shown]
	v_bfe_u32 v128, v128, 24, 4
	v_pk_fma_f16 v57, v58, v57, v58 op_sel:[0,0,1] op_sel_hi:[0,1,1]
	v_pk_fma_f16 v55, v58, v55, v58 op_sel:[0,0,1] op_sel_hi:[0,1,1]
	v_pack_b32_f16 v125, v175, v185
	v_cvt_f16_u16_e64 v126, v222
	v_cvt_f16_u16_e64 v128, v128
	v_pk_fma_f16 v49, v57, v44, v49 op_sel:[0,1,0]
	v_pk_fma_f16 v50, v55, v44, v50 op_sel:[0,1,0]
	;; [unrolled: 1-line block ×4, first 2 shown]
	s_waitcnt vmcnt(18)
	v_ashrrev_i32_e32 v44, v174, v139
	v_pack_b32_f16 v126, v126, v128
	s_waitcnt vmcnt(16)
	v_pk_fma_f16 v125, v134, v125, v134 op_sel:[0,0,1] op_sel_hi:[0,1,1]
	v_add_co_u32 v128, vcc_lo, s7, v209
	v_add_co_ci_u32_e32 v132, vcc_lo, s9, v233, vcc_lo
	s_delay_alu instid0(VALU_DEP_3)
	v_pk_fma_f16 v47, v125, v45, v47 op_sel_hi:[1,0,1]
	ds_store_b128 v137, v[51:54] offset:16
	ds_store_b128 v137, v[47:50]
	v_lshrrev_b32_e32 v53, 8, v44
	v_pk_fma_f16 v40, v134, v126, v134 op_sel:[0,0,1] op_sel_hi:[0,1,1]
	v_pk_fma_f16 v55, v125, v41, v51 op_sel_hi:[1,0,1]
	v_lshrrev_b32_e32 v51, 16, v44
	v_and_b32_e32 v54, 15, v44
	v_and_b32_e32 v53, 15, v53
	v_pk_fma_f16 v52, v40, v45, v48 op_sel_hi:[1,0,1]
	v_pk_fma_f16 v48, v40, v41, v56 op_sel_hi:[1,0,1]
	v_and_b32_e32 v40, 15, v51
	v_cvt_f16_u16_e32 v51, v54
	v_cvt_f16_u16_e32 v53, v53
	v_ashrrev_i32_e32 v202, v174, v131
	v_bfe_u32 v44, v44, 24, 4
	v_cvt_f16_u16_e32 v40, v40
	s_delay_alu instid0(VALU_DEP_4) | instskip(SKIP_3) | instid1(VALU_DEP_3)
	v_pack_b32_f16 v51, v51, v53
	v_add_co_u32 v53, vcc_lo, v128, v241
	v_add_co_ci_u32_e32 v54, vcc_lo, v132, v242, vcc_lo
	v_cvt_f16_u16_e32 v44, v44
	v_add_co_u32 v125, vcc_lo, v53, v201
	s_delay_alu instid0(VALU_DEP_3)
	v_add_co_ci_u32_e32 v126, vcc_lo, 0, v54, vcc_lo
	v_add_co_u32 v138, vcc_lo, v128, v244
	v_add_co_ci_u32_e32 v139, vcc_lo, v132, v243, vcc_lo
	global_load_b32 v185, v[125:126], off offset:4
	v_add_co_u32 v125, vcc_lo, v138, v198
	v_add_co_ci_u32_e32 v126, vcc_lo, 0, v139, vcc_lo
	v_add_co_u32 v128, vcc_lo, s7, v214
	v_add_co_ci_u32_e32 v131, vcc_lo, s9, v235, vcc_lo
	global_load_b32 v134, v[125:126], off offset:4
	v_add_co_u32 v125, vcc_lo, v128, v244
	v_add_co_ci_u32_e32 v126, vcc_lo, v131, v243, vcc_lo
	v_add_co_u32 v212, vcc_lo, v128, v241
	v_add_co_ci_u32_e32 v213, vcc_lo, v131, v242, vcc_lo
	s_delay_alu instid0(VALU_DEP_4) | instskip(NEXT) | instid1(VALU_DEP_4)
	v_add_co_u32 v131, vcc_lo, v125, v198
	v_add_co_ci_u32_e32 v132, vcc_lo, 0, v126, vcc_lo
	s_delay_alu instid0(VALU_DEP_4) | instskip(NEXT) | instid1(VALU_DEP_4)
	v_add_co_u32 v215, vcc_lo, v212, v201
	v_add_co_ci_u32_e32 v216, vcc_lo, 0, v213, vcc_lo
	s_clause 0x5
	global_load_b32 v175, v[131:132], off offset:4
	global_load_b32 v131, v[125:126], off
	global_load_b32 v253, v[215:216], off offset:4
	global_load_b32 v132, v[212:213], off
	global_load_b32 v126, v[138:139], off
	;; [unrolled: 1-line block ×3, first 2 shown]
	v_lshrrev_b32_e32 v128, 8, v202
	v_lshrrev_b32_e32 v53, 16, v202
	v_and_b32_e32 v54, 15, v202
	v_pack_b32_f16 v40, v40, v44
	v_pk_fma_f16 v51, v249, v51, v249 op_sel:[0,0,1] op_sel_hi:[0,1,1]
	v_and_b32_e32 v125, 15, v128
	v_and_b32_e32 v44, 15, v53
	v_bfe_u32 v128, v202, 24, 4
	v_cvt_f16_u16_e32 v54, v54
	v_pk_fma_f16 v40, v249, v40, v249 op_sel:[0,0,1] op_sel_hi:[0,1,1]
	v_cvt_f16_u16_e32 v125, v125
	v_cvt_f16_u16_e32 v44, v44
	v_cvt_f16_u16_e64 v128, v128
	v_ashrrev_i32_e32 v138, v174, v248
	v_pk_fma_f16 v53, v51, v45, v49 op_sel_hi:[1,0,1]
	v_pack_b32_f16 v125, v54, v125
	v_pk_fma_f16 v49, v51, v41, v57 op_sel_hi:[1,0,1]
	v_pack_b32_f16 v44, v44, v128
	v_add_co_u32 v128, vcc_lo, s7, v219
	v_add_co_ci_u32_e32 v202, vcc_lo, s9, v236, vcc_lo
	v_pk_fma_f16 v225, v247, v125, v247 op_sel:[0,0,1] op_sel_hi:[0,1,1]
	s_delay_alu instid0(VALU_DEP_3) | instskip(NEXT) | instid1(VALU_DEP_3)
	v_add_co_u32 v212, vcc_lo, v128, v241
	v_add_co_ci_u32_e32 v213, vcc_lo, v202, v242, vcc_lo
	v_pk_fma_f16 v54, v40, v45, v50 op_sel_hi:[1,0,1]
	v_pk_fma_f16 v50, v40, v41, v58 op_sel_hi:[1,0,1]
	v_lshrrev_b32_e32 v40, 8, v138
	v_lshrrev_b32_e32 v125, 16, v138
	v_pk_fma_f16 v51, v225, v45, v47 op_sel:[0,1,0]
	v_and_b32_e32 v47, 15, v138
	v_bfe_u32 v226, v138, 24, 4
	v_add_co_u32 v138, vcc_lo, v212, v201
	v_add_co_ci_u32_e32 v139, vcc_lo, 0, v213, vcc_lo
	v_add_co_u32 v215, vcc_lo, v128, v244
	v_add_co_ci_u32_e32 v216, vcc_lo, v202, v243, vcc_lo
	global_load_b32 v249, v[138:139], off offset:4
	v_add_co_u32 v138, vcc_lo, v215, v198
	v_add_co_ci_u32_e32 v139, vcc_lo, 0, v216, vcc_lo
	v_cvt_f16_u16_e64 v227, v47
	v_add_co_u32 v47, vcc_lo, s7, v224
	v_add_co_ci_u32_e32 v128, vcc_lo, s9, v237, vcc_lo
	v_pk_fma_f16 v44, v247, v44, v247 op_sel:[0,0,1] op_sel_hi:[0,1,1]
	global_load_b32 v247, v[138:139], off offset:4
	v_add_co_u32 v138, vcc_lo, v47, v244
	v_add_co_ci_u32_e32 v139, vcc_lo, v128, v243, vcc_lo
	v_add_co_u32 v217, vcc_lo, v47, v241
	v_add_co_ci_u32_e32 v218, vcc_lo, v128, v242, vcc_lo
	s_delay_alu instid0(VALU_DEP_4) | instskip(NEXT) | instid1(VALU_DEP_4)
	v_add_co_u32 v220, vcc_lo, v138, v198
	v_add_co_ci_u32_e32 v221, vcc_lo, 0, v139, vcc_lo
	v_and_b32_e32 v125, 15, v125
	v_add_co_u32 v222, vcc_lo, v217, v201
	v_add_co_ci_u32_e32 v223, vcc_lo, 0, v218, vcc_lo
	s_delay_alu instid0(VALU_DEP_3)
	v_cvt_f16_u16_e64 v228, v125
	s_clause 0x5
	global_load_b32 v248, v[220:221], off offset:4
	global_load_b32 v138, v[138:139], off
	global_load_b32 v128, v[222:223], off offset:4
	global_load_b32 v125, v[217:218], off
	global_load_b32 v255, v[215:216], off
	global_load_b32 v202, v[212:213], off
	v_and_b32_e32 v40, 15, v40
	v_cvt_f16_u16_e64 v139, v226
	ds_store_b128 v137, v[55:58] offset:16
	ds_store_b128 v137, v[51:54]
	v_pk_fma_f16 v47, v225, v41, v55 op_sel:[0,1,0]
	v_pk_fma_f16 v52, v44, v45, v52 op_sel:[0,1,0]
	v_cvt_f16_u16_e32 v40, v40
	v_pack_b32_f16 v55, v228, v139
	v_pk_fma_f16 v216, v44, v41, v48 op_sel:[0,1,0]
	s_delay_alu instid0(VALU_DEP_3) | instskip(NEXT) | instid1(VALU_DEP_3)
	v_pack_b32_f16 v40, v227, v40
	v_pk_fma_f16 v44, v245, v55, v245 op_sel:[0,0,1] op_sel_hi:[0,1,1]
	s_delay_alu instid0(VALU_DEP_2) | instskip(NEXT) | instid1(VALU_DEP_2)
	v_pk_fma_f16 v40, v245, v40, v245 op_sel:[0,0,1] op_sel_hi:[0,1,1]
	v_pk_fma_f16 v218, v44, v41, v50 op_sel:[0,1,0]
	v_pk_fma_f16 v54, v44, v45, v54 op_sel:[0,1,0]
	s_waitcnt vmcnt(31)
	v_ashrrev_i32_e32 v56, v174, v195
	v_pk_fma_f16 v53, v40, v45, v53 op_sel:[0,1,0]
	v_pk_fma_f16 v217, v40, v41, v49 op_sel:[0,1,0]
	s_delay_alu instid0(VALU_DEP_3) | instskip(SKIP_3) | instid1(VALU_DEP_4)
	v_lshrrev_b32_e32 v57, 8, v56
	v_and_b32_e32 v55, 15, v56
	v_lshrrev_b32_e32 v58, 16, v56
	v_bfe_u32 v56, v56, 24, 4
	v_and_b32_e32 v57, 15, v57
	s_delay_alu instid0(VALU_DEP_4) | instskip(NEXT) | instid1(VALU_DEP_3)
	v_cvt_f16_u16_e32 v40, v55
	v_cvt_f16_u16_e64 v226, v56
	s_delay_alu instid0(VALU_DEP_3) | instskip(SKIP_3) | instid1(VALU_DEP_3)
	v_cvt_f16_u16_e32 v55, v57
	v_and_b32_e32 v57, 15, v58
	s_waitcnt vmcnt(30)
	v_ashrrev_i32_e32 v227, v174, v127
	v_pack_b32_f16 v215, v40, v55
	v_add_co_u32 v55, vcc_lo, s7, v229
	v_add_co_ci_u32_e32 v56, vcc_lo, s9, v238, vcc_lo
	v_cvt_f16_u16_e64 v225, v57
	s_delay_alu instid0(VALU_DEP_3) | instskip(NEXT) | instid1(VALU_DEP_3)
	v_add_co_u32 v40, vcc_lo, v55, v241
	v_add_co_ci_u32_e32 v41, vcc_lo, v56, v242, vcc_lo
	v_lshrrev_b32_e32 v57, 8, v227
	s_delay_alu instid0(VALU_DEP_3) | instskip(NEXT) | instid1(VALU_DEP_3)
	v_add_co_u32 v44, vcc_lo, v40, v201
	v_add_co_ci_u32_e32 v45, vcc_lo, 0, v41, vcc_lo
	v_add_co_u32 v212, vcc_lo, v55, v244
	v_add_co_ci_u32_e32 v213, vcc_lo, v56, v243, vcc_lo
	global_load_b32 v127, v[44:45], off offset:4
	v_add_co_u32 v44, vcc_lo, v212, v198
	v_add_co_ci_u32_e32 v45, vcc_lo, 0, v213, vcc_lo
	v_add_co_u32 v55, vcc_lo, s7, v234
	v_add_co_ci_u32_e32 v56, vcc_lo, s9, v239, vcc_lo
	global_load_b32 v245, v[44:45], off offset:4
	v_add_co_u32 v44, vcc_lo, v55, v244
	v_add_co_ci_u32_e32 v45, vcc_lo, v56, v243, vcc_lo
	v_add_co_u32 v220, vcc_lo, v55, v241
	v_add_co_ci_u32_e32 v221, vcc_lo, v56, v242, vcc_lo
	s_delay_alu instid0(VALU_DEP_4) | instskip(NEXT) | instid1(VALU_DEP_4)
	v_add_co_u32 v55, vcc_lo, v44, v198
	v_add_co_ci_u32_e32 v56, vcc_lo, 0, v45, vcc_lo
	s_delay_alu instid0(VALU_DEP_4) | instskip(NEXT) | instid1(VALU_DEP_4)
	v_add_co_u32 v222, vcc_lo, v220, v201
	v_add_co_ci_u32_e32 v223, vcc_lo, 0, v221, vcc_lo
	v_and_b32_e32 v241, 15, v57
	s_clause 0x5
	global_load_b32 v57, v[55:56], off offset:4
	global_load_b32 v55, v[44:45], off
	global_load_b32 v139, v[222:223], off offset:4
	global_load_b32 v56, v[220:221], off
	global_load_b32 v58, v[212:213], off
	;; [unrolled: 1-line block ×3, first 2 shown]
	v_and_b32_e32 v228, 15, v227
	v_lshrrev_b32_e32 v40, 16, v227
	v_pack_b32_f16 v44, v225, v226
	v_cvt_f16_u16_e64 v212, v241
	s_waitcnt vmcnt(32)
	v_pk_fma_f16 v41, v211, v215, v211 op_sel:[0,0,1] op_sel_hi:[0,1,1]
	v_cvt_f16_u16_e64 v45, v228
	v_and_b32_e32 v40, 15, v40
	v_bfe_u32 v213, v227, 24, 4
	v_pk_fma_f16 v44, v211, v44, v211 op_sel:[0,0,1] op_sel_hi:[0,1,1]
	v_pk_fma_f16 v51, v41, v46, v51 op_sel_hi:[1,0,1]
	v_pack_b32_f16 v45, v45, v212
	v_cvt_f16_u16_e32 v40, v40
	v_cvt_f16_u16_e64 v211, v213
	v_pk_fma_f16 v215, v41, v42, v47 op_sel_hi:[1,0,1]
	v_ashrrev_i32_e32 v41, v174, v208
	ds_store_b128 v137, v[47:50] offset:16
	ds_store_b128 v137, v[51:54]
	v_pk_fma_f16 v45, v207, v45, v207 op_sel:[0,0,1] op_sel_hi:[0,1,1]
	v_pack_b32_f16 v40, v40, v211
	v_pk_fma_f16 v52, v44, v46, v52 op_sel_hi:[1,0,1]
	v_pk_fma_f16 v48, v44, v42, v216 op_sel_hi:[1,0,1]
	v_lshrrev_b32_e32 v44, 8, v41
	v_pk_fma_f16 v53, v45, v46, v53 op_sel_hi:[1,0,1]
	v_pk_fma_f16 v40, v207, v40, v207 op_sel:[0,0,1] op_sel_hi:[0,1,1]
	v_and_b32_e32 v47, 15, v41
	v_pk_fma_f16 v49, v45, v42, v217 op_sel_hi:[1,0,1]
	v_and_b32_e32 v44, 15, v44
	v_lshrrev_b32_e32 v45, 16, v41
	v_ashrrev_i32_e32 v206, v174, v206
	v_pk_fma_f16 v54, v40, v46, v54 op_sel_hi:[1,0,1]
	v_cvt_f16_u16_e32 v47, v47
	v_cvt_f16_u16_e32 v44, v44
	v_and_b32_e32 v45, 15, v45
	v_bfe_u32 v41, v41, 24, 4
	v_pk_fma_f16 v50, v40, v42, v218 op_sel_hi:[1,0,1]
	v_lshrrev_b32_e32 v40, 8, v206
	v_pack_b32_f16 v44, v47, v44
	v_cvt_f16_u16_e32 v45, v45
	v_cvt_f16_u16_e32 v41, v41
	v_and_b32_e32 v47, 15, v206
	v_and_b32_e32 v40, 15, v40
	v_lshrrev_b32_e32 v207, 16, v206
	v_bfe_u32 v206, v206, 24, 4
	v_pack_b32_f16 v41, v45, v41
	v_cvt_f16_u16_e32 v45, v47
	v_cvt_f16_u16_e32 v40, v40
	v_and_b32_e32 v47, 15, v207
	v_pk_fma_f16 v44, v203, v44, v203 op_sel:[0,0,1] op_sel_hi:[0,1,1]
	v_pk_fma_f16 v41, v203, v41, v203 op_sel:[0,0,1] op_sel_hi:[0,1,1]
	v_cvt_f16_u16_e64 v203, v206
	v_pack_b32_f16 v40, v45, v40
	v_cvt_f16_u16_e32 v45, v47
	v_pk_fma_f16 v51, v44, v46, v51 op_sel:[0,1,0]
	ds_store_b128 v137, v[215:218] offset:16
	ds_store_b128 v137, v[51:54]
	s_waitcnt vmcnt(31)
	v_ashrrev_i32_e32 v206, v174, v210
	v_pack_b32_f16 v45, v45, v203
	v_pk_fma_f16 v47, v44, v42, v215 op_sel:[0,1,0]
	v_pk_fma_f16 v203, v43, v40, v43 op_sel:[0,0,1] op_sel_hi:[0,1,1]
	v_pk_fma_f16 v44, v41, v46, v52 op_sel:[0,1,0]
	v_lshrrev_b32_e32 v52, 8, v206
	v_pk_fma_f16 v43, v43, v45, v43 op_sel:[0,0,1] op_sel_hi:[0,1,1]
	v_pk_fma_f16 v40, v41, v42, v48 op_sel:[0,1,0]
	v_pk_fma_f16 v45, v203, v46, v53 op_sel:[0,1,0]
	v_and_b32_e32 v53, 15, v206
	v_and_b32_e32 v52, 15, v52
	v_pk_fma_f16 v41, v203, v42, v49 op_sel:[0,1,0]
	v_lshrrev_b32_e32 v203, 16, v206
	v_pk_fma_f16 v46, v43, v46, v54 op_sel:[0,1,0]
	s_waitcnt vmcnt(30)
	v_ashrrev_i32_e32 v54, v174, v205
	v_cvt_f16_u16_e32 v53, v53
	v_cvt_f16_u16_e32 v52, v52
	v_and_b32_e32 v203, 15, v203
	v_bfe_u32 v205, v206, 24, 4
	v_pk_fma_f16 v42, v43, v42, v50 op_sel:[0,1,0]
	v_lshrrev_b32_e32 v43, 8, v54
	v_pack_b32_f16 v52, v53, v52
	v_cvt_f16_u16_e64 v53, v203
	v_cvt_f16_u16_e64 v203, v205
	v_and_b32_e32 v205, 15, v54
	v_and_b32_e32 v43, 15, v43
	v_lshrrev_b32_e32 v206, 16, v54
	s_waitcnt vmcnt(24)
	v_pk_fma_f16 v52, v39, v52, v39 op_sel:[0,0,1] op_sel_hi:[0,1,1]
	v_pack_b32_f16 v53, v53, v203
	v_cvt_f16_u16_e64 v203, v205
	v_cvt_f16_u16_e64 v205, v43
	v_and_b32_e32 v206, 15, v206
	v_bfe_u32 v54, v54, 24, 4
	s_waitcnt lgkmcnt(17)
	v_pk_fma_f16 v43, v52, v35, v51 op_sel_hi:[1,0,1]
	v_pk_fma_f16 v53, v39, v53, v39 op_sel:[0,0,1] op_sel_hi:[0,1,1]
	v_pack_b32_f16 v51, v203, v205
	v_cvt_f16_u16_e64 v203, v206
	v_cvt_f16_u16_e32 v54, v54
	ds_store_b128 v137, v[47:50] offset:16
	ds_store_b128 v137, v[43:46]
	s_waitcnt lgkmcnt(16)
	v_pk_fma_f16 v39, v52, v31, v47 op_sel_hi:[1,0,1]
	v_ashrrev_i32_e32 v47, v174, v252
	v_pk_fma_f16 v50, v133, v51, v133 op_sel:[0,0,1] op_sel_hi:[0,1,1]
	v_pack_b32_f16 v49, v203, v54
	v_pk_fma_f16 v44, v53, v35, v44 op_sel_hi:[1,0,1]
	v_pk_fma_f16 v48, v53, v31, v40 op_sel_hi:[1,0,1]
	v_lshrrev_b32_e32 v51, 8, v47
	v_pk_fma_f16 v45, v50, v35, v45 op_sel_hi:[1,0,1]
	v_pk_fma_f16 v52, v133, v49, v133 op_sel:[0,0,1] op_sel_hi:[0,1,1]
	v_and_b32_e32 v53, 15, v47
	v_pk_fma_f16 v49, v50, v31, v41 op_sel_hi:[1,0,1]
	v_and_b32_e32 v50, 15, v51
	v_lshrrev_b32_e32 v51, 16, v47
	v_ashrrev_i32_e32 v54, v174, v251
	v_pk_fma_f16 v46, v52, v35, v46 op_sel_hi:[1,0,1]
	v_cvt_f16_u16_e32 v53, v53
	v_cvt_f16_u16_e64 v133, v50
	v_and_b32_e32 v51, 15, v51
	v_bfe_u32 v47, v47, 24, 4
	v_pk_fma_f16 v50, v52, v31, v42 op_sel_hi:[1,0,1]
	v_lshrrev_b32_e32 v52, 8, v54
	v_pack_b32_f16 v53, v53, v133
	v_cvt_f16_u16_e32 v51, v51
	v_cvt_f16_u16_e32 v47, v47
	v_and_b32_e32 v133, 15, v54
	v_and_b32_e32 v52, 15, v52
	v_lshrrev_b32_e32 v203, 16, v54
	v_bfe_u32 v54, v54, 24, 4
	v_pack_b32_f16 v47, v51, v47
	v_cvt_f16_u16_e64 v51, v133
	v_cvt_f16_u16_e32 v52, v52
	v_and_b32_e32 v133, 15, v203
	v_pk_fma_f16 v53, v250, v53, v250 op_sel:[0,0,1] op_sel_hi:[0,1,1]
	v_cvt_f16_u16_e32 v54, v54
	v_pk_fma_f16 v203, v250, v47, v250 op_sel:[0,0,1] op_sel_hi:[0,1,1]
	v_pack_b32_f16 v51, v51, v52
	v_cvt_f16_u16_e64 v52, v133
	v_pk_fma_f16 v43, v53, v35, v43 op_sel:[0,1,0]
	ds_store_b128 v137, v[39:42] offset:16
	ds_store_b128 v137, v[43:46]
	v_pk_fma_f16 v47, v53, v31, v39 op_sel:[0,1,0]
	s_waitcnt vmcnt(23)
	v_ashrrev_i32_e32 v39, v174, v185
	v_pack_b32_f16 v41, v52, v54
	v_pk_fma_f16 v42, v246, v51, v246 op_sel:[0,0,1] op_sel_hi:[0,1,1]
	v_pk_fma_f16 v40, v203, v35, v44 op_sel:[0,1,0]
	v_pk_fma_f16 v44, v203, v31, v48 op_sel:[0,1,0]
	v_lshrrev_b32_e32 v51, 8, v39
	v_pk_fma_f16 v52, v246, v41, v246 op_sel:[0,0,1] op_sel_hi:[0,1,1]
	v_and_b32_e32 v53, 15, v39
	v_pk_fma_f16 v41, v42, v35, v45 op_sel:[0,1,0]
	v_pk_fma_f16 v45, v42, v31, v49 op_sel:[0,1,0]
	v_and_b32_e32 v51, 15, v51
	v_lshrrev_b32_e32 v54, 16, v39
	v_pk_fma_f16 v42, v52, v35, v46 op_sel:[0,1,0]
	v_cvt_f16_u16_e32 v35, v53
	s_waitcnt vmcnt(22)
	v_ashrrev_i32_e32 v53, v174, v134
	v_cvt_f16_u16_e32 v51, v51
	v_and_b32_e32 v54, 15, v54
	v_bfe_u32 v39, v39, 24, 4
	v_pk_fma_f16 v46, v52, v31, v50 op_sel:[0,1,0]
	v_lshrrev_b32_e32 v31, 8, v53
	v_pack_b32_f16 v35, v35, v51
	v_cvt_f16_u16_e32 v51, v54
	v_cvt_f16_u16_e32 v39, v39
	v_and_b32_e32 v52, 15, v53
	v_and_b32_e32 v31, 15, v31
	v_lshrrev_b32_e32 v54, 16, v53
	s_waitcnt vmcnt(16)
	v_pk_fma_f16 v35, v254, v35, v254 op_sel:[0,0,1] op_sel_hi:[0,1,1]
	v_pack_b32_f16 v39, v51, v39
	v_cvt_f16_u16_e32 v51, v52
	v_cvt_f16_u16_e32 v31, v31
	v_and_b32_e32 v52, 15, v54
	v_bfe_u32 v53, v53, 24, 4
	v_pk_fma_f16 v54, v254, v39, v254 op_sel:[0,0,1] op_sel_hi:[0,1,1]
	v_pk_fma_f16 v39, v35, v36, v43 op_sel_hi:[1,0,1]
	v_pack_b32_f16 v31, v51, v31
	v_cvt_f16_u16_e32 v51, v52
	v_cvt_f16_u16_e32 v52, v53
	v_pk_fma_f16 v43, v35, v32, v47 op_sel_hi:[1,0,1]
	v_ashrrev_i32_e32 v35, v174, v253
	ds_store_b128 v137, v[47:50] offset:16
	ds_store_b128 v137, v[39:42]
	v_pk_fma_f16 v31, v126, v31, v126 op_sel:[0,0,1] op_sel_hi:[0,1,1]
	v_pack_b32_f16 v48, v51, v52
	v_ashrrev_i32_e32 v52, v174, v175
	v_lshrrev_b32_e32 v49, 8, v35
	v_and_b32_e32 v51, 15, v35
	v_pk_fma_f16 v41, v31, v36, v41 op_sel_hi:[1,0,1]
	v_pk_fma_f16 v50, v126, v48, v126 op_sel:[0,0,1] op_sel_hi:[0,1,1]
	v_pk_fma_f16 v48, v31, v32, v45 op_sel_hi:[1,0,1]
	v_and_b32_e32 v31, 15, v49
	v_lshrrev_b32_e32 v49, 16, v35
	v_cvt_f16_u16_e32 v51, v51
	v_pk_fma_f16 v42, v50, v36, v42 op_sel_hi:[1,0,1]
	v_bfe_u32 v35, v35, 24, 4
	v_cvt_f16_u16_e32 v31, v31
	v_and_b32_e32 v53, 15, v49
	v_pk_fma_f16 v49, v50, v32, v46 op_sel_hi:[1,0,1]
	v_lshrrev_b32_e32 v50, 8, v52
	v_pk_fma_f16 v40, v54, v36, v40 op_sel_hi:[1,0,1]
	v_pack_b32_f16 v31, v51, v31
	v_pk_fma_f16 v47, v54, v32, v44 op_sel_hi:[1,0,1]
	v_cvt_f16_u16_e32 v51, v53
	v_cvt_f16_u16_e32 v35, v35
	v_and_b32_e32 v53, 15, v52
	v_and_b32_e32 v50, 15, v50
	v_lshrrev_b32_e32 v54, 16, v52
	v_pk_fma_f16 v31, v132, v31, v132 op_sel:[0,0,1] op_sel_hi:[0,1,1]
	v_pack_b32_f16 v35, v51, v35
	v_cvt_f16_u16_e32 v51, v53
	v_cvt_f16_u16_e32 v50, v50
	v_and_b32_e32 v53, 15, v54
	v_bfe_u32 v52, v52, 24, 4
	v_pk_fma_f16 v39, v31, v36, v39 op_sel:[0,1,0]
	v_pk_fma_f16 v35, v132, v35, v132 op_sel:[0,0,1] op_sel_hi:[0,1,1]
	v_pack_b32_f16 v50, v51, v50
	v_cvt_f16_u16_e32 v51, v53
	v_cvt_f16_u16_e32 v52, v52
	ds_store_b128 v137, v[43:46] offset:16
	ds_store_b128 v137, v[39:42]
	v_pk_fma_f16 v46, v31, v32, v43 op_sel:[0,1,0]
	s_waitcnt vmcnt(15)
	v_ashrrev_i32_e32 v31, v174, v249
	v_pk_fma_f16 v44, v131, v50, v131 op_sel:[0,0,1] op_sel_hi:[0,1,1]
	v_pack_b32_f16 v43, v51, v52
	v_pk_fma_f16 v40, v35, v36, v40 op_sel:[0,1,0]
	v_pk_fma_f16 v50, v35, v32, v47 op_sel:[0,1,0]
	v_lshrrev_b32_e32 v35, 8, v31
	v_and_b32_e32 v45, 15, v31
	v_pk_fma_f16 v43, v131, v43, v131 op_sel:[0,0,1] op_sel_hi:[0,1,1]
	v_pk_fma_f16 v41, v44, v36, v41 op_sel:[0,1,0]
	v_pk_fma_f16 v51, v44, v32, v48 op_sel:[0,1,0]
	v_and_b32_e32 v35, 15, v35
	v_lshrrev_b32_e32 v44, 16, v31
	v_pk_fma_f16 v42, v43, v36, v42 op_sel:[0,1,0]
	v_cvt_f16_u16_e32 v36, v45
	s_waitcnt vmcnt(14)
	v_ashrrev_i32_e32 v45, v174, v247
	v_cvt_f16_u16_e32 v35, v35
	v_and_b32_e32 v44, 15, v44
	v_bfe_u32 v31, v31, 24, 4
	v_pk_fma_f16 v52, v43, v32, v49 op_sel:[0,1,0]
	v_lshrrev_b32_e32 v32, 8, v45
	v_pack_b32_f16 v35, v36, v35
	v_cvt_f16_u16_e32 v36, v44
	v_cvt_f16_u16_e32 v31, v31
	v_and_b32_e32 v43, 15, v45
	v_and_b32_e32 v32, 15, v32
	v_lshrrev_b32_e32 v44, 16, v45
	s_waitcnt vmcnt(8)
	v_pk_fma_f16 v35, v202, v35, v202 op_sel:[0,0,1] op_sel_hi:[0,1,1]
	v_pack_b32_f16 v31, v36, v31
	v_cvt_f16_u16_e32 v36, v43
	v_cvt_f16_u16_e32 v32, v32
	v_and_b32_e32 v43, 15, v44
	v_bfe_u32 v44, v45, 24, 4
	v_pk_fma_f16 v39, v35, v37, v39 op_sel_hi:[1,0,1]
	v_pk_fma_f16 v31, v202, v31, v202 op_sel:[0,0,1] op_sel_hi:[0,1,1]
	v_pack_b32_f16 v32, v36, v32
	v_cvt_f16_u16_e32 v36, v43
	v_cvt_f16_u16_e32 v43, v44
	ds_store_b128 v137, v[46:49] offset:16
	ds_store_b128 v137, v[39:42]
	v_pk_fma_f16 v49, v35, v33, v46 op_sel_hi:[1,0,1]
	v_ashrrev_i32_e32 v35, v174, v128
	v_pk_fma_f16 v32, v255, v32, v255 op_sel:[0,0,1] op_sel_hi:[0,1,1]
	v_pack_b32_f16 v36, v36, v43
	v_pk_fma_f16 v40, v31, v37, v40 op_sel_hi:[1,0,1]
	v_pk_fma_f16 v44, v31, v33, v50 op_sel_hi:[1,0,1]
	v_lshrrev_b32_e32 v31, 8, v35
	v_pk_fma_f16 v41, v32, v37, v41 op_sel_hi:[1,0,1]
	v_pk_fma_f16 v36, v255, v36, v255 op_sel:[0,0,1] op_sel_hi:[0,1,1]
	v_and_b32_e32 v43, 15, v35
	v_pk_fma_f16 v45, v32, v33, v51 op_sel_hi:[1,0,1]
	v_and_b32_e32 v31, 15, v31
	v_lshrrev_b32_e32 v32, 16, v35
	v_ashrrev_i32_e32 v47, v174, v248
	v_pk_fma_f16 v42, v36, v37, v42 op_sel_hi:[1,0,1]
	v_cvt_f16_u16_e32 v43, v43
	v_cvt_f16_u16_e32 v31, v31
	v_and_b32_e32 v32, 15, v32
	v_bfe_u32 v35, v35, 24, 4
	v_pk_fma_f16 v46, v36, v33, v52 op_sel_hi:[1,0,1]
	v_lshrrev_b32_e32 v36, 8, v47
	v_pack_b32_f16 v31, v43, v31
	v_cvt_f16_u16_e32 v32, v32
	v_cvt_f16_u16_e32 v35, v35
	v_and_b32_e32 v43, 15, v47
	v_and_b32_e32 v36, 15, v36
	v_lshrrev_b32_e32 v48, 16, v47
	v_bfe_u32 v47, v47, 24, 4
	v_pack_b32_f16 v32, v32, v35
	v_cvt_f16_u16_e32 v35, v43
	v_cvt_f16_u16_e32 v36, v36
	v_and_b32_e32 v43, 15, v48
	v_pk_fma_f16 v31, v125, v31, v125 op_sel:[0,0,1] op_sel_hi:[0,1,1]
	v_cvt_f16_u16_e32 v47, v47
	v_pk_fma_f16 v32, v125, v32, v125 op_sel:[0,0,1] op_sel_hi:[0,1,1]
	v_pack_b32_f16 v35, v35, v36
	v_cvt_f16_u16_e32 v36, v43
	v_pk_fma_f16 v39, v31, v37, v39 op_sel:[0,1,0]
	ds_store_b128 v137, v[49:52] offset:16
	ds_store_b128 v137, v[39:42]
	s_waitcnt vmcnt(7)
	v_ashrrev_i32_e32 v50, v174, v127
	v_pk_fma_f16 v43, v31, v33, v49 op_sel:[0,1,0]
	v_pack_b32_f16 v31, v36, v47
	v_pk_fma_f16 v35, v138, v35, v138 op_sel:[0,0,1] op_sel_hi:[0,1,1]
	v_pk_fma_f16 v40, v32, v37, v40 op_sel:[0,1,0]
	v_lshrrev_b32_e32 v36, 8, v50
	v_pk_fma_f16 v47, v32, v33, v44 op_sel:[0,1,0]
	v_pk_fma_f16 v31, v138, v31, v138 op_sel:[0,0,1] op_sel_hi:[0,1,1]
	v_pk_fma_f16 v41, v35, v37, v41 op_sel:[0,1,0]
	v_and_b32_e32 v32, 15, v50
	v_and_b32_e32 v36, 15, v36
	v_lshrrev_b32_e32 v49, 16, v50
	v_pk_fma_f16 v42, v31, v37, v42 op_sel:[0,1,0]
	s_waitcnt vmcnt(6)
	v_ashrrev_i32_e32 v37, v174, v245
	v_pk_fma_f16 v48, v35, v33, v45 op_sel:[0,1,0]
	v_cvt_f16_u16_e32 v32, v32
	v_cvt_f16_u16_e32 v35, v36
	v_and_b32_e32 v36, 15, v49
	v_bfe_u32 v50, v50, 24, 4
	v_pk_fma_f16 v49, v31, v33, v46 op_sel:[0,1,0]
	v_lshrrev_b32_e32 v33, 8, v37
	v_pack_b32_f16 v31, v32, v35
	v_cvt_f16_u16_e32 v32, v36
	v_cvt_f16_u16_e32 v35, v50
	v_lshrrev_b32_e32 v36, 16, v37
	v_and_b32_e32 v50, 15, v37
	v_and_b32_e32 v33, 15, v33
	s_waitcnt vmcnt(0)
	v_pk_fma_f16 v31, v195, v31, v195 op_sel:[0,0,1] op_sel_hi:[0,1,1]
	v_pack_b32_f16 v32, v32, v35
	v_and_b32_e32 v35, 15, v36
	v_bfe_u32 v36, v37, 24, 4
	v_cvt_f16_u16_e32 v37, v50
	v_cvt_f16_u16_e32 v33, v33
	v_pk_fma_f16 v39, v31, v38, v39 op_sel_hi:[1,0,1]
	v_cvt_f16_u16_e32 v35, v35
	v_cvt_f16_u16_e32 v36, v36
	v_pk_fma_f16 v32, v195, v32, v195 op_sel:[0,0,1] op_sel_hi:[0,1,1]
	v_pack_b32_f16 v33, v37, v33
	ds_store_b128 v137, v[43:46] offset:16
	ds_store_b128 v137, v[39:42]
	v_pk_fma_f16 v46, v31, v34, v43 op_sel_hi:[1,0,1]
	v_pack_b32_f16 v31, v35, v36
	v_ashrrev_i32_e32 v35, v174, v139
	v_pk_fma_f16 v33, v58, v33, v58 op_sel:[0,0,1] op_sel_hi:[0,1,1]
	v_ashrrev_i32_e32 v44, v174, v57
	v_pk_fma_f16 v36, v32, v38, v40 op_sel_hi:[1,0,1]
	v_pk_fma_f16 v31, v58, v31, v58 op_sel:[0,0,1] op_sel_hi:[0,1,1]
	v_lshrrev_b32_e32 v40, 8, v35
	v_pk_fma_f16 v37, v33, v38, v41 op_sel_hi:[1,0,1]
	v_lshrrev_b32_e32 v41, 16, v35
	v_lshrrev_b32_e32 v45, 8, v44
	;; [unrolled: 1-line block ×3, first 2 shown]
	v_and_b32_e32 v43, 15, v35
	v_and_b32_e32 v40, 15, v40
	;; [unrolled: 1-line block ×3, first 2 shown]
	v_bfe_u32 v35, v35, 24, 4
	v_and_b32_e32 v51, 15, v44
	v_and_b32_e32 v45, 15, v45
	;; [unrolled: 1-line block ×3, first 2 shown]
	v_bfe_u32 v44, v44, 24, 4
	v_cvt_f16_u16_e32 v43, v43
	v_cvt_f16_u16_e32 v40, v40
	;; [unrolled: 1-line block ×8, first 2 shown]
	v_pack_b32_f16 v40, v43, v40
	v_pack_b32_f16 v35, v41, v35
	;; [unrolled: 1-line block ×3, first 2 shown]
	v_pk_fma_f16 v42, v31, v38, v42 op_sel_hi:[1,0,1]
	v_pack_b32_f16 v43, v50, v44
	v_pk_fma_f16 v40, v56, v40, v56 op_sel:[0,0,1] op_sel_hi:[0,1,1]
	v_pk_fma_f16 v44, v56, v35, v56 op_sel:[0,0,1] op_sel_hi:[0,1,1]
	;; [unrolled: 1-line block ×3, first 2 shown]
	v_pk_fma_f16 v32, v32, v34, v47 op_sel_hi:[1,0,1]
	v_pk_fma_f16 v43, v55, v43, v55 op_sel:[0,0,1] op_sel_hi:[0,1,1]
	v_pk_fma_f16 v33, v33, v34, v48 op_sel_hi:[1,0,1]
	v_pk_fma_f16 v45, v31, v34, v49 op_sel_hi:[1,0,1]
	s_add_u32 s7, s7, s6
	s_addc_u32 s9, s9, 0
	s_lshl_b64 s[20:21], s[10:11], 1
	ds_store_2addr_b32 v137, v36, v37 offset0:1 offset1:2
	ds_store_b32 v137, v42 offset:12
	v_pk_fma_f16 v35, v40, v38, v39 op_sel:[0,1,0]
	v_pk_fma_f16 v36, v44, v38, v36 op_sel:[0,1,0]
	;; [unrolled: 1-line block ×4, first 2 shown]
	ds_store_b128 v137, v[46:49] offset:16
	ds_store_2addr_b32 v137, v32, v33 offset0:5 offset1:6
	ds_store_b32 v137, v45 offset:28
	v_pk_fma_f16 v31, v40, v34, v46 op_sel:[0,1,0]
	v_pk_fma_f16 v32, v44, v34, v32 op_sel:[0,1,0]
	;; [unrolled: 1-line block ×4, first 2 shown]
	s_add_u32 s4, s4, s20
	s_addc_u32 s5, s5, s21
	s_cmp_ge_i32 s8, s37
	ds_store_b128 v137, v[35:38]
	ds_store_b128 v137, v[31:34] offset:16
	s_cbranch_scc1 .LBB28_31
; %bb.30:                               ;   in Loop: Header=BB28_21 Depth=1
	v_dual_mov_b32 v36, v129 :: v_dual_mov_b32 v35, v130
	s_branch .LBB28_21
.LBB28_31:
	s_clause 0x4
	scratch_load_b32 v38, off, off offset:16
	scratch_load_b32 v35, off, off offset:20
	;; [unrolled: 1-line block ×5, first 2 shown]
	v_mbcnt_lo_u32_b32 v40, -1, 0
.LBB28_32:
	s_cmp_eq_u64 s[24:25], 0
	s_cselect_b32 s1, -1, 0
	s_cmp_lg_u32 s14, 0
	s_cselect_b32 s4, -1, 0
	s_delay_alu instid0(SALU_CYCLE_1) | instskip(NEXT) | instid1(SALU_CYCLE_1)
	s_or_b32 s1, s4, s1
	s_or_b32 s0, s0, s1
	s_delay_alu instid0(SALU_CYCLE_1) | instskip(NEXT) | instid1(SALU_CYCLE_1)
	s_xor_b32 s0, s0, -1
	s_and_saveexec_b32 s1, s0
	s_cbranch_execz .LBB28_34
; %bb.33:
	s_ashr_i32 s13, s12, 31
	s_waitcnt vmcnt(3)
	v_cmp_eq_u32_e32 vcc_lo, 1, v35
	s_lshl_b64 s[4:5], s[12:13], 2
	v_lshl_add_u32 v9, v35, 4, v137
	s_add_u32 s4, s24, s4
	s_addc_u32 s5, s25, s5
	s_load_b32 s0, s[4:5], 0x0
	v_cndmask_b32_e32 v0, v129, v130, vcc_lo
	s_delay_alu instid0(VALU_DEP_1) | instskip(SKIP_2) | instid1(VALU_DEP_1)
	v_max_f32_e32 v1, v0, v0
	s_waitcnt lgkmcnt(0)
	v_max_f32_e64 v2, s0, s0
	v_max_f32_e32 v4, v2, v1
	s_delay_alu instid0(VALU_DEP_1) | instskip(SKIP_1) | instid1(VALU_DEP_1)
	v_sub_f32_e32 v5, s0, v4
	v_sub_f32_e32 v6, v0, v4
	v_dual_mul_f32 v0, 0x3fb8aa3b, v5 :: v_dual_mul_f32 v1, 0x3fb8aa3b, v6
	v_cmp_ngt_f32_e64 s0, 0xc2ce8ed0, v5
	s_delay_alu instid0(VALU_DEP_2) | instskip(SKIP_1) | instid1(VALU_DEP_4)
	v_fma_f32 v2, 0x3fb8aa3b, v5, -v0
	v_rndne_f32_e32 v3, v0
	v_fma_f32 v7, 0x3fb8aa3b, v6, -v1
	v_rndne_f32_e32 v8, v1
	s_delay_alu instid0(VALU_DEP_4) | instskip(NEXT) | instid1(VALU_DEP_3)
	v_fmac_f32_e32 v2, 0x32a5705f, v5
	v_dual_sub_f32 v0, v0, v3 :: v_dual_fmac_f32 v7, 0x32a5705f, v6
	s_delay_alu instid0(VALU_DEP_3) | instskip(SKIP_1) | instid1(VALU_DEP_2)
	v_sub_f32_e32 v1, v1, v8
	v_cvt_i32_f32_e32 v8, v8
	v_dual_add_f32 v0, v0, v2 :: v_dual_add_f32 v1, v1, v7
	s_delay_alu instid0(VALU_DEP_1) | instskip(NEXT) | instid1(VALU_DEP_1)
	v_exp_f32_e32 v0, v0
	v_exp_f32_e32 v7, v1
	v_cvt_i32_f32_e32 v1, v3
	s_waitcnt_depctr 0xfff
	v_ldexp_f32 v10, v0, v1
	ds_load_b128 v[0:3], v9
	v_ldexp_f32 v7, v7, v8
	v_cndmask_b32_e64 v8, 0, v10, s0
	v_cmp_ngt_f32_e64 s0, 0xc2ce8ed0, v6
	s_delay_alu instid0(VALU_DEP_1) | instskip(SKIP_1) | instid1(VALU_DEP_1)
	v_cndmask_b32_e64 v7, 0, v7, s0
	v_cmp_nlt_f32_e64 s0, 0x42b17218, v5
	v_cndmask_b32_e64 v5, 0x7f800000, v8, s0
	v_cmp_nlt_f32_e64 s0, 0x42b17218, v6
	s_delay_alu instid0(VALU_DEP_1) | instskip(SKIP_2) | instid1(VALU_DEP_3)
	v_cndmask_b32_e64 v6, 0x7f800000, v7, s0
	v_cndmask_b32_e32 v7, v59, v60, vcc_lo
	v_cmp_eq_u32_e64 s0, 0, v38
	v_cvt_f16_f32_e32 v8, v6
	s_delay_alu instid0(VALU_DEP_2)
	v_cndmask_b32_e64 v5, 0, v5, s0
	v_cndmask_b32_e32 v130, v130, v4, vcc_lo
	v_cmp_eq_u32_e64 s0, 0, v35
	s_waitcnt lgkmcnt(0)
	v_pk_mul_f16 v0, v8, v0 op_sel_hi:[0,1]
	v_pk_mul_f16 v1, v8, v1 op_sel_hi:[0,1]
	v_fmac_f32_e32 v5, v7, v6
	v_pk_mul_f16 v2, v8, v2 op_sel_hi:[0,1]
	v_cndmask_b32_e64 v129, v129, v4, s0
	v_pk_mul_f16 v3, v8, v3 op_sel_hi:[0,1]
	s_delay_alu instid0(VALU_DEP_4)
	v_cndmask_b32_e32 v60, v60, v5, vcc_lo
	v_cndmask_b32_e64 v59, v59, v5, s0
	ds_store_b128 v9, v[0:3]
.LBB28_34:
	s_or_b32 exec_lo, exec_lo, s1
	s_delay_alu instid0(SALU_CYCLE_1)
	s_mov_b32 s0, exec_lo
	s_waitcnt vmcnt(3)
	v_cmpx_eq_u32_e32 0, v35
	s_cbranch_execz .LBB28_36
; %bb.35:
	v_mov_b32_e32 v0, 0xfeffffff
	s_waitcnt vmcnt(0)
	v_dual_mov_b32 v2, 0 :: v_dual_add_nc_u32 v1, 0x800, v39
	ds_store_2addr_b32 v1, v0, v0 offset1:32
	ds_store_2addr_b32 v1, v2, v2 offset0:64 offset1:96
.LBB28_36:
	s_or_b32 exec_lo, exec_lo, s0
	v_cmp_eq_u32_e64 s0, 0, v38
	s_waitcnt vmcnt(0) lgkmcnt(0)
	s_waitcnt_vscnt null, 0x0
	s_barrier
	buffer_gl0_inv
	s_and_saveexec_b32 s1, s0
	s_cbranch_execz .LBB28_38
; %bb.37:
	v_lshlrev_b32_e32 v0, 2, v35
	s_delay_alu instid0(VALU_DEP_1)
	v_add_nc_u32_e32 v0, 0x800, v0
	ds_store_2addr_b32 v0, v129, v130 offset1:32
.LBB28_38:
	s_or_b32 exec_lo, exec_lo, s1
	s_cmp_lt_i32 s15, s34
	s_waitcnt lgkmcnt(0)
	s_barrier
	buffer_gl0_inv
	s_cbranch_scc1 .LBB28_40
; %bb.39:
	s_load_b32 s4, s[2:3], 0xd4
	s_cbranch_execz .LBB28_41
	s_branch .LBB28_48
.LBB28_40:
                                        ; implicit-def: $sgpr4
.LBB28_41:
	v_xor_b32_e32 v1, 16, v40
	v_xor_b32_e32 v3, 8, v40
	ds_load_b32 v0, v39 offset:2048
	v_xor_b32_e32 v4, 4, v40
	v_xor_b32_e32 v5, 2, v40
	v_cmp_gt_i32_e32 vcc_lo, 32, v1
	s_waitcnt lgkmcnt(0)
	s_load_b32 s4, s[2:3], 0xd4
	v_lshlrev_b32_e32 v13, 3, v38
	v_cndmask_b32_e32 v1, v40, v1, vcc_lo
	v_cmp_gt_i32_e32 vcc_lo, 32, v3
	v_cndmask_b32_e32 v3, v40, v3, vcc_lo
	v_cmp_gt_i32_e32 vcc_lo, 32, v4
	;; [unrolled: 2-line block ×3, first 2 shown]
	s_delay_alu instid0(VALU_DEP_2)
	v_lshlrev_b32_e32 v4, 2, v4
	v_lshlrev_b32_e32 v2, 2, v1
	v_cndmask_b32_e32 v5, v40, v5, vcc_lo
	ds_bpermute_b32 v1, v2, v0
	v_max_f32_e32 v0, v0, v0
	v_lshlrev_b32_e32 v6, 2, v5
	v_xor_b32_e32 v5, 1, v40
	s_delay_alu instid0(VALU_DEP_1) | instskip(SKIP_1) | instid1(VALU_DEP_1)
	v_cmp_gt_i32_e32 vcc_lo, 32, v5
	v_cndmask_b32_e32 v5, v40, v5, vcc_lo
	v_lshlrev_b32_e32 v5, 2, v5
	s_waitcnt lgkmcnt(0)
	v_max_f32_e32 v1, v1, v1
	s_delay_alu instid0(VALU_DEP_1) | instskip(SKIP_3) | instid1(VALU_DEP_1)
	v_dual_max_f32 v0, v0, v1 :: v_dual_lshlrev_b32 v3, 2, v3
	ds_bpermute_b32 v1, v3, v0
	s_waitcnt lgkmcnt(0)
	v_max_f32_e32 v1, v1, v1
	v_max_f32_e32 v0, v0, v1
	ds_bpermute_b32 v1, v4, v0
	s_waitcnt lgkmcnt(0)
	v_max_f32_e32 v1, v1, v1
	s_delay_alu instid0(VALU_DEP_1) | instskip(SKIP_3) | instid1(VALU_DEP_1)
	v_max_f32_e32 v0, v0, v1
	ds_bpermute_b32 v1, v6, v0
	s_waitcnt lgkmcnt(0)
	v_max_f32_e32 v1, v1, v1
	v_max_f32_e32 v0, v0, v1
	ds_bpermute_b32 v1, v5, v0
	s_waitcnt lgkmcnt(0)
	v_max_f32_e32 v1, v1, v1
	s_delay_alu instid0(VALU_DEP_1) | instskip(NEXT) | instid1(VALU_DEP_1)
	v_max_f32_e32 v0, v0, v1
	v_sub_f32_e32 v1, v129, v0
	s_delay_alu instid0(VALU_DEP_1) | instskip(SKIP_1) | instid1(VALU_DEP_2)
	v_mul_f32_e32 v7, 0x3fb8aa3b, v1
	v_cmp_ngt_f32_e32 vcc_lo, 0xc2ce8ed0, v1
	v_fma_f32 v8, 0x3fb8aa3b, v1, -v7
	v_rndne_f32_e32 v9, v7
	s_delay_alu instid0(VALU_DEP_1) | instskip(NEXT) | instid1(VALU_DEP_1)
	v_dual_fmamk_f32 v8, v1, 0x32a5705f, v8 :: v_dual_sub_f32 v7, v7, v9
	v_add_f32_e32 v7, v7, v8
	v_cvt_i32_f32_e32 v8, v9
	ds_load_b128 v[9:12], v137
	v_exp_f32_e32 v7, v7
	s_waitcnt_depctr 0xfff
	v_ldexp_f32 v7, v7, v8
	s_delay_alu instid0(VALU_DEP_1) | instskip(SKIP_1) | instid1(VALU_DEP_2)
	v_cndmask_b32_e32 v7, 0, v7, vcc_lo
	v_cmp_nlt_f32_e32 vcc_lo, 0x42b17218, v1
	v_cndmask_b32_e32 v7, 0x7f800000, v7, vcc_lo
	s_delay_alu instid0(VALU_DEP_1)
	v_mul_f32_e32 v1, v59, v7
	ds_bpermute_b32 v1, v2, v1
	s_waitcnt lgkmcnt(0)
	v_fmac_f32_e32 v1, v59, v7
	v_cvt_f16_f32_e32 v7, v7
	ds_bpermute_b32 v8, v3, v1
	v_pk_mul_f16 v9, v7, v9 op_sel_hi:[0,1]
	v_pk_mul_f16 v10, v7, v10 op_sel_hi:[0,1]
	;; [unrolled: 1-line block ×4, first 2 shown]
	v_add_nc_u32_e32 v7, v36, v13
	ds_store_b128 v137, v[9:12]
	ds_store_2addr_b64 v7, v[9:10], v[11:12] offset1:32
	s_waitcnt lgkmcnt(2)
	v_add_f32_e32 v1, v1, v8
	ds_bpermute_b32 v8, v4, v1
	s_waitcnt lgkmcnt(0)
	v_add_f32_e32 v1, v1, v8
	ds_bpermute_b32 v8, v6, v1
	;; [unrolled: 3-line block ×3, first 2 shown]
	s_and_saveexec_b32 s1, s0
	s_cbranch_execz .LBB28_43
; %bb.42:
	s_waitcnt lgkmcnt(0)
	v_dual_add_f32 v1, v1, v8 :: v_dual_lshlrev_b32 v8, 2, v35
	ds_store_b32 v8, v1 offset:2304
.LBB28_43:
	s_or_b32 exec_lo, exec_lo, s1
	s_waitcnt lgkmcnt(0)
	s_barrier
	buffer_gl0_inv
	ds_load_b32 v1, v39 offset:2304
	ds_load_u16 v8, v136
	ds_load_u16 v9, v136 offset:1280
	ds_load_u16 v10, v136 offset:768
	;; [unrolled: 1-line block ×6, first 2 shown]
	s_cmp_eq_u32 s4, 1
	s_mul_i32 s3, s33, s34
	s_cselect_b32 s1, -1, 0
	s_add_i32 s3, s3, s15
	s_delay_alu instid0(SALU_CYCLE_1) | instskip(NEXT) | instid1(SALU_CYCLE_1)
	s_mul_i32 s3, s3, s35
	s_add_i32 s3, s3, s12
	s_delay_alu instid0(SALU_CYCLE_1) | instskip(NEXT) | instid1(SALU_CYCLE_1)
	s_mul_i32 s5, s4, s3
	s_add_i32 s5, s5, s14
	s_waitcnt lgkmcnt(7)
	ds_bpermute_b32 v12, v2, v1
	s_waitcnt lgkmcnt(7)
	v_cvt_f32_f16_e32 v8, v8
	s_waitcnt lgkmcnt(6)
	v_cvt_f32_f16_e32 v9, v9
	;; [unrolled: 2-line block ×5, first 2 shown]
	v_add_f32_e32 v8, 0, v8
	v_cvt_f32_f16_e32 v11, v11
	s_delay_alu instid0(VALU_DEP_2) | instskip(SKIP_3) | instid1(VALU_DEP_1)
	v_add_f32_e32 v8, v8, v13
	ds_load_u16 v13, v136 offset:1792
	s_waitcnt lgkmcnt(1)
	v_dual_add_f32 v8, v8, v14 :: v_dual_add_f32 v1, v1, v12
	v_add_f32_e32 v14, v8, v15
	v_add_f32_e32 v8, 0, v11
	ds_bpermute_b32 v12, v3, v1
	s_waitcnt lgkmcnt(1)
	v_cvt_f32_f16_e32 v11, v13
	s_waitcnt lgkmcnt(0)
	v_add_f32_e32 v1, v1, v12
	ds_bpermute_b32 v12, v4, v1
	s_waitcnt lgkmcnt(0)
	v_add_f32_e32 v1, v1, v12
	ds_bpermute_b32 v12, v6, v1
	;; [unrolled: 3-line block ×3, first 2 shown]
	s_waitcnt lgkmcnt(0)
	v_add_f32_e32 v59, v1, v12
	v_cvt_f32_f16_e32 v1, v10
	s_delay_alu instid0(VALU_DEP_2) | instskip(NEXT) | instid1(VALU_DEP_2)
	v_div_scale_f32 v10, null, v59, v59, v14
	v_add_f32_e32 v1, v8, v1
	v_div_scale_f32 v12, vcc_lo, v14, v59, v14
	s_delay_alu instid0(VALU_DEP_3) | instskip(NEXT) | instid1(VALU_DEP_2)
	v_rcp_f32_e32 v8, v10
	v_add_f32_e32 v1, v1, v9
	s_delay_alu instid0(VALU_DEP_1) | instskip(SKIP_3) | instid1(VALU_DEP_2)
	v_add_f32_e32 v1, v1, v11
	s_waitcnt_depctr 0xfff
	v_fma_f32 v9, -v10, v8, 1.0
	v_div_scale_f32 v11, null, v59, v59, v1
	v_fmac_f32_e32 v8, v9, v8
	s_delay_alu instid0(VALU_DEP_2) | instskip(NEXT) | instid1(VALU_DEP_1)
	v_rcp_f32_e32 v13, v11
	v_mul_f32_e32 v9, v12, v8
	s_delay_alu instid0(VALU_DEP_1) | instskip(SKIP_4) | instid1(VALU_DEP_3)
	v_fma_f32 v15, -v10, v9, v12
	s_waitcnt_depctr 0xfff
	v_fma_f32 v16, -v11, v13, 1.0
	v_fmac_f32_e32 v9, v15, v8
	v_div_scale_f32 v15, s2, v1, v59, v1
	v_fmac_f32_e32 v13, v16, v13
	s_delay_alu instid0(VALU_DEP_3) | instskip(NEXT) | instid1(VALU_DEP_2)
	v_fma_f32 v10, -v10, v9, v12
	v_mul_f32_e32 v12, v15, v13
	s_delay_alu instid0(VALU_DEP_2) | instskip(SKIP_2) | instid1(VALU_DEP_2)
	v_div_fmas_f32 v8, v10, v8, v9
	s_mov_b32 vcc_lo, s2
	s_or_b32 s2, s15, 1
	v_fma_f32 v9, -v11, v12, v15
	s_cmp_ge_i32 s2, s34
	v_div_fixup_f32 v10, v8, v59, v14
	v_lshl_or_b32 v8, s5, 8, v32
	s_delay_alu instid0(VALU_DEP_3) | instskip(NEXT) | instid1(VALU_DEP_3)
	v_dual_fmac_f32 v12, v9, v13 :: v_dual_mov_b32 v9, 0
	v_cndmask_b32_e64 v10, v14, v10, s1
	s_delay_alu instid0(VALU_DEP_2) | instskip(NEXT) | instid1(VALU_DEP_3)
	v_fma_f32 v11, -v11, v12, v15
	v_lshlrev_b64 v[8:9], 2, v[8:9]
	s_delay_alu instid0(VALU_DEP_2) | instskip(NEXT) | instid1(VALU_DEP_2)
	v_div_fmas_f32 v11, v11, v13, v12
	v_add_co_u32 v8, vcc_lo, s28, v8
	s_delay_alu instid0(VALU_DEP_3) | instskip(NEXT) | instid1(VALU_DEP_3)
	v_add_co_ci_u32_e32 v9, vcc_lo, s29, v9, vcc_lo
	v_div_fixup_f32 v11, v11, v59, v1
	s_delay_alu instid0(VALU_DEP_1)
	v_cndmask_b32_e64 v11, v1, v11, s1
	v_mov_b32_e32 v1, v130
	s_clause 0x1
	global_store_b32 v[8:9], v10, off
	global_store_b32 v[8:9], v11, off offset:512
	s_waitcnt_vscnt null, 0x0
	s_barrier
	buffer_gl0_inv
	s_cbranch_scc1 .LBB28_47
; %bb.44:
	v_or_b32_e32 v1, 0x800, v39
	ds_load_b32 v1, v1 offset:128
	s_waitcnt lgkmcnt(0)
	ds_bpermute_b32 v8, v2, v1
	s_waitcnt lgkmcnt(0)
	v_dual_max_f32 v1, v1, v1 :: v_dual_max_f32 v8, v8, v8
	s_delay_alu instid0(VALU_DEP_1) | instskip(SKIP_3) | instid1(VALU_DEP_1)
	v_max_f32_e32 v1, v1, v8
	ds_bpermute_b32 v8, v3, v1
	s_waitcnt lgkmcnt(0)
	v_max_f32_e32 v8, v8, v8
	v_max_f32_e32 v1, v1, v8
	ds_bpermute_b32 v8, v4, v1
	s_waitcnt lgkmcnt(0)
	v_max_f32_e32 v8, v8, v8
	s_delay_alu instid0(VALU_DEP_1) | instskip(SKIP_3) | instid1(VALU_DEP_1)
	v_max_f32_e32 v1, v1, v8
	ds_bpermute_b32 v8, v6, v1
	s_waitcnt lgkmcnt(0)
	v_max_f32_e32 v8, v8, v8
	v_max_f32_e32 v1, v1, v8
	ds_bpermute_b32 v8, v5, v1
	s_waitcnt lgkmcnt(0)
	v_max_f32_e32 v8, v8, v8
	s_delay_alu instid0(VALU_DEP_1) | instskip(NEXT) | instid1(VALU_DEP_1)
	v_max_f32_e32 v1, v1, v8
	v_sub_f32_e32 v8, v130, v1
	s_delay_alu instid0(VALU_DEP_1) | instskip(SKIP_1) | instid1(VALU_DEP_2)
	v_mul_f32_e32 v9, 0x3fb8aa3b, v8
	v_cmp_ngt_f32_e32 vcc_lo, 0xc2ce8ed0, v8
	v_fma_f32 v10, 0x3fb8aa3b, v8, -v9
	v_rndne_f32_e32 v11, v9
	s_delay_alu instid0(VALU_DEP_1) | instskip(NEXT) | instid1(VALU_DEP_1)
	v_dual_fmamk_f32 v10, v8, 0x32a5705f, v10 :: v_dual_sub_f32 v9, v9, v11
	v_add_f32_e32 v9, v9, v10
	v_cvt_i32_f32_e32 v10, v11
	ds_load_b128 v[11:14], v137 offset:16
	v_exp_f32_e32 v9, v9
	s_waitcnt_depctr 0xfff
	v_ldexp_f32 v9, v9, v10
	s_delay_alu instid0(VALU_DEP_1) | instskip(SKIP_1) | instid1(VALU_DEP_2)
	v_cndmask_b32_e32 v9, 0, v9, vcc_lo
	v_cmp_nlt_f32_e32 vcc_lo, 0x42b17218, v8
	v_cndmask_b32_e32 v8, 0x7f800000, v9, vcc_lo
	s_delay_alu instid0(VALU_DEP_1)
	v_mul_f32_e32 v9, v60, v8
	ds_bpermute_b32 v9, v2, v9
	s_waitcnt lgkmcnt(0)
	v_fmac_f32_e32 v9, v60, v8
	v_cvt_f16_f32_e32 v8, v8
	ds_bpermute_b32 v10, v3, v9
	v_pk_mul_f16 v11, v8, v11 op_sel_hi:[0,1]
	v_pk_mul_f16 v12, v8, v12 op_sel_hi:[0,1]
	;; [unrolled: 1-line block ×4, first 2 shown]
	v_add_nc_u32_e32 v8, 0x900, v39
	ds_store_b128 v137, v[11:14] offset:16
	ds_store_2addr_b64 v7, v[11:12], v[13:14] offset1:32
	s_waitcnt lgkmcnt(2)
	v_add_f32_e32 v9, v9, v10
	ds_bpermute_b32 v10, v4, v9
	s_waitcnt lgkmcnt(0)
	v_add_f32_e32 v9, v9, v10
	ds_bpermute_b32 v10, v6, v9
	;; [unrolled: 3-line block ×3, first 2 shown]
	s_and_saveexec_b32 s2, s0
	s_cbranch_execz .LBB28_46
; %bb.45:
	v_lshlrev_b32_e32 v7, 2, v35
	s_waitcnt lgkmcnt(0)
	v_add_f32_e32 v9, v9, v10
	ds_store_b32 v7, v9 offset:2432
.LBB28_46:
	s_or_b32 exec_lo, exec_lo, s2
	s_waitcnt lgkmcnt(0)
	s_barrier
	buffer_gl0_inv
	ds_load_b32 v7, v8 offset:128
	ds_load_u16 v8, v136
	ds_load_u16 v9, v136 offset:1280
	ds_load_u16 v10, v136 offset:768
	;; [unrolled: 1-line block ×3, first 2 shown]
	s_add_i32 s3, s3, s35
	s_delay_alu instid0(SALU_CYCLE_1) | instskip(NEXT) | instid1(SALU_CYCLE_1)
	s_mul_i32 s2, s4, s3
	s_add_i32 s2, s2, s14
	s_waitcnt lgkmcnt(4)
	ds_bpermute_b32 v2, v2, v7
	s_waitcnt lgkmcnt(4)
	v_cvt_f32_f16_e32 v8, v8
	s_waitcnt lgkmcnt(2)
	v_cvt_f32_f16_e32 v10, v10
	;; [unrolled: 2-line block ×3, first 2 shown]
	s_waitcnt lgkmcnt(0)
	s_delay_alu instid0(VALU_DEP_1)
	v_dual_add_f32 v11, 0, v11 :: v_dual_add_f32 v2, v7, v2
	ds_bpermute_b32 v3, v3, v2
	s_waitcnt lgkmcnt(0)
	v_add_f32_e32 v2, v2, v3
	ds_bpermute_b32 v3, v4, v2
	s_waitcnt lgkmcnt(0)
	v_add_f32_e32 v2, v2, v3
	ds_bpermute_b32 v3, v6, v2
	ds_load_u16 v4, v136 offset:512
	ds_load_u16 v6, v136 offset:1024
	;; [unrolled: 1-line block ×3, first 2 shown]
	s_waitcnt lgkmcnt(2)
	v_cvt_f32_f16_e32 v4, v4
	v_add_f32_e32 v2, v2, v3
	ds_load_u16 v3, v136 offset:1792
	s_waitcnt lgkmcnt(2)
	v_cvt_f32_f16_e32 v6, v6
	s_waitcnt lgkmcnt(1)
	v_cvt_f32_f16_e32 v7, v7
	ds_bpermute_b32 v5, v5, v2
	s_waitcnt lgkmcnt(1)
	v_cvt_f32_f16_e32 v3, v3
	v_add_f32_e32 v8, 0, v8
	s_waitcnt lgkmcnt(0)
	v_add_f32_e32 v60, v2, v5
	s_delay_alu instid0(VALU_DEP_2) | instskip(SKIP_2) | instid1(VALU_DEP_3)
	v_add_f32_e32 v4, v8, v4
	v_cvt_f32_f16_e32 v8, v9
	v_add_f32_e32 v9, v11, v10
	v_add_f32_e32 v4, v4, v6
	s_delay_alu instid0(VALU_DEP_2) | instskip(NEXT) | instid1(VALU_DEP_2)
	v_add_f32_e32 v6, v9, v8
	v_add_f32_e32 v4, v4, v7
	s_delay_alu instid0(VALU_DEP_2) | instskip(NEXT) | instid1(VALU_DEP_2)
	v_add_f32_e32 v5, v6, v3
	v_div_scale_f32 v2, null, v60, v60, v4
	s_delay_alu instid0(VALU_DEP_2) | instskip(SKIP_1) | instid1(VALU_DEP_3)
	v_div_scale_f32 v6, null, v60, v60, v5
	v_div_scale_f32 v10, vcc_lo, v4, v60, v4
	v_rcp_f32_e32 v7, v2
	s_delay_alu instid0(VALU_DEP_2) | instskip(SKIP_4) | instid1(VALU_DEP_1)
	v_rcp_f32_e32 v8, v6
	v_div_scale_f32 v11, s0, v5, v60, v5
	s_waitcnt_depctr 0xfff
	v_fma_f32 v3, -v2, v7, 1.0
	v_fma_f32 v9, -v6, v8, 1.0
	v_dual_fmac_f32 v7, v3, v7 :: v_dual_fmac_f32 v8, v9, v8
	s_delay_alu instid0(VALU_DEP_1) | instskip(NEXT) | instid1(VALU_DEP_1)
	v_dual_mul_f32 v9, v10, v7 :: v_dual_mul_f32 v12, v11, v8
	v_fma_f32 v3, -v2, v9, v10
	s_delay_alu instid0(VALU_DEP_2) | instskip(NEXT) | instid1(VALU_DEP_1)
	v_fma_f32 v13, -v6, v12, v11
	v_dual_fmac_f32 v9, v3, v7 :: v_dual_fmac_f32 v12, v13, v8
	v_mov_b32_e32 v3, 0
	s_delay_alu instid0(VALU_DEP_2) | instskip(NEXT) | instid1(VALU_DEP_3)
	v_fma_f32 v10, -v2, v9, v10
	v_fma_f32 v6, -v6, v12, v11
	v_lshl_or_b32 v2, s2, 8, v32
	s_delay_alu instid0(VALU_DEP_3) | instskip(SKIP_1) | instid1(VALU_DEP_2)
	v_div_fmas_f32 v7, v10, v7, v9
	s_mov_b32 vcc_lo, s0
	v_lshlrev_b64 v[2:3], 2, v[2:3]
	v_div_fmas_f32 v6, v6, v8, v12
	s_delay_alu instid0(VALU_DEP_3) | instskip(NEXT) | instid1(VALU_DEP_2)
	v_div_fixup_f32 v7, v7, v60, v4
	v_div_fixup_f32 v6, v6, v60, v5
	s_delay_alu instid0(VALU_DEP_4) | instskip(SKIP_1) | instid1(VALU_DEP_4)
	v_add_co_u32 v2, vcc_lo, s28, v2
	v_add_co_ci_u32_e32 v3, vcc_lo, s29, v3, vcc_lo
	v_cndmask_b32_e64 v4, v4, v7, s1
	s_delay_alu instid0(VALU_DEP_4)
	v_cndmask_b32_e64 v5, v5, v6, s1
	s_clause 0x1
	global_store_b32 v[2:3], v4, off
	global_store_b32 v[2:3], v5, off offset:512
.LBB28_47:
	v_dual_mov_b32 v130, v1 :: v_dual_mov_b32 v129, v0
.LBB28_48:
	v_or_b32_e32 v0, s15, v38
	v_cmp_gt_u32_e32 vcc_lo, 2, v32
	s_waitcnt lgkmcnt(0)
	s_cmp_lg_u32 s4, 1
	s_cselect_b32 s1, -1, 0
	v_cmp_gt_i32_e64 s0, s34, v0
	s_and_b32 s1, vcc_lo, s1
	s_delay_alu instid0(VALU_DEP_1) | instid1(SALU_CYCLE_1)
	s_and_b32 s0, s1, s0
	s_delay_alu instid0(SALU_CYCLE_1)
	s_and_saveexec_b32 s1, s0
	s_cbranch_execz .LBB28_50
; %bb.49:
	v_mad_u64_u32 v[1:2], null, s33, s34, v[0:1]
	v_cmp_eq_u32_e32 vcc_lo, 1, v32
	s_delay_alu instid0(VALU_DEP_2) | instskip(SKIP_1) | instid1(VALU_DEP_2)
	v_mad_u64_u32 v[2:3], null, v1, s35, s[12:13]
	v_cndmask_b32_e32 v3, v59, v60, vcc_lo
	v_mad_u64_u32 v[0:1], null, s4, v2, s[14:15]
	v_dual_mov_b32 v1, 0 :: v_dual_cndmask_b32 v2, v129, v130
	s_delay_alu instid0(VALU_DEP_1) | instskip(NEXT) | instid1(VALU_DEP_1)
	v_lshlrev_b64 v[0:1], 3, v[0:1]
	v_add_co_u32 v0, vcc_lo, s30, v0
	s_delay_alu instid0(VALU_DEP_2)
	v_add_co_ci_u32_e32 v1, vcc_lo, s31, v1, vcc_lo
	global_store_b64 v[0:1], v[2:3], off
.LBB28_50:
	s_nop 0
	s_sendmsg sendmsg(MSG_DEALLOC_VGPRS)
	s_endpgm
	.section	.rodata,"a",@progbits
	.p2align	6, 0x0
	.amdhsa_kernel _ZL18flash_attn_ext_vecILi256ELi2EL9ggml_type6ELS0_3ELb0EEvPKcS2_S2_S2_S2_PKiPfP15HIP_vector_typeIfLj2EEffffjfiS6_IjLj3EEiiiiiiiiiiiliiliiiiil
		.amdhsa_group_segment_fixed_size 6656
		.amdhsa_private_segment_fixed_size 40
		.amdhsa_kernarg_size 464
		.amdhsa_user_sgpr_count 13
		.amdhsa_user_sgpr_dispatch_ptr 1
		.amdhsa_user_sgpr_queue_ptr 0
		.amdhsa_user_sgpr_kernarg_segment_ptr 1
		.amdhsa_user_sgpr_dispatch_id 0
		.amdhsa_user_sgpr_private_segment_size 0
		.amdhsa_wavefront_size32 1
		.amdhsa_uses_dynamic_stack 0
		.amdhsa_enable_private_segment 1
		.amdhsa_system_sgpr_workgroup_id_x 1
		.amdhsa_system_sgpr_workgroup_id_y 1
		.amdhsa_system_sgpr_workgroup_id_z 1
		.amdhsa_system_sgpr_workgroup_info 0
		.amdhsa_system_vgpr_workitem_id 2
		.amdhsa_next_free_vgpr 256
		.amdhsa_next_free_sgpr 48
		.amdhsa_reserve_vcc 1
		.amdhsa_float_round_mode_32 0
		.amdhsa_float_round_mode_16_64 0
		.amdhsa_float_denorm_mode_32 3
		.amdhsa_float_denorm_mode_16_64 3
		.amdhsa_dx10_clamp 1
		.amdhsa_ieee_mode 1
		.amdhsa_fp16_overflow 0
		.amdhsa_workgroup_processor_mode 1
		.amdhsa_memory_ordered 1
		.amdhsa_forward_progress 0
		.amdhsa_shared_vgpr_count 0
		.amdhsa_exception_fp_ieee_invalid_op 0
		.amdhsa_exception_fp_denorm_src 0
		.amdhsa_exception_fp_ieee_div_zero 0
		.amdhsa_exception_fp_ieee_overflow 0
		.amdhsa_exception_fp_ieee_underflow 0
		.amdhsa_exception_fp_ieee_inexact 0
		.amdhsa_exception_int_div_zero 0
	.end_amdhsa_kernel
	.section	.text._ZL18flash_attn_ext_vecILi256ELi2EL9ggml_type6ELS0_3ELb0EEvPKcS2_S2_S2_S2_PKiPfP15HIP_vector_typeIfLj2EEffffjfiS6_IjLj3EEiiiiiiiiiiiliiliiiiil,"axG",@progbits,_ZL18flash_attn_ext_vecILi256ELi2EL9ggml_type6ELS0_3ELb0EEvPKcS2_S2_S2_S2_PKiPfP15HIP_vector_typeIfLj2EEffffjfiS6_IjLj3EEiiiiiiiiiiiliiliiiiil,comdat
.Lfunc_end28:
	.size	_ZL18flash_attn_ext_vecILi256ELi2EL9ggml_type6ELS0_3ELb0EEvPKcS2_S2_S2_S2_PKiPfP15HIP_vector_typeIfLj2EEffffjfiS6_IjLj3EEiiiiiiiiiiiliiliiiiil, .Lfunc_end28-_ZL18flash_attn_ext_vecILi256ELi2EL9ggml_type6ELS0_3ELb0EEvPKcS2_S2_S2_S2_PKiPfP15HIP_vector_typeIfLj2EEffffjfiS6_IjLj3EEiiiiiiiiiiiliiliiiiil
                                        ; -- End function
	.section	.AMDGPU.csdata,"",@progbits
; Kernel info:
; codeLenInByte = 32532
; NumSgprs: 50
; NumVgprs: 256
; ScratchSize: 40
; MemoryBound: 0
; FloatMode: 240
; IeeeMode: 1
; LDSByteSize: 6656 bytes/workgroup (compile time only)
; SGPRBlocks: 6
; VGPRBlocks: 31
; NumSGPRsForWavesPerEU: 50
; NumVGPRsForWavesPerEU: 256
; Occupancy: 5
; WaveLimiterHint : 0
; COMPUTE_PGM_RSRC2:SCRATCH_EN: 1
; COMPUTE_PGM_RSRC2:USER_SGPR: 13
; COMPUTE_PGM_RSRC2:TRAP_HANDLER: 0
; COMPUTE_PGM_RSRC2:TGID_X_EN: 1
; COMPUTE_PGM_RSRC2:TGID_Y_EN: 1
; COMPUTE_PGM_RSRC2:TGID_Z_EN: 1
; COMPUTE_PGM_RSRC2:TIDIG_COMP_CNT: 2
	.section	.text._ZL33flash_attn_stream_k_fixup_uniformILi256ELi2ELi1EEvPfPK15HIP_vector_typeIfLj2EEiiiiiiS1_IjLj3EES5_S5_,"axG",@progbits,_ZL33flash_attn_stream_k_fixup_uniformILi256ELi2ELi1EEvPfPK15HIP_vector_typeIfLj2EEiiiiiiS1_IjLj3EES5_S5_,comdat
	.globl	_ZL33flash_attn_stream_k_fixup_uniformILi256ELi2ELi1EEvPfPK15HIP_vector_typeIfLj2EEiiiiiiS1_IjLj3EES5_S5_ ; -- Begin function _ZL33flash_attn_stream_k_fixup_uniformILi256ELi2ELi1EEvPfPK15HIP_vector_typeIfLj2EEiiiiiiS1_IjLj3EES5_S5_
	.p2align	8
	.type	_ZL33flash_attn_stream_k_fixup_uniformILi256ELi2ELi1EEvPfPK15HIP_vector_typeIfLj2EEiiiiiiS1_IjLj3EES5_S5_,@function
_ZL33flash_attn_stream_k_fixup_uniformILi256ELi2ELi1EEvPfPK15HIP_vector_typeIfLj2EEiiiiiiS1_IjLj3EES5_S5_: ; @_ZL33flash_attn_stream_k_fixup_uniformILi256ELi2ELi1EEvPfPK15HIP_vector_typeIfLj2EEiiiiiiS1_IjLj3EES5_S5_
; %bb.0:
	s_clause 0x1
	s_load_b256 s[4:11], s[0:1], 0x1c
	s_load_b128 s[16:19], s[0:1], 0x3c
	s_waitcnt lgkmcnt(0)
	s_mul_hi_u32 s2, s7, s13
	s_delay_alu instid0(SALU_CYCLE_1) | instskip(NEXT) | instid1(SALU_CYCLE_1)
	s_add_i32 s2, s13, s2
	s_lshr_b32 s2, s2, s8
	s_delay_alu instid0(SALU_CYCLE_1) | instskip(SKIP_2) | instid1(SALU_CYCLE_1)
	s_mul_i32 s3, s2, s9
	s_load_b64 s[8:9], s[0:1], 0x10
	s_sub_i32 s7, s13, s3
	s_mul_hi_u32 s3, s7, s10
	s_delay_alu instid0(SALU_CYCLE_1) | instskip(NEXT) | instid1(SALU_CYCLE_1)
	s_add_i32 s3, s7, s3
	s_lshr_b32 s3, s3, s11
	s_delay_alu instid0(SALU_CYCLE_1) | instskip(NEXT) | instid1(SALU_CYCLE_1)
	s_mul_i32 s10, s3, s16
	s_sub_i32 s10, s7, s10
	s_delay_alu instid0(SALU_CYCLE_1) | instskip(NEXT) | instid1(SALU_CYCLE_1)
	s_mul_hi_u32 s7, s10, s17
	s_add_i32 s7, s10, s7
	s_delay_alu instid0(SALU_CYCLE_1) | instskip(NEXT) | instid1(SALU_CYCLE_1)
	s_lshr_b32 s7, s7, s18
	s_mul_i32 s11, s7, s19
	s_delay_alu instid0(SALU_CYCLE_1) | instskip(NEXT) | instid1(SALU_CYCLE_1)
	s_sub_i32 s10, s10, s11
	s_lshl_b32 s11, s10, 1
	s_delay_alu instid0(SALU_CYCLE_1) | instskip(SKIP_4) | instid1(SALU_CYCLE_1)
	s_add_i32 s11, s11, s14
	s_waitcnt lgkmcnt(0)
	s_cmp_lt_i32 s11, s8
	s_cselect_b32 s11, -1, 0
	s_add_i32 s12, s7, s15
	s_cmp_lt_i32 s12, s5
	s_cselect_b32 s12, -1, 0
	s_delay_alu instid0(SALU_CYCLE_1) | instskip(NEXT) | instid1(SALU_CYCLE_1)
	s_and_b32 s11, s11, s12
	s_and_not1_b32 vcc_lo, exec_lo, s11
	s_cbranch_vccnz .LBB29_6
; %bb.1:
	s_mul_i32 s2, s2, s8
	s_mul_i32 s5, s3, s5
	s_add_i32 s2, s2, s14
	s_delay_alu instid0(SALU_CYCLE_1) | instskip(NEXT) | instid1(SALU_CYCLE_1)
	s_mul_i32 s2, s2, s9
	s_add_i32 s8, s2, s15
	s_load_b128 s[0:3], s[0:1], 0x0
	s_add_i32 s5, s8, s5
	s_mul_i32 s8, s9, s10
	s_add_i32 s5, s5, s7
	s_lshl_b32 s7, s8, 9
	s_lshl_b32 s5, s5, 8
	s_add_i32 s10, s14, s15
	s_add_i32 s7, s7, s5
	s_mul_i32 s5, s13, s6
	v_or_b32_e32 v1, s7, v0
	s_add_i32 s9, s5, s6
	s_delay_alu instid0(VALU_DEP_1) | instskip(NEXT) | instid1(VALU_DEP_1)
	v_ashrrev_i32_e32 v2, 31, v1
	v_lshlrev_b64 v[1:2], 2, v[1:2]
	s_waitcnt lgkmcnt(0)
	s_delay_alu instid0(VALU_DEP_1) | instskip(NEXT) | instid1(VALU_DEP_2)
	v_add_co_u32 v1, vcc_lo, s0, v1
	v_add_co_ci_u32_e32 v2, vcc_lo, s1, v2, vcc_lo
	s_lshl_b32 s0, s9, 1
	s_delay_alu instid0(SALU_CYCLE_1) | instskip(SKIP_2) | instid1(SALU_CYCLE_1)
	s_add_i32 s0, s10, s0
	global_load_b32 v5, v[1:2], off
	s_add_i32 s0, s0, -2
	s_ashr_i32 s1, s0, 31
	s_delay_alu instid0(SALU_CYCLE_1) | instskip(NEXT) | instid1(SALU_CYCLE_1)
	s_lshl_b64 s[0:1], s[0:1], 3
	s_add_u32 s0, s2, s0
	s_addc_u32 s1, s3, s1
	s_add_i32 s7, s9, -2
	s_load_b32 s11, s[0:1], 0x4
	s_cmp_lt_i32 s7, s5
	s_cbranch_scc1 .LBB29_4
; %bb.2:
	s_lshl_b32 s14, s4, 3
	s_load_b32 s12, s[0:1], 0x0
	s_ashr_i32 s15, s14, 31
	s_delay_alu instid0(SALU_CYCLE_1) | instskip(NEXT) | instid1(SALU_CYCLE_1)
	s_lshl_b64 s[0:1], s[14:15], 2
	s_add_u32 s7, s2, s0
	s_addc_u32 s8, s3, s1
	s_add_i32 s13, s13, 1
	s_lshl_b32 s1, s10, 8
	s_mul_i32 s0, s6, s13
	s_delay_alu instid0(SALU_CYCLE_1)
	s_lshl_b32 s6, s0, 9
	s_lshl_b32 s0, s0, 1
	s_add_i32 s1, s1, s6
	s_add_i32 s0, s10, s0
	v_or_b32_e32 v0, s1, v0
	s_lshl_b32 s1, s4, 1
	s_waitcnt lgkmcnt(0)
	v_mov_b32_e32 v6, s11
	s_add_i32 s0, s0, s1
	s_add_i32 s4, s9, -1
	v_dual_mov_b32 v0, s12 :: v_dual_add_nc_u32 v3, 0xfffffc00, v0
	s_add_i32 s0, s0, -4
.LBB29_3:                               ; =>This Inner Loop Header: Depth=1
	s_delay_alu instid0(VALU_DEP_1) | instskip(SKIP_1) | instid1(SALU_CYCLE_1)
	v_ashrrev_i32_e32 v4, 31, v3
	s_ashr_i32 s1, s0, 31
	s_lshl_b64 s[10:11], s[0:1], 3
	s_delay_alu instid0(SALU_CYCLE_1) | instskip(NEXT) | instid1(VALU_DEP_1)
	s_add_u32 s10, s2, s10
	v_lshlrev_b64 v[7:8], 2, v[3:4]
	s_addc_u32 s11, s3, s11
	s_add_i32 s4, s4, -1
	s_add_i32 s0, s0, -2
	s_cmp_le_i32 s4, s5
	s_load_b64 s[10:11], s[10:11], 0x0
	v_add_co_u32 v7, vcc_lo, s7, v7
	v_add_co_ci_u32_e32 v8, vcc_lo, s8, v8, vcc_lo
	global_load_b32 v4, v[7:8], off
	v_max_f32_e32 v7, v0, v0
	s_waitcnt lgkmcnt(0)
	v_max_f32_e64 v8, s10, s10
	s_delay_alu instid0(VALU_DEP_1) | instskip(NEXT) | instid1(VALU_DEP_1)
	v_max_f32_e32 v7, v7, v8
	v_sub_f32_e32 v8, s10, v7
	s_delay_alu instid0(VALU_DEP_1) | instskip(NEXT) | instid1(VALU_DEP_1)
	v_dual_sub_f32 v0, v0, v7 :: v_dual_mul_f32 v9, 0x3fb8aa3b, v8
	v_fma_f32 v10, 0x3fb8aa3b, v8, -v9
	v_rndne_f32_e32 v11, v9
	s_delay_alu instid0(VALU_DEP_3) | instskip(NEXT) | instid1(VALU_DEP_2)
	v_mul_f32_e32 v12, 0x3fb8aa3b, v0
	v_dual_fmac_f32 v10, 0x32a5705f, v8 :: v_dual_sub_f32 v9, v9, v11
	v_cvt_i32_f32_e32 v11, v11
	s_delay_alu instid0(VALU_DEP_3) | instskip(SKIP_1) | instid1(VALU_DEP_4)
	v_fma_f32 v13, 0x3fb8aa3b, v0, -v12
	v_rndne_f32_e32 v14, v12
	v_add_f32_e32 v9, v9, v10
	v_cmp_ngt_f32_e32 vcc_lo, 0xc2ce8ed0, v8
	s_delay_alu instid0(VALU_DEP_3) | instskip(NEXT) | instid1(VALU_DEP_3)
	v_sub_f32_e32 v10, v12, v14
	v_exp_f32_e32 v9, v9
	s_waitcnt_depctr 0xfff
	v_ldexp_f32 v9, v9, v11
	v_cvt_i32_f32_e32 v11, v14
	s_delay_alu instid0(VALU_DEP_2) | instskip(SKIP_1) | instid1(VALU_DEP_2)
	v_cndmask_b32_e32 v9, 0, v9, vcc_lo
	v_cmp_nlt_f32_e32 vcc_lo, 0x42b17218, v8
	v_cndmask_b32_e32 v9, 0x7f800000, v9, vcc_lo
	v_cmp_ngt_f32_e32 vcc_lo, 0xc2ce8ed0, v0
	v_fmac_f32_e32 v13, 0x32a5705f, v0
	s_delay_alu instid0(VALU_DEP_1) | instskip(NEXT) | instid1(VALU_DEP_1)
	v_add_f32_e32 v10, v10, v13
	v_exp_f32_e32 v10, v10
	s_waitcnt_depctr 0xfff
	v_ldexp_f32 v10, v10, v11
	s_delay_alu instid0(VALU_DEP_1)
	v_dual_mov_b32 v11, v6 :: v_dual_cndmask_b32 v10, 0, v10
	v_cmp_le_f32_e32 vcc_lo, 0xc1a00000, v8
	s_waitcnt vmcnt(1)
	v_dual_cndmask_b32 v8, 0, v9 :: v_dual_mov_b32 v9, v5
	v_cmp_nlt_f32_e32 vcc_lo, 0x42b17218, v0
	v_cndmask_b32_e32 v5, 0x7f800000, v10, vcc_lo
	s_delay_alu instid0(VALU_DEP_3) | instskip(SKIP_2) | instid1(VALU_DEP_3)
	v_mul_f32_e32 v10, s11, v8
	v_cmp_le_f32_e32 vcc_lo, 0xc1a00000, v0
	v_mov_b32_e32 v0, v7
	v_mov_b32_e32 v6, v10
	s_waitcnt vmcnt(0)
	v_dual_cndmask_b32 v12, 0, v5 :: v_dual_mul_f32 v5, v4, v8
	s_delay_alu instid0(VALU_DEP_1) | instskip(NEXT) | instid1(VALU_DEP_2)
	v_dual_fmac_f32 v6, v11, v12 :: v_dual_add_nc_u32 v3, 0xfffffe00, v3
	v_fmac_f32_e32 v5, v9, v12
	s_cbranch_scc0 .LBB29_3
	s_branch .LBB29_5
.LBB29_4:
	s_waitcnt lgkmcnt(0)
	v_mov_b32_e32 v6, s11
.LBB29_5:
	s_waitcnt vmcnt(0)
	s_delay_alu instid0(VALU_DEP_1) | instskip(NEXT) | instid1(VALU_DEP_1)
	v_div_scale_f32 v0, null, v6, v6, v5
	v_rcp_f32_e32 v3, v0
	s_waitcnt_depctr 0xfff
	v_fma_f32 v4, -v0, v3, 1.0
	s_delay_alu instid0(VALU_DEP_1) | instskip(SKIP_1) | instid1(VALU_DEP_1)
	v_fmac_f32_e32 v3, v4, v3
	v_div_scale_f32 v4, vcc_lo, v5, v6, v5
	v_mul_f32_e32 v7, v4, v3
	s_delay_alu instid0(VALU_DEP_1) | instskip(NEXT) | instid1(VALU_DEP_1)
	v_fma_f32 v8, -v0, v7, v4
	v_fmac_f32_e32 v7, v8, v3
	s_delay_alu instid0(VALU_DEP_1) | instskip(NEXT) | instid1(VALU_DEP_1)
	v_fma_f32 v0, -v0, v7, v4
	v_div_fmas_f32 v0, v0, v3, v7
	s_delay_alu instid0(VALU_DEP_1)
	v_div_fixup_f32 v0, v0, v6, v5
	global_store_b32 v[1:2], v0, off
.LBB29_6:
	s_nop 0
	s_sendmsg sendmsg(MSG_DEALLOC_VGPRS)
	s_endpgm
	.section	.rodata,"a",@progbits
	.p2align	6, 0x0
	.amdhsa_kernel _ZL33flash_attn_stream_k_fixup_uniformILi256ELi2ELi1EEvPfPK15HIP_vector_typeIfLj2EEiiiiiiS1_IjLj3EES5_S5_
		.amdhsa_group_segment_fixed_size 0
		.amdhsa_private_segment_fixed_size 0
		.amdhsa_kernarg_size 76
		.amdhsa_user_sgpr_count 13
		.amdhsa_user_sgpr_dispatch_ptr 0
		.amdhsa_user_sgpr_queue_ptr 0
		.amdhsa_user_sgpr_kernarg_segment_ptr 1
		.amdhsa_user_sgpr_dispatch_id 0
		.amdhsa_user_sgpr_private_segment_size 0
		.amdhsa_wavefront_size32 1
		.amdhsa_uses_dynamic_stack 0
		.amdhsa_enable_private_segment 0
		.amdhsa_system_sgpr_workgroup_id_x 1
		.amdhsa_system_sgpr_workgroup_id_y 1
		.amdhsa_system_sgpr_workgroup_id_z 1
		.amdhsa_system_sgpr_workgroup_info 0
		.amdhsa_system_vgpr_workitem_id 0
		.amdhsa_next_free_vgpr 15
		.amdhsa_next_free_sgpr 20
		.amdhsa_reserve_vcc 1
		.amdhsa_float_round_mode_32 0
		.amdhsa_float_round_mode_16_64 0
		.amdhsa_float_denorm_mode_32 3
		.amdhsa_float_denorm_mode_16_64 3
		.amdhsa_dx10_clamp 1
		.amdhsa_ieee_mode 1
		.amdhsa_fp16_overflow 0
		.amdhsa_workgroup_processor_mode 1
		.amdhsa_memory_ordered 1
		.amdhsa_forward_progress 0
		.amdhsa_shared_vgpr_count 0
		.amdhsa_exception_fp_ieee_invalid_op 0
		.amdhsa_exception_fp_denorm_src 0
		.amdhsa_exception_fp_ieee_div_zero 0
		.amdhsa_exception_fp_ieee_overflow 0
		.amdhsa_exception_fp_ieee_underflow 0
		.amdhsa_exception_fp_ieee_inexact 0
		.amdhsa_exception_int_div_zero 0
	.end_amdhsa_kernel
	.section	.text._ZL33flash_attn_stream_k_fixup_uniformILi256ELi2ELi1EEvPfPK15HIP_vector_typeIfLj2EEiiiiiiS1_IjLj3EES5_S5_,"axG",@progbits,_ZL33flash_attn_stream_k_fixup_uniformILi256ELi2ELi1EEvPfPK15HIP_vector_typeIfLj2EEiiiiiiS1_IjLj3EES5_S5_,comdat
.Lfunc_end29:
	.size	_ZL33flash_attn_stream_k_fixup_uniformILi256ELi2ELi1EEvPfPK15HIP_vector_typeIfLj2EEiiiiiiS1_IjLj3EES5_S5_, .Lfunc_end29-_ZL33flash_attn_stream_k_fixup_uniformILi256ELi2ELi1EEvPfPK15HIP_vector_typeIfLj2EEiiiiiiS1_IjLj3EES5_S5_
                                        ; -- End function
	.section	.AMDGPU.csdata,"",@progbits
; Kernel info:
; codeLenInByte = 976
; NumSgprs: 22
; NumVgprs: 15
; ScratchSize: 0
; MemoryBound: 0
; FloatMode: 240
; IeeeMode: 1
; LDSByteSize: 0 bytes/workgroup (compile time only)
; SGPRBlocks: 2
; VGPRBlocks: 1
; NumSGPRsForWavesPerEU: 22
; NumVGPRsForWavesPerEU: 15
; Occupancy: 16
; WaveLimiterHint : 0
; COMPUTE_PGM_RSRC2:SCRATCH_EN: 0
; COMPUTE_PGM_RSRC2:USER_SGPR: 13
; COMPUTE_PGM_RSRC2:TRAP_HANDLER: 0
; COMPUTE_PGM_RSRC2:TGID_X_EN: 1
; COMPUTE_PGM_RSRC2:TGID_Y_EN: 1
; COMPUTE_PGM_RSRC2:TGID_Z_EN: 1
; COMPUTE_PGM_RSRC2:TIDIG_COMP_CNT: 0
	.section	.text._ZL33flash_attn_stream_k_fixup_generalILi256ELi2ELi1EEvPfPK15HIP_vector_typeIfLj2EEiiiiS1_IjLj3EES5_S5_S5_,"axG",@progbits,_ZL33flash_attn_stream_k_fixup_generalILi256ELi2ELi1EEvPfPK15HIP_vector_typeIfLj2EEiiiiS1_IjLj3EES5_S5_S5_,comdat
	.globl	_ZL33flash_attn_stream_k_fixup_generalILi256ELi2ELi1EEvPfPK15HIP_vector_typeIfLj2EEiiiiS1_IjLj3EES5_S5_S5_ ; -- Begin function _ZL33flash_attn_stream_k_fixup_generalILi256ELi2ELi1EEvPfPK15HIP_vector_typeIfLj2EEiiiiS1_IjLj3EES5_S5_S5_
	.p2align	8
	.type	_ZL33flash_attn_stream_k_fixup_generalILi256ELi2ELi1EEvPfPK15HIP_vector_typeIfLj2EEiiiiS1_IjLj3EES5_S5_S5_,@function
_ZL33flash_attn_stream_k_fixup_generalILi256ELi2ELi1EEvPfPK15HIP_vector_typeIfLj2EEiiiiS1_IjLj3EES5_S5_S5_: ; @_ZL33flash_attn_stream_k_fixup_generalILi256ELi2ELi1EEvPfPK15HIP_vector_typeIfLj2EEiiiiS1_IjLj3EES5_S5_S5_
; %bb.0:
	s_clause 0x1
	s_load_b128 s[4:7], s[0:1], 0x10
	s_load_b32 s20, s[0:1], 0x50
	s_mov_b32 s2, 0
	s_waitcnt lgkmcnt(0)
	s_mul_hi_i32 s3, s7, s13
	s_mul_i32 s12, s7, s13
	s_cmp_lg_u64 s[2:3], 0
	s_cbranch_scc0 .LBB30_21
; %bb.1:
	v_cvt_f32_ubyte0_e32 v1, 0
	v_cvt_f32_u32_e32 v2, s20
	s_sub_u32 s10, 0, s20
	s_subb_u32 s11, 0, 0
	s_delay_alu instid0(VALU_DEP_1) | instskip(NEXT) | instid1(VALU_DEP_1)
	v_fmamk_f32 v1, v1, 0x4f800000, v2
	v_rcp_f32_e32 v1, v1
	s_waitcnt_depctr 0xfff
	v_mul_f32_e32 v1, 0x5f7ffffc, v1
	s_delay_alu instid0(VALU_DEP_1) | instskip(NEXT) | instid1(VALU_DEP_1)
	v_mul_f32_e32 v2, 0x2f800000, v1
	v_trunc_f32_e32 v2, v2
	s_delay_alu instid0(VALU_DEP_1) | instskip(SKIP_1) | instid1(VALU_DEP_2)
	v_fmamk_f32 v1, v2, 0xcf800000, v1
	v_cvt_u32_f32_e32 v2, v2
	v_cvt_u32_f32_e32 v1, v1
	s_delay_alu instid0(VALU_DEP_2) | instskip(NEXT) | instid1(VALU_DEP_2)
	v_readfirstlane_b32 s8, v2
	v_readfirstlane_b32 s9, v1
	s_delay_alu instid0(VALU_DEP_2) | instskip(NEXT) | instid1(VALU_DEP_1)
	s_mul_i32 s16, s10, s8
	s_mul_hi_u32 s18, s10, s9
	s_mul_i32 s17, s11, s9
	s_add_i32 s16, s18, s16
	s_mul_i32 s19, s10, s9
	s_add_i32 s16, s16, s17
	s_mul_hi_u32 s18, s9, s19
	s_mul_hi_u32 s21, s8, s19
	s_mul_i32 s17, s8, s19
	s_mul_hi_u32 s19, s9, s16
	s_mul_i32 s9, s9, s16
	s_mul_hi_u32 s22, s8, s16
	s_add_u32 s9, s18, s9
	s_addc_u32 s18, 0, s19
	s_add_u32 s9, s9, s17
	s_mul_i32 s16, s8, s16
	s_addc_u32 s9, s18, s21
	s_addc_u32 s17, s22, 0
	s_add_u32 s9, s9, s16
	s_addc_u32 s16, 0, s17
	v_add_co_u32 v1, s9, v1, s9
	s_delay_alu instid0(VALU_DEP_1) | instskip(SKIP_1) | instid1(VALU_DEP_1)
	s_cmp_lg_u32 s9, 0
	s_addc_u32 s8, s8, s16
	v_readfirstlane_b32 s9, v1
	s_mul_i32 s16, s10, s8
	s_delay_alu instid0(VALU_DEP_1)
	s_mul_hi_u32 s17, s10, s9
	s_mul_i32 s11, s11, s9
	s_add_i32 s16, s17, s16
	s_mul_i32 s10, s10, s9
	s_add_i32 s16, s16, s11
	s_mul_hi_u32 s17, s8, s10
	s_mul_i32 s18, s8, s10
	s_mul_hi_u32 s10, s9, s10
	s_mul_hi_u32 s19, s9, s16
	s_mul_i32 s9, s9, s16
	s_mul_hi_u32 s11, s8, s16
	s_add_u32 s9, s10, s9
	s_addc_u32 s10, 0, s19
	s_add_u32 s9, s9, s18
	s_mul_i32 s16, s8, s16
	s_addc_u32 s9, s10, s17
	s_addc_u32 s10, s11, 0
	s_add_u32 s9, s9, s16
	s_addc_u32 s10, 0, s10
	v_add_co_u32 v1, s9, v1, s9
	s_delay_alu instid0(VALU_DEP_1) | instskip(SKIP_2) | instid1(SALU_CYCLE_1)
	s_cmp_lg_u32 s9, 0
	s_addc_u32 s16, s8, s10
	s_ashr_i32 s8, s3, 31
	s_add_u32 s10, s12, s8
	s_addc_u32 s11, s3, s8
	v_readfirstlane_b32 s3, v1
	s_mov_b32 s9, s8
	s_delay_alu instid0(SALU_CYCLE_1) | instskip(NEXT) | instid1(SALU_CYCLE_1)
	s_xor_b64 s[10:11], s[10:11], s[8:9]
	s_mul_i32 s18, s10, s16
	s_delay_alu instid0(VALU_DEP_1)
	s_mul_hi_u32 s19, s10, s3
	s_mul_hi_u32 s17, s10, s16
	;; [unrolled: 1-line block ×3, first 2 shown]
	s_mul_i32 s3, s11, s3
	s_add_u32 s18, s19, s18
	s_addc_u32 s17, 0, s17
	s_mul_hi_u32 s21, s11, s16
	s_add_u32 s3, s18, s3
	s_mul_i32 s16, s11, s16
	s_addc_u32 s3, s17, s22
	s_addc_u32 s17, s21, 0
	s_add_u32 s3, s3, s16
	s_addc_u32 s16, 0, s17
	s_mul_i32 s18, s20, s3
	s_add_u32 s17, s3, 1
	v_sub_co_u32 v1, s10, s10, s18
	s_mul_hi_u32 s18, s20, s3
	s_addc_u32 s19, s16, 0
	s_mul_i32 s21, s20, s16
	s_delay_alu instid0(VALU_DEP_1)
	v_sub_co_u32 v2, s22, v1, s20
	s_add_u32 s23, s3, 2
	s_addc_u32 s24, s16, 0
	s_add_i32 s18, s18, s21
	s_cmp_lg_u32 s10, 0
	v_readfirstlane_b32 s10, v2
	s_subb_u32 s11, s11, s18
	s_cmp_lg_u32 s22, 0
	s_subb_u32 s18, s11, 0
	s_delay_alu instid0(VALU_DEP_1) | instskip(SKIP_4) | instid1(SALU_CYCLE_1)
	s_cmp_ge_u32 s10, s20
	s_cselect_b32 s10, -1, 0
	s_cmp_eq_u32 s18, 0
	v_readfirstlane_b32 s18, v1
	s_cselect_b32 s10, s10, -1
	s_cmp_lg_u32 s10, 0
	s_cselect_b32 s10, s23, s17
	s_cselect_b32 s17, s24, s19
	s_cmp_ge_u32 s18, s20
	s_cselect_b32 s18, -1, 0
	s_cmp_eq_u32 s11, 0
	s_cselect_b32 s11, s18, -1
	s_delay_alu instid0(SALU_CYCLE_1) | instskip(SKIP_2) | instid1(SALU_CYCLE_1)
	s_cmp_lg_u32 s11, 0
	s_cselect_b32 s11, s17, s16
	s_cselect_b32 s10, s10, s3
	s_xor_b64 s[10:11], s[10:11], s[8:9]
	s_delay_alu instid0(SALU_CYCLE_1)
	s_sub_u32 s16, s10, s8
	s_load_b128 s[8:11], s[0:1], 0x44
	s_and_not1_b32 vcc_lo, exec_lo, s2
	s_cbranch_vccnz .LBB30_3
.LBB30_2:
	v_cvt_f32_u32_e32 v1, s20
	s_sub_i32 s3, 0, s20
	s_delay_alu instid0(VALU_DEP_1) | instskip(SKIP_2) | instid1(VALU_DEP_1)
	v_rcp_iflag_f32_e32 v1, v1
	s_waitcnt_depctr 0xfff
	v_mul_f32_e32 v1, 0x4f7ffffe, v1
	v_cvt_u32_f32_e32 v1, v1
	s_delay_alu instid0(VALU_DEP_1) | instskip(NEXT) | instid1(VALU_DEP_1)
	v_readfirstlane_b32 s2, v1
	s_mul_i32 s3, s3, s2
	s_delay_alu instid0(SALU_CYCLE_1) | instskip(NEXT) | instid1(SALU_CYCLE_1)
	s_mul_hi_u32 s3, s2, s3
	s_add_i32 s2, s2, s3
	s_delay_alu instid0(SALU_CYCLE_1) | instskip(NEXT) | instid1(SALU_CYCLE_1)
	s_mul_hi_u32 s2, s12, s2
	s_mul_i32 s3, s2, s20
	s_waitcnt lgkmcnt(0)
	s_add_i32 s11, s2, 1
	s_sub_i32 s3, s12, s3
	s_delay_alu instid0(SALU_CYCLE_1)
	s_sub_i32 s12, s3, s20
	s_cmp_ge_u32 s3, s20
	s_cselect_b32 s2, s11, s2
	s_cselect_b32 s3, s12, s3
	s_add_i32 s11, s2, 1
	s_cmp_ge_u32 s3, s20
	s_cselect_b32 s16, s11, s2
.LBB30_3:
	s_waitcnt lgkmcnt(0)
	s_add_i32 s11, s13, 1
	s_mov_b32 s2, 0
	s_mul_hi_i32 s3, s7, s11
	s_mul_i32 s11, s7, s11
	s_cmp_lg_u64 s[2:3], 0
	s_cbranch_scc0 .LBB30_22
; %bb.4:
	v_cvt_f32_ubyte0_e32 v1, 0
	v_cvt_f32_u32_e32 v2, s20
	s_sub_u32 s18, 0, s20
	s_subb_u32 s19, 0, 0
	s_delay_alu instid0(VALU_DEP_1) | instskip(NEXT) | instid1(VALU_DEP_1)
	v_fmamk_f32 v1, v1, 0x4f800000, v2
	v_rcp_f32_e32 v1, v1
	s_waitcnt_depctr 0xfff
	v_mul_f32_e32 v1, 0x5f7ffffc, v1
	s_delay_alu instid0(VALU_DEP_1) | instskip(NEXT) | instid1(VALU_DEP_1)
	v_mul_f32_e32 v2, 0x2f800000, v1
	v_trunc_f32_e32 v2, v2
	s_delay_alu instid0(VALU_DEP_1) | instskip(SKIP_1) | instid1(VALU_DEP_2)
	v_fmamk_f32 v1, v2, 0xcf800000, v1
	v_cvt_u32_f32_e32 v2, v2
	v_cvt_u32_f32_e32 v1, v1
	s_delay_alu instid0(VALU_DEP_2) | instskip(NEXT) | instid1(VALU_DEP_2)
	v_readfirstlane_b32 s12, v2
	v_readfirstlane_b32 s17, v1
	s_delay_alu instid0(VALU_DEP_2) | instskip(NEXT) | instid1(VALU_DEP_1)
	s_mul_i32 s21, s18, s12
	s_mul_hi_u32 s23, s18, s17
	s_mul_i32 s22, s19, s17
	s_add_i32 s21, s23, s21
	s_mul_i32 s24, s18, s17
	s_add_i32 s21, s21, s22
	s_mul_hi_u32 s23, s17, s24
	s_mul_hi_u32 s25, s12, s24
	s_mul_i32 s22, s12, s24
	s_mul_hi_u32 s24, s17, s21
	s_mul_i32 s17, s17, s21
	s_mul_hi_u32 s26, s12, s21
	s_add_u32 s17, s23, s17
	s_addc_u32 s23, 0, s24
	s_add_u32 s17, s17, s22
	s_mul_i32 s21, s12, s21
	s_addc_u32 s17, s23, s25
	s_addc_u32 s22, s26, 0
	s_add_u32 s17, s17, s21
	s_addc_u32 s21, 0, s22
	v_add_co_u32 v1, s17, v1, s17
	s_delay_alu instid0(VALU_DEP_1) | instskip(SKIP_1) | instid1(VALU_DEP_1)
	s_cmp_lg_u32 s17, 0
	s_addc_u32 s12, s12, s21
	v_readfirstlane_b32 s17, v1
	s_mul_i32 s21, s18, s12
	s_delay_alu instid0(VALU_DEP_1)
	s_mul_hi_u32 s22, s18, s17
	s_mul_i32 s19, s19, s17
	s_add_i32 s21, s22, s21
	s_mul_i32 s18, s18, s17
	s_add_i32 s21, s21, s19
	s_mul_hi_u32 s22, s12, s18
	s_mul_i32 s23, s12, s18
	s_mul_hi_u32 s18, s17, s18
	s_mul_hi_u32 s24, s17, s21
	s_mul_i32 s17, s17, s21
	s_mul_hi_u32 s19, s12, s21
	s_add_u32 s17, s18, s17
	s_addc_u32 s18, 0, s24
	s_add_u32 s17, s17, s23
	s_mul_i32 s21, s12, s21
	s_addc_u32 s17, s18, s22
	s_addc_u32 s18, s19, 0
	s_add_u32 s17, s17, s21
	s_addc_u32 s18, 0, s18
	v_add_co_u32 v1, s17, v1, s17
	s_delay_alu instid0(VALU_DEP_1) | instskip(SKIP_2) | instid1(SALU_CYCLE_1)
	s_cmp_lg_u32 s17, 0
	s_addc_u32 s12, s12, s18
	s_ashr_i32 s18, s3, 31
	s_add_u32 s22, s11, s18
	s_addc_u32 s23, s3, s18
	v_readfirstlane_b32 s3, v1
	s_mov_b32 s19, s18
	s_delay_alu instid0(SALU_CYCLE_1) | instskip(NEXT) | instid1(SALU_CYCLE_1)
	s_xor_b64 s[22:23], s[22:23], s[18:19]
	s_mul_i32 s21, s22, s12
	s_delay_alu instid0(VALU_DEP_1)
	s_mul_hi_u32 s24, s22, s3
	s_mul_hi_u32 s17, s22, s12
	;; [unrolled: 1-line block ×3, first 2 shown]
	s_mul_i32 s3, s23, s3
	s_add_u32 s21, s24, s21
	s_addc_u32 s17, 0, s17
	s_mul_hi_u32 s25, s23, s12
	s_add_u32 s3, s21, s3
	s_mul_i32 s12, s23, s12
	s_addc_u32 s3, s17, s26
	s_addc_u32 s17, s25, 0
	s_add_u32 s3, s3, s12
	s_addc_u32 s12, 0, s17
	s_mul_i32 s21, s20, s3
	s_add_u32 s17, s3, 1
	v_sub_co_u32 v1, s21, s22, s21
	s_mul_hi_u32 s22, s20, s3
	s_addc_u32 s24, s12, 0
	s_mul_i32 s25, s20, s12
	s_delay_alu instid0(VALU_DEP_1)
	v_sub_co_u32 v2, s26, v1, s20
	s_add_u32 s27, s3, 2
	s_addc_u32 s28, s12, 0
	s_add_i32 s22, s22, s25
	s_cmp_lg_u32 s21, 0
	v_readfirstlane_b32 s21, v2
	s_subb_u32 s22, s23, s22
	s_cmp_lg_u32 s26, 0
	s_subb_u32 s23, s22, 0
	s_delay_alu instid0(VALU_DEP_1) | instskip(SKIP_4) | instid1(SALU_CYCLE_1)
	s_cmp_ge_u32 s21, s20
	s_cselect_b32 s21, -1, 0
	s_cmp_eq_u32 s23, 0
	v_readfirstlane_b32 s23, v1
	s_cselect_b32 s21, s21, -1
	s_cmp_lg_u32 s21, 0
	s_cselect_b32 s17, s27, s17
	s_cselect_b32 s21, s28, s24
	s_cmp_ge_u32 s23, s20
	s_cselect_b32 s23, -1, 0
	s_cmp_eq_u32 s22, 0
	s_cselect_b32 s22, s23, -1
	s_delay_alu instid0(SALU_CYCLE_1) | instskip(SKIP_2) | instid1(SALU_CYCLE_1)
	s_cmp_lg_u32 s22, 0
	s_cselect_b32 s23, s21, s12
	s_cselect_b32 s22, s17, s3
	s_xor_b64 s[22:23], s[22:23], s[18:19]
	s_delay_alu instid0(SALU_CYCLE_1)
	s_sub_u32 s18, s22, s18
	s_and_not1_b32 vcc_lo, exec_lo, s2
	s_cbranch_vccnz .LBB30_6
.LBB30_5:
	v_cvt_f32_u32_e32 v1, s20
	s_sub_i32 s3, 0, s20
	s_delay_alu instid0(VALU_DEP_1) | instskip(SKIP_2) | instid1(VALU_DEP_1)
	v_rcp_iflag_f32_e32 v1, v1
	s_waitcnt_depctr 0xfff
	v_mul_f32_e32 v1, 0x4f7ffffe, v1
	v_cvt_u32_f32_e32 v1, v1
	s_delay_alu instid0(VALU_DEP_1) | instskip(NEXT) | instid1(VALU_DEP_1)
	v_readfirstlane_b32 s2, v1
	s_mul_i32 s3, s3, s2
	s_delay_alu instid0(SALU_CYCLE_1) | instskip(NEXT) | instid1(SALU_CYCLE_1)
	s_mul_hi_u32 s3, s2, s3
	s_add_i32 s2, s2, s3
	s_delay_alu instid0(SALU_CYCLE_1) | instskip(NEXT) | instid1(SALU_CYCLE_1)
	s_mul_hi_u32 s2, s11, s2
	s_mul_i32 s3, s2, s20
	s_delay_alu instid0(SALU_CYCLE_1)
	s_sub_i32 s3, s11, s3
	s_add_i32 s11, s2, 1
	s_sub_i32 s12, s3, s20
	s_cmp_ge_u32 s3, s20
	s_cselect_b32 s2, s11, s2
	s_cselect_b32 s3, s12, s3
	s_add_i32 s11, s2, 1
	s_cmp_ge_u32 s3, s20
	s_cselect_b32 s18, s11, s2
.LBB30_6:
	s_delay_alu instid0(SALU_CYCLE_1) | instskip(SKIP_3) | instid1(SALU_CYCLE_1)
	s_cmp_eq_u32 s16, s18
	s_mul_hi_u32 s2, s16, s8
	s_cselect_b32 s3, -1, 0
	s_add_i32 s2, s2, s16
	s_lshr_b32 s11, s2, s9
	s_delay_alu instid0(SALU_CYCLE_1) | instskip(NEXT) | instid1(SALU_CYCLE_1)
	s_mul_i32 s2, s11, s10
	s_cmp_eq_u32 s2, s16
	s_mul_hi_u32 s2, s18, s8
	s_cselect_b32 s12, -1, 0
	s_add_i32 s2, s2, s18
	s_delay_alu instid0(SALU_CYCLE_1) | instskip(NEXT) | instid1(SALU_CYCLE_1)
	s_lshr_b32 s2, s2, s9
	s_cmp_eq_u32 s11, s2
	s_mul_i32 s2, s2, s10
	s_cselect_b32 s17, -1, 0
	s_cmp_lg_u32 s2, s18
	s_cselect_b32 s2, -1, 0
	s_or_b32 s3, s3, s12
	s_and_b32 s2, s17, s2
	s_delay_alu instid0(SALU_CYCLE_1) | instskip(NEXT) | instid1(SALU_CYCLE_1)
	s_or_b32 s2, s3, s2
	s_and_b32 vcc_lo, exec_lo, s2
	s_cbranch_vccnz .LBB30_24
; %bb.7:
	s_load_b256 s[24:31], s[0:1], 0x20
	s_waitcnt lgkmcnt(0)
	s_mul_hi_u32 s2, s16, s24
	s_delay_alu instid0(SALU_CYCLE_1) | instskip(NEXT) | instid1(SALU_CYCLE_1)
	s_add_i32 s2, s2, s16
	s_lshr_b32 s18, s2, s25
	s_load_b32 s2, s[0:1], 0x40
	s_mul_i32 s3, s18, s26
	s_delay_alu instid0(SALU_CYCLE_1) | instskip(NEXT) | instid1(SALU_CYCLE_1)
	s_sub_i32 s3, s16, s3
	s_mul_hi_u32 s12, s3, s27
	s_delay_alu instid0(SALU_CYCLE_1) | instskip(NEXT) | instid1(SALU_CYCLE_1)
	s_add_i32 s12, s3, s12
	s_lshr_b32 s21, s12, s28
	s_delay_alu instid0(SALU_CYCLE_1) | instskip(NEXT) | instid1(SALU_CYCLE_1)
	s_mul_i32 s12, s21, s29
	s_sub_i32 s3, s3, s12
	s_delay_alu instid0(SALU_CYCLE_1) | instskip(NEXT) | instid1(SALU_CYCLE_1)
	s_mul_hi_u32 s12, s3, s30
	s_add_i32 s12, s3, s12
	s_delay_alu instid0(SALU_CYCLE_1) | instskip(SKIP_3) | instid1(SALU_CYCLE_1)
	s_lshr_b32 s22, s12, s31
	s_mov_b32 s12, 0
	s_waitcnt lgkmcnt(0)
	s_mul_i32 s2, s22, s2
	s_sub_i32 s2, s3, s2
	s_delay_alu instid0(SALU_CYCLE_1) | instskip(NEXT) | instid1(SALU_CYCLE_1)
	s_mul_hi_u32 s3, s2, s8
	s_add_i32 s2, s2, s3
	s_delay_alu instid0(SALU_CYCLE_1) | instskip(NEXT) | instid1(SALU_CYCLE_1)
	s_lshr_b32 s23, s2, s9
	s_lshl_b32 s2, s23, 1
	s_delay_alu instid0(SALU_CYCLE_1) | instskip(NEXT) | instid1(SALU_CYCLE_1)
	s_add_i32 s2, s2, s14
	s_cmp_lt_i32 s2, s4
	s_cselect_b32 s2, -1, 0
	s_add_i32 s3, s22, s15
	s_delay_alu instid0(SALU_CYCLE_1) | instskip(SKIP_1) | instid1(SALU_CYCLE_1)
	s_cmp_lt_i32 s3, s6
	s_cselect_b32 s3, -1, 0
	s_and_b32 s2, s2, s3
	s_delay_alu instid0(SALU_CYCLE_1)
	s_and_not1_b32 vcc_lo, exec_lo, s2
	s_cbranch_vccnz .LBB30_24
; %bb.8:
	s_load_b128 s[0:3], s[0:1], 0x0
	s_lshl_b32 s24, s20, 3
	s_mov_b32 s25, s12
	s_add_i32 s17, s14, s15
	s_lshl_b64 s[24:25], s[24:25], 2
	s_mul_i32 s4, s18, s4
	s_mul_i32 s21, s21, s6
	v_cvt_f32_ubyte0_e32 v4, 0
	v_cvt_f32_u32_e32 v5, s20
	s_waitcnt lgkmcnt(0)
	s_add_u32 s18, s2, s24
	s_addc_u32 s19, s3, s25
	s_add_i32 s4, s4, s14
	s_delay_alu instid0(SALU_CYCLE_1) | instskip(SKIP_4) | instid1(SALU_CYCLE_1)
	s_mul_i32 s4, s4, s5
	s_mul_i32 s5, s5, s23
	s_add_i32 s4, s4, s15
	s_lshl_b32 s5, s5, 9
	s_add_i32 s4, s4, s21
	s_add_i32 s4, s4, s22
	s_delay_alu instid0(SALU_CYCLE_1) | instskip(NEXT) | instid1(SALU_CYCLE_1)
	s_lshl_b32 s4, s4, 8
	s_add_i32 s5, s5, s4
	s_delay_alu instid0(SALU_CYCLE_1) | instskip(SKIP_1) | instid1(VALU_DEP_2)
	v_or_b32_e32 v1, s5, v0
	v_lshl_or_b32 v0, s17, 8, v0
	v_ashrrev_i32_e32 v2, 31, v1
	s_delay_alu instid0(VALU_DEP_1) | instskip(NEXT) | instid1(VALU_DEP_1)
	v_lshlrev_b64 v[1:2], 2, v[1:2]
	v_add_co_u32 v1, vcc_lo, s0, v1
	s_delay_alu instid0(VALU_DEP_2) | instskip(SKIP_1) | instid1(SALU_CYCLE_1)
	v_add_co_ci_u32_e32 v2, vcc_lo, s1, v2, vcc_lo
	s_lshl_b32 s0, s13, 1
	s_add_i32 s0, s0, s17
	global_load_b32 v3, v[1:2], off
	s_ashr_i32 s1, s0, 31
	s_delay_alu instid0(SALU_CYCLE_1) | instskip(NEXT) | instid1(SALU_CYCLE_1)
	s_lshl_b64 s[0:1], s[0:1], 3
	s_add_u32 s0, s2, s0
	s_addc_u32 s1, s3, s1
	s_add_i32 s14, s13, -1
	s_load_b64 s[0:1], s[0:1], 0x0
	v_fmac_f32_e32 v5, 0x4f800000, v4
	s_sub_i32 s6, 0, s20
	s_waitcnt lgkmcnt(0)
	v_mov_b32_e32 v8, s0
	s_delay_alu instid0(VALU_DEP_2) | instskip(SKIP_2) | instid1(VALU_DEP_2)
	v_rcp_f32_e32 v4, v5
	v_cvt_f32_u32_e32 v5, s20
	v_mov_b32_e32 v7, s1
	v_rcp_iflag_f32_e32 v5, v5
	s_waitcnt_depctr 0xfff
	v_mul_f32_e32 v4, 0x5f7ffffc, v4
	s_delay_alu instid0(VALU_DEP_1) | instskip(SKIP_1) | instid1(VALU_DEP_2)
	v_mul_f32_e32 v6, 0x2f800000, v4
	v_mul_f32_e32 v9, 0x4f7ffffe, v5
	v_trunc_f32_e32 v6, v6
	s_delay_alu instid0(VALU_DEP_1) | instskip(SKIP_1) | instid1(VALU_DEP_4)
	v_fmac_f32_e32 v4, 0xcf800000, v6
	v_cvt_u32_f32_e32 v5, v6
	v_cvt_u32_f32_e32 v6, v9
	s_delay_alu instid0(VALU_DEP_3)
	v_cvt_u32_f32_e32 v4, v4
.LBB30_9:                               ; =>This Inner Loop Header: Depth=1
	s_mul_hi_i32 s13, s14, s7
	s_mul_i32 s4, s14, s7
	s_cmp_lg_u64 s[12:13], 0
	s_mov_b32 s5, -1
                                        ; implicit-def: $sgpr0_sgpr1
	s_cbranch_scc0 .LBB30_11
; %bb.10:                               ;   in Loop: Header=BB30_9 Depth=1
	v_readfirstlane_b32 s0, v4
	v_readfirstlane_b32 s1, v5
	s_sub_u32 s5, 0, s20
	s_subb_u32 s15, 0, 0
	s_delay_alu instid0(VALU_DEP_2) | instskip(NEXT) | instid1(VALU_DEP_1)
	s_mul_hi_u32 s21, s5, s0
	s_mul_i32 s22, s5, s1
	s_mul_i32 s23, s15, s0
	s_add_i32 s21, s21, s22
	s_mul_i32 s22, s5, s0
	s_add_i32 s21, s21, s23
	s_mul_hi_u32 s23, s0, s22
	s_mul_i32 s24, s0, s21
	s_mul_hi_u32 s0, s0, s21
	s_add_u32 s23, s23, s24
	s_mul_i32 s25, s1, s22
	s_addc_u32 s0, 0, s0
	s_mul_hi_u32 s22, s1, s22
	s_mul_hi_u32 s24, s1, s21
	s_add_u32 s23, s23, s25
	s_addc_u32 s0, s0, s22
	s_mul_i32 s21, s1, s21
	s_addc_u32 s22, s24, 0
	s_add_u32 s0, s0, s21
	s_addc_u32 s21, 0, s22
	v_add_co_u32 v9, s0, v4, s0
	s_delay_alu instid0(VALU_DEP_1) | instskip(SKIP_1) | instid1(VALU_DEP_1)
	s_cmp_lg_u32 s0, 0
	s_addc_u32 s1, s1, s21
	v_readfirstlane_b32 s0, v9
	s_mul_i32 s21, s5, s1
	s_delay_alu instid0(VALU_DEP_1)
	s_mul_hi_u32 s22, s5, s0
	s_mul_i32 s15, s15, s0
	s_add_i32 s21, s22, s21
	s_mul_i32 s5, s5, s0
	s_add_i32 s21, s21, s15
	s_mul_hi_u32 s15, s1, s5
	s_mul_i32 s23, s1, s5
	s_mul_i32 s24, s0, s21
	s_mul_hi_u32 s5, s0, s5
	s_mul_hi_u32 s0, s0, s21
	s_add_u32 s5, s5, s24
	s_addc_u32 s0, 0, s0
	s_mul_hi_u32 s22, s1, s21
	s_add_u32 s5, s5, s23
	s_addc_u32 s0, s0, s15
	s_mul_i32 s5, s1, s21
	s_addc_u32 s15, s22, 0
	s_add_u32 s0, s0, s5
	s_addc_u32 s5, 0, s15
	v_add_co_u32 v9, s0, v9, s0
	s_delay_alu instid0(VALU_DEP_1) | instskip(SKIP_2) | instid1(SALU_CYCLE_1)
	s_cmp_lg_u32 s0, 0
	s_addc_u32 s5, s1, s5
	s_ashr_i32 s0, s13, 31
	s_add_u32 s22, s4, s0
	s_addc_u32 s23, s13, s0
	v_readfirstlane_b32 s13, v9
	s_mov_b32 s1, s0
	s_delay_alu instid0(SALU_CYCLE_1) | instskip(NEXT) | instid1(SALU_CYCLE_1)
	s_xor_b64 s[22:23], s[22:23], s[0:1]
	s_mul_i32 s15, s22, s5
	s_delay_alu instid0(VALU_DEP_1)
	s_mul_hi_u32 s21, s22, s13
	s_mul_hi_u32 s24, s22, s5
	s_add_u32 s15, s21, s15
	s_mul_i32 s25, s23, s13
	s_addc_u32 s21, 0, s24
	s_mul_hi_u32 s13, s23, s13
	s_mul_hi_u32 s24, s23, s5
	s_add_u32 s15, s15, s25
	s_addc_u32 s13, s21, s13
	s_mul_i32 s5, s23, s5
	s_addc_u32 s15, s24, 0
	s_add_u32 s5, s13, s5
	s_addc_u32 s13, 0, s15
	s_mul_i32 s21, s20, s5
	s_add_u32 s15, s5, 1
	v_sub_co_u32 v9, s21, s22, s21
	s_addc_u32 s22, s13, 0
	s_mul_i32 s25, s20, s13
	s_mul_hi_u32 s27, s20, s5
	s_delay_alu instid0(VALU_DEP_1)
	v_sub_co_u32 v10, s26, v9, s20
	s_add_u32 s24, s5, 2
	s_addc_u32 s28, s13, 0
	s_add_i32 s27, s27, s25
	s_cmp_lg_u32 s21, 0
	v_readfirstlane_b32 s21, v10
	s_subb_u32 s23, s23, s27
	s_cmp_lg_u32 s26, 0
	s_subb_u32 s25, s23, 0
	s_delay_alu instid0(VALU_DEP_1) | instskip(SKIP_4) | instid1(SALU_CYCLE_1)
	s_cmp_ge_u32 s21, s20
	s_cselect_b32 s21, -1, 0
	s_cmp_eq_u32 s25, 0
	v_readfirstlane_b32 s25, v9
	s_cselect_b32 s21, s21, -1
	s_cmp_lg_u32 s21, 0
	s_cselect_b32 s15, s24, s15
	s_cselect_b32 s21, s28, s22
	s_cmp_ge_u32 s25, s20
	s_cselect_b32 s22, -1, 0
	s_cmp_eq_u32 s23, 0
	s_cselect_b32 s22, s22, -1
	s_delay_alu instid0(SALU_CYCLE_1) | instskip(SKIP_4) | instid1(SALU_CYCLE_1)
	s_cmp_lg_u32 s22, 0
	s_cselect_b32 s23, s21, s13
	s_cselect_b32 s22, s15, s5
	s_mov_b32 s5, 0
	s_xor_b64 s[22:23], s[22:23], s[0:1]
	s_sub_u32 s0, s22, s0
.LBB30_11:                              ;   in Loop: Header=BB30_9 Depth=1
	s_and_not1_b32 vcc_lo, exec_lo, s5
	s_cbranch_vccnz .LBB30_13
; %bb.12:                               ;   in Loop: Header=BB30_9 Depth=1
	v_readfirstlane_b32 s0, v6
	s_delay_alu instid0(VALU_DEP_1) | instskip(NEXT) | instid1(SALU_CYCLE_1)
	s_mul_i32 s1, s6, s0
	s_mul_hi_u32 s1, s0, s1
	s_delay_alu instid0(SALU_CYCLE_1) | instskip(NEXT) | instid1(SALU_CYCLE_1)
	s_add_i32 s0, s0, s1
	s_mul_hi_u32 s0, s4, s0
	s_delay_alu instid0(SALU_CYCLE_1) | instskip(NEXT) | instid1(SALU_CYCLE_1)
	s_mul_i32 s1, s0, s20
	s_sub_i32 s1, s4, s1
	s_add_i32 s4, s0, 1
	s_sub_i32 s5, s1, s20
	s_cmp_ge_u32 s1, s20
	s_cselect_b32 s0, s4, s0
	s_cselect_b32 s1, s5, s1
	s_add_i32 s4, s0, 1
	s_cmp_ge_u32 s1, s20
	s_cselect_b32 s0, s4, s0
.LBB30_13:                              ;   in Loop: Header=BB30_9 Depth=1
	s_delay_alu instid0(SALU_CYCLE_1)
	s_cmp_lg_u32 s16, s0
	s_cbranch_scc0 .LBB30_17
; %bb.14:                               ;   in Loop: Header=BB30_9 Depth=1
	s_add_i32 s1, s14, s20
	s_mov_b32 s5, s12
	s_lshl_b32 s1, s1, 1
	s_mov_b32 s15, s16
	s_add_i32 s4, s1, s17
	s_mul_hi_u32 s1, s0, s8
	s_lshl_b64 s[4:5], s[4:5], 3
	s_delay_alu instid0(SALU_CYCLE_1) | instskip(SKIP_2) | instid1(SALU_CYCLE_1)
	s_add_u32 s4, s2, s4
	s_addc_u32 s5, s3, s5
	s_add_i32 s1, s1, s0
	s_lshr_b32 s1, s1, s9
	s_delay_alu instid0(SALU_CYCLE_1) | instskip(NEXT) | instid1(SALU_CYCLE_1)
	s_mul_i32 s13, s1, s10
	s_cmp_eq_u32 s13, s0
	s_cselect_b32 s13, -1, 0
	s_cmp_lt_u32 s1, s11
	s_cselect_b32 s1, -1, 0
	s_delay_alu instid0(SALU_CYCLE_1)
	s_or_b32 s1, s1, s13
	s_mov_b32 s13, -1
	s_and_b32 vcc_lo, exec_lo, s1
	s_mov_b32 s1, s14
	s_cbranch_vccnz .LBB30_16
; %bb.15:                               ;   in Loop: Header=BB30_9 Depth=1
	s_add_i32 s1, s14, -1
	s_mov_b32 s13, 0
	s_mov_b32 s15, s0
.LBB30_16:                              ;   in Loop: Header=BB30_9 Depth=1
	v_lshl_add_u32 v9, s14, 9, v0
	s_load_b64 s[4:5], s[4:5], 0x0
	s_delay_alu instid0(VALU_DEP_1) | instskip(NEXT) | instid1(VALU_DEP_1)
	v_ashrrev_i32_e32 v10, 31, v9
	v_lshlrev_b64 v[9:10], 2, v[9:10]
	s_delay_alu instid0(VALU_DEP_1) | instskip(NEXT) | instid1(VALU_DEP_2)
	v_add_co_u32 v9, vcc_lo, s18, v9
	v_add_co_ci_u32_e32 v10, vcc_lo, s19, v10, vcc_lo
	s_waitcnt lgkmcnt(0)
	v_max_f32_e64 v11, s4, s4
	global_load_b32 v10, v[9:10], off
	v_max_f32_e32 v9, v8, v8
	s_delay_alu instid0(VALU_DEP_1) | instskip(NEXT) | instid1(VALU_DEP_1)
	v_max_f32_e32 v9, v9, v11
	v_sub_f32_e32 v12, v8, v9
	s_delay_alu instid0(VALU_DEP_1) | instskip(NEXT) | instid1(VALU_DEP_1)
	v_dual_mul_f32 v14, 0x3fb8aa3b, v12 :: v_dual_sub_f32 v11, s4, v9
	v_rndne_f32_e32 v18, v14
	s_delay_alu instid0(VALU_DEP_2) | instskip(SKIP_2) | instid1(VALU_DEP_4)
	v_mul_f32_e32 v13, 0x3fb8aa3b, v11
	v_fma_f32 v17, 0x3fb8aa3b, v12, -v14
	v_cmp_ngt_f32_e32 vcc_lo, 0xc2ce8ed0, v11
	v_sub_f32_e32 v14, v14, v18
	s_delay_alu instid0(VALU_DEP_4) | instskip(SKIP_2) | instid1(VALU_DEP_3)
	v_fma_f32 v15, 0x3fb8aa3b, v11, -v13
	v_rndne_f32_e32 v16, v13
	v_fmac_f32_e32 v17, 0x32a5705f, v12
	v_fmac_f32_e32 v15, 0x32a5705f, v11
	s_delay_alu instid0(VALU_DEP_2) | instskip(NEXT) | instid1(VALU_DEP_1)
	v_dual_sub_f32 v13, v13, v16 :: v_dual_add_f32 v14, v14, v17
	v_add_f32_e32 v13, v13, v15
	s_delay_alu instid0(VALU_DEP_2) | instskip(SKIP_2) | instid1(VALU_DEP_3)
	v_exp_f32_e32 v14, v14
	v_cvt_i32_f32_e32 v15, v16
	v_cvt_i32_f32_e32 v16, v18
	v_exp_f32_e32 v13, v13
	s_waitcnt_depctr 0xfff
	v_ldexp_f32 v14, v14, v16
	v_ldexp_f32 v13, v13, v15
	s_delay_alu instid0(VALU_DEP_1) | instskip(SKIP_1) | instid1(VALU_DEP_4)
	v_cndmask_b32_e32 v13, 0, v13, vcc_lo
	v_cmp_ngt_f32_e32 vcc_lo, 0xc2ce8ed0, v12
	v_cndmask_b32_e32 v14, 0, v14, vcc_lo
	v_cmp_nlt_f32_e32 vcc_lo, 0x42b17218, v11
	s_delay_alu instid0(VALU_DEP_4) | instskip(SKIP_1) | instid1(VALU_DEP_4)
	v_cndmask_b32_e32 v13, 0x7f800000, v13, vcc_lo
	v_cmp_nlt_f32_e32 vcc_lo, 0x42b17218, v12
	v_cndmask_b32_e32 v14, 0x7f800000, v14, vcc_lo
	v_cmp_le_f32_e32 vcc_lo, 0xc1a00000, v11
	s_delay_alu instid0(VALU_DEP_4) | instskip(SKIP_1) | instid1(VALU_DEP_4)
	v_cndmask_b32_e32 v11, 0, v13, vcc_lo
	v_cmp_le_f32_e32 vcc_lo, 0xc1a00000, v12
	v_cndmask_b32_e32 v12, 0, v14, vcc_lo
	s_waitcnt vmcnt(0)
	s_delay_alu instid0(VALU_DEP_3) | instskip(NEXT) | instid1(VALU_DEP_1)
	v_mul_f32_e32 v10, v10, v11
	v_dual_mul_f32 v11, s5, v11 :: v_dual_fmac_f32 v10, v3, v12
	s_delay_alu instid0(VALU_DEP_1)
	v_fmac_f32_e32 v11, v7, v12
	s_cbranch_execz .LBB30_18
	s_branch .LBB30_19
.LBB30_17:                              ;   in Loop: Header=BB30_9 Depth=1
                                        ; implicit-def: $sgpr13
                                        ; implicit-def: $vgpr10
                                        ; implicit-def: $vgpr9
                                        ; implicit-def: $vgpr11
                                        ; implicit-def: $sgpr1
                                        ; implicit-def: $sgpr15
.LBB30_18:                              ;   in Loop: Header=BB30_9 Depth=1
	v_mov_b32_e32 v11, v7
	s_waitcnt vmcnt(0)
	v_dual_mov_b32 v9, v8 :: v_dual_mov_b32 v10, v3
	s_add_i32 s1, s14, -1
	s_mov_b32 s13, 0
	s_mov_b32 s15, s16
.LBB30_19:                              ;   in Loop: Header=BB30_9 Depth=1
	s_and_not1_b32 vcc_lo, exec_lo, s13
	s_cbranch_vccz .LBB30_23
; %bb.20:                               ;   in Loop: Header=BB30_9 Depth=1
	v_dual_mov_b32 v7, v11 :: v_dual_mov_b32 v8, v9
	s_waitcnt vmcnt(0)
	v_mov_b32_e32 v3, v10
	s_mov_b32 s16, s15
	s_mov_b32 s14, s1
	s_branch .LBB30_9
.LBB30_21:
                                        ; implicit-def: $sgpr16_sgpr17
	s_load_b128 s[8:11], s[0:1], 0x44
	s_branch .LBB30_2
.LBB30_22:
                                        ; implicit-def: $sgpr18_sgpr19
	s_branch .LBB30_5
.LBB30_23:
	v_div_scale_f32 v0, null, v11, v11, v10
	s_waitcnt vmcnt(0)
	s_delay_alu instid0(VALU_DEP_1) | instskip(SKIP_2) | instid1(VALU_DEP_1)
	v_rcp_f32_e32 v3, v0
	s_waitcnt_depctr 0xfff
	v_fma_f32 v4, -v0, v3, 1.0
	v_fmac_f32_e32 v3, v4, v3
	v_div_scale_f32 v4, vcc_lo, v10, v11, v10
	s_delay_alu instid0(VALU_DEP_1) | instskip(NEXT) | instid1(VALU_DEP_1)
	v_mul_f32_e32 v5, v4, v3
	v_fma_f32 v6, -v0, v5, v4
	s_delay_alu instid0(VALU_DEP_1) | instskip(NEXT) | instid1(VALU_DEP_1)
	v_fmac_f32_e32 v5, v6, v3
	v_fma_f32 v0, -v0, v5, v4
	s_delay_alu instid0(VALU_DEP_1) | instskip(NEXT) | instid1(VALU_DEP_1)
	v_div_fmas_f32 v0, v0, v3, v5
	v_div_fixup_f32 v0, v0, v11, v10
	global_store_b32 v[1:2], v0, off
.LBB30_24:
	s_nop 0
	s_sendmsg sendmsg(MSG_DEALLOC_VGPRS)
	s_endpgm
	.section	.rodata,"a",@progbits
	.p2align	6, 0x0
	.amdhsa_kernel _ZL33flash_attn_stream_k_fixup_generalILi256ELi2ELi1EEvPfPK15HIP_vector_typeIfLj2EEiiiiS1_IjLj3EES5_S5_S5_
		.amdhsa_group_segment_fixed_size 0
		.amdhsa_private_segment_fixed_size 0
		.amdhsa_kernarg_size 336
		.amdhsa_user_sgpr_count 13
		.amdhsa_user_sgpr_dispatch_ptr 0
		.amdhsa_user_sgpr_queue_ptr 0
		.amdhsa_user_sgpr_kernarg_segment_ptr 1
		.amdhsa_user_sgpr_dispatch_id 0
		.amdhsa_user_sgpr_private_segment_size 0
		.amdhsa_wavefront_size32 1
		.amdhsa_uses_dynamic_stack 0
		.amdhsa_enable_private_segment 0
		.amdhsa_system_sgpr_workgroup_id_x 1
		.amdhsa_system_sgpr_workgroup_id_y 1
		.amdhsa_system_sgpr_workgroup_id_z 1
		.amdhsa_system_sgpr_workgroup_info 0
		.amdhsa_system_vgpr_workitem_id 0
		.amdhsa_next_free_vgpr 19
		.amdhsa_next_free_sgpr 32
		.amdhsa_reserve_vcc 1
		.amdhsa_float_round_mode_32 0
		.amdhsa_float_round_mode_16_64 0
		.amdhsa_float_denorm_mode_32 3
		.amdhsa_float_denorm_mode_16_64 3
		.amdhsa_dx10_clamp 1
		.amdhsa_ieee_mode 1
		.amdhsa_fp16_overflow 0
		.amdhsa_workgroup_processor_mode 1
		.amdhsa_memory_ordered 1
		.amdhsa_forward_progress 0
		.amdhsa_shared_vgpr_count 0
		.amdhsa_exception_fp_ieee_invalid_op 0
		.amdhsa_exception_fp_denorm_src 0
		.amdhsa_exception_fp_ieee_div_zero 0
		.amdhsa_exception_fp_ieee_overflow 0
		.amdhsa_exception_fp_ieee_underflow 0
		.amdhsa_exception_fp_ieee_inexact 0
		.amdhsa_exception_int_div_zero 0
	.end_amdhsa_kernel
	.section	.text._ZL33flash_attn_stream_k_fixup_generalILi256ELi2ELi1EEvPfPK15HIP_vector_typeIfLj2EEiiiiS1_IjLj3EES5_S5_S5_,"axG",@progbits,_ZL33flash_attn_stream_k_fixup_generalILi256ELi2ELi1EEvPfPK15HIP_vector_typeIfLj2EEiiiiS1_IjLj3EES5_S5_S5_,comdat
.Lfunc_end30:
	.size	_ZL33flash_attn_stream_k_fixup_generalILi256ELi2ELi1EEvPfPK15HIP_vector_typeIfLj2EEiiiiS1_IjLj3EES5_S5_S5_, .Lfunc_end30-_ZL33flash_attn_stream_k_fixup_generalILi256ELi2ELi1EEvPfPK15HIP_vector_typeIfLj2EEiiiiS1_IjLj3EES5_S5_S5_
                                        ; -- End function
	.section	.AMDGPU.csdata,"",@progbits
; Kernel info:
; codeLenInByte = 3220
; NumSgprs: 34
; NumVgprs: 19
; ScratchSize: 0
; MemoryBound: 0
; FloatMode: 240
; IeeeMode: 1
; LDSByteSize: 0 bytes/workgroup (compile time only)
; SGPRBlocks: 4
; VGPRBlocks: 2
; NumSGPRsForWavesPerEU: 34
; NumVGPRsForWavesPerEU: 19
; Occupancy: 16
; WaveLimiterHint : 0
; COMPUTE_PGM_RSRC2:SCRATCH_EN: 0
; COMPUTE_PGM_RSRC2:USER_SGPR: 13
; COMPUTE_PGM_RSRC2:TRAP_HANDLER: 0
; COMPUTE_PGM_RSRC2:TGID_X_EN: 1
; COMPUTE_PGM_RSRC2:TGID_Y_EN: 1
; COMPUTE_PGM_RSRC2:TGID_Z_EN: 1
; COMPUTE_PGM_RSRC2:TIDIG_COMP_CNT: 0
	.section	.text._ZL18flash_attn_ext_vecILi256ELi2EL9ggml_type6ELS0_3ELb1EEvPKcS2_S2_S2_S2_PKiPfP15HIP_vector_typeIfLj2EEffffjfiS6_IjLj3EEiiiiiiiiiiiliiliiiiil,"axG",@progbits,_ZL18flash_attn_ext_vecILi256ELi2EL9ggml_type6ELS0_3ELb1EEvPKcS2_S2_S2_S2_PKiPfP15HIP_vector_typeIfLj2EEffffjfiS6_IjLj3EEiiiiiiiiiiiliiliiiiil,comdat
	.globl	_ZL18flash_attn_ext_vecILi256ELi2EL9ggml_type6ELS0_3ELb1EEvPKcS2_S2_S2_S2_PKiPfP15HIP_vector_typeIfLj2EEffffjfiS6_IjLj3EEiiiiiiiiiiiliiliiiiil ; -- Begin function _ZL18flash_attn_ext_vecILi256ELi2EL9ggml_type6ELS0_3ELb1EEvPKcS2_S2_S2_S2_PKiPfP15HIP_vector_typeIfLj2EEffffjfiS6_IjLj3EEiiiiiiiiiiiliiliiiiil
	.p2align	8
	.type	_ZL18flash_attn_ext_vecILi256ELi2EL9ggml_type6ELS0_3ELb1EEvPKcS2_S2_S2_S2_PKiPfP15HIP_vector_typeIfLj2EEffffjfiS6_IjLj3EEiiiiiiiiiiiliiliiiiil,@function
_ZL18flash_attn_ext_vecILi256ELi2EL9ggml_type6ELS0_3ELb1EEvPKcS2_S2_S2_S2_PKiPfP15HIP_vector_typeIfLj2EEffffjfiS6_IjLj3EEiiiiiiiiiiiliiliiiiil: ; @_ZL18flash_attn_ext_vecILi256ELi2EL9ggml_type6ELS0_3ELb1EEvPKcS2_S2_S2_S2_PKiPfP15HIP_vector_typeIfLj2EEffffjfiS6_IjLj3EEiiiiiiiiiiiliiliiiiil
; %bb.0:
	s_clause 0x2
	s_load_b64 s[34:35], s[2:3], 0x64
	s_load_b64 s[38:39], s[2:3], 0x80
	;; [unrolled: 1-line block ×3, first 2 shown]
	v_mov_b32_e32 v135, 1.0
	s_load_b64 s[36:37], s[2:3], 0x50
	s_waitcnt lgkmcnt(0)
	v_cvt_f32_u32_e32 v1, s35
	s_sub_i32 s5, 0, s35
	s_delay_alu instid0(VALU_DEP_1) | instskip(SKIP_2) | instid1(VALU_DEP_1)
	v_rcp_iflag_f32_e32 v1, v1
	s_waitcnt_depctr 0xfff
	v_mul_f32_e32 v1, 0x4f7ffffe, v1
	v_cvt_u32_f32_e32 v1, v1
	s_delay_alu instid0(VALU_DEP_1) | instskip(NEXT) | instid1(VALU_DEP_1)
	v_readfirstlane_b32 s4, v1
	s_mul_i32 s5, s5, s4
	s_delay_alu instid0(SALU_CYCLE_1) | instskip(NEXT) | instid1(SALU_CYCLE_1)
	s_mul_hi_u32 s5, s4, s5
	s_add_i32 s4, s4, s5
	s_delay_alu instid0(SALU_CYCLE_1) | instskip(NEXT) | instid1(SALU_CYCLE_1)
	s_mul_hi_u32 s4, s15, s4
	s_mul_i32 s5, s4, s35
	s_add_i32 s6, s4, 1
	s_sub_i32 s5, s15, s5
	s_delay_alu instid0(SALU_CYCLE_1)
	s_sub_i32 s7, s5, s35
	s_cmp_ge_u32 s5, s35
	s_cselect_b32 s4, s6, s4
	s_cselect_b32 s5, s7, s5
	s_add_i32 s6, s4, 1
	s_cmp_ge_u32 s5, s35
	s_cselect_b32 s33, s6, s4
	s_abs_i32 s4, s39
	s_abs_i32 s8, s35
	v_cvt_f32_u32_e32 v1, s4
	s_sub_i32 s6, 0, s4
	s_xor_b32 s7, s35, s39
	s_delay_alu instid0(SALU_CYCLE_1) | instskip(NEXT) | instid1(VALU_DEP_1)
	s_ashr_i32 s7, s7, 31
	v_rcp_iflag_f32_e32 v1, v1
	s_waitcnt_depctr 0xfff
	v_mul_f32_e32 v1, 0x4f7ffffe, v1
	s_delay_alu instid0(VALU_DEP_1) | instskip(NEXT) | instid1(VALU_DEP_1)
	v_cvt_u32_f32_e32 v1, v1
	v_readfirstlane_b32 s5, v1
	s_delay_alu instid0(VALU_DEP_1) | instskip(NEXT) | instid1(SALU_CYCLE_1)
	s_mul_i32 s6, s6, s5
	s_mul_hi_u32 s6, s5, s6
	s_delay_alu instid0(SALU_CYCLE_1) | instskip(SKIP_4) | instid1(SALU_CYCLE_1)
	s_add_i32 s5, s5, s6
	s_mul_i32 s6, s33, s35
	s_mul_hi_u32 s5, s8, s5
	s_sub_i32 s12, s15, s6
	s_mul_i32 s9, s5, s4
	s_sub_i32 s6, s8, s9
	s_add_i32 s8, s5, 1
	s_sub_i32 s9, s6, s4
	s_cmp_ge_u32 s6, s4
	s_cselect_b32 s5, s8, s5
	s_cselect_b32 s6, s9, s6
	s_add_i32 s8, s5, 1
	s_cmp_ge_u32 s6, s4
	s_cselect_b32 s4, s8, s5
	s_abs_i32 s39, s40
	s_xor_b32 s4, s4, s7
	v_cvt_f32_u32_e32 v1, s39
	s_sub_i32 s42, s4, s7
	s_load_b128 s[8:11], s[2:3], 0x40
	s_abs_i32 s40, s42
	s_delay_alu instid0(SALU_CYCLE_1) | instskip(SKIP_1) | instid1(VALU_DEP_1)
	v_cvt_f32_u32_e32 v2, s40
	v_rcp_iflag_f32_e32 v1, v1
	v_rcp_iflag_f32_e32 v2, v2
	s_waitcnt_depctr 0xfff
	v_dual_mul_f32 v1, 0x4f7ffffe, v1 :: v_dual_mul_f32 v2, 0x4f7ffffe, v2
	s_delay_alu instid0(VALU_DEP_1) | instskip(SKIP_2) | instid1(VALU_DEP_3)
	v_cvt_u32_f32_e32 v1, v1
	s_waitcnt lgkmcnt(0)
	v_cmp_le_f32_e64 s4, s9, 0
	v_cvt_u32_f32_e32 v2, v2
	s_delay_alu instid0(VALU_DEP_3) | instskip(NEXT) | instid1(VALU_DEP_3)
	v_readfirstlane_b32 s9, v1
	s_and_b32 vcc_lo, exec_lo, s4
	s_delay_alu instid0(VALU_DEP_2)
	v_readfirstlane_b32 s43, v2
	s_cbranch_vccnz .LBB31_2
; %bb.1:
	s_sub_i32 s4, s12, s36
	s_add_i32 s5, s12, 1
	s_lshl_b32 s4, s4, 1
	v_mov_b32_e32 v1, s10
	s_or_b32 s4, s4, 1
	s_cmp_lt_u32 s12, s36
	s_cselect_b32 vcc_lo, -1, 0
	s_delay_alu instid0(VALU_DEP_1)
	v_cndmask_b32_e32 v3, s11, v1, vcc_lo
	s_and_b32 s6, vcc_lo, exec_lo
	s_cselect_b32 s4, s5, s4
	s_mov_b32 s5, 0x3e76c4e1
	v_cvt_f32_i32_e32 v1, s4
	v_cmp_neq_f32_e32 vcc_lo, 1.0, v3
	s_delay_alu instid0(VALU_DEP_2) | instskip(NEXT) | instid1(VALU_DEP_1)
	v_cndmask_b32_e32 v4, 1.0, v1, vcc_lo
	v_cmp_eq_f32_e32 vcc_lo, 0, v4
	v_cndmask_b32_e64 v5, |v3|, 1.0, vcc_lo
	s_delay_alu instid0(VALU_DEP_1) | instskip(NEXT) | instid1(VALU_DEP_1)
	v_frexp_mant_f32_e32 v1, v5
	v_cmp_gt_f32_e64 s4, 0x3f2aaaab, v1
	s_delay_alu instid0(VALU_DEP_1) | instskip(NEXT) | instid1(VALU_DEP_1)
	v_cndmask_b32_e64 v2, 1.0, 2.0, s4
	v_mul_f32_e32 v1, v1, v2
	s_delay_alu instid0(VALU_DEP_1) | instskip(SKIP_1) | instid1(VALU_DEP_2)
	v_add_f32_e32 v2, 1.0, v1
	v_add_f32_e32 v7, -1.0, v1
	v_rcp_f32_e32 v6, v2
	s_waitcnt_depctr 0xfff
	v_mul_f32_e32 v8, v7, v6
	s_delay_alu instid0(VALU_DEP_1) | instskip(NEXT) | instid1(VALU_DEP_1)
	v_dual_add_f32 v9, -1.0, v2 :: v_dual_mul_f32 v10, v2, v8
	v_sub_f32_e32 v1, v1, v9
	v_cndmask_b32_e64 v3, v3, 1.0, vcc_lo
	s_delay_alu instid0(VALU_DEP_3) | instskip(NEXT) | instid1(VALU_DEP_2)
	v_fma_f32 v2, v8, v2, -v10
	v_cmp_eq_f32_e64 s6, 0, v3
	s_delay_alu instid0(VALU_DEP_2) | instskip(NEXT) | instid1(VALU_DEP_1)
	v_fmac_f32_e32 v2, v8, v1
	v_add_f32_e32 v1, v10, v2
	s_delay_alu instid0(VALU_DEP_1) | instskip(NEXT) | instid1(VALU_DEP_1)
	v_dual_sub_f32 v10, v1, v10 :: v_dual_sub_f32 v9, v7, v1
	v_dual_sub_f32 v2, v10, v2 :: v_dual_sub_f32 v7, v7, v9
	s_delay_alu instid0(VALU_DEP_1) | instskip(NEXT) | instid1(VALU_DEP_1)
	v_sub_f32_e32 v1, v7, v1
	v_add_f32_e32 v1, v2, v1
	s_delay_alu instid0(VALU_DEP_1) | instskip(NEXT) | instid1(VALU_DEP_1)
	v_add_f32_e32 v1, v9, v1
	v_mul_f32_e32 v1, v6, v1
	s_delay_alu instid0(VALU_DEP_1) | instskip(NEXT) | instid1(VALU_DEP_1)
	v_add_f32_e32 v6, v8, v1
	v_sub_f32_e32 v2, v6, v8
	v_mul_f32_e32 v7, v6, v6
	s_delay_alu instid0(VALU_DEP_2) | instskip(NEXT) | instid1(VALU_DEP_2)
	v_sub_f32_e32 v8, v1, v2
	v_fma_f32 v9, v6, v6, -v7
	s_delay_alu instid0(VALU_DEP_2) | instskip(NEXT) | instid1(VALU_DEP_1)
	v_add_f32_e32 v1, v8, v8
	v_fmac_f32_e32 v9, v6, v1
	v_cvt_f64_f32_e32 v[1:2], v5
	s_delay_alu instid0(VALU_DEP_2) | instskip(NEXT) | instid1(VALU_DEP_1)
	v_add_f32_e32 v10, v7, v9
	v_fmaak_f32 v11, s5, v10, 0x3e91f4c4
	v_sub_f32_e32 v7, v10, v7
	v_mul_f32_e32 v14, v6, v10
	s_delay_alu instid0(VALU_DEP_3) | instskip(NEXT) | instid1(VALU_DEP_3)
	v_fmaak_f32 v11, v10, v11, 0x3ecccdef
	v_sub_f32_e32 v7, v9, v7
	s_delay_alu instid0(VALU_DEP_2) | instskip(NEXT) | instid1(VALU_DEP_1)
	v_mul_f32_e32 v12, v10, v11
	v_fma_f32 v9, v10, v11, -v12
	s_delay_alu instid0(VALU_DEP_1) | instskip(NEXT) | instid1(VALU_DEP_1)
	v_fmac_f32_e32 v9, v7, v11
	v_add_f32_e32 v11, v12, v9
	v_frexp_exp_i32_f64_e32 v1, v[1:2]
	s_delay_alu instid0(VALU_DEP_2) | instskip(NEXT) | instid1(VALU_DEP_1)
	v_sub_f32_e32 v12, v11, v12
	v_sub_f32_e32 v2, v9, v12
	v_fma_f32 v12, v10, v6, -v14
	s_delay_alu instid0(VALU_DEP_2) | instskip(NEXT) | instid1(VALU_DEP_2)
	v_add_f32_e32 v2, 0x31739010, v2
	v_dual_add_f32 v13, 0x3f2aaaaa, v11 :: v_dual_fmac_f32 v12, v10, v8
	v_ldexp_f32 v8, v8, 1
	s_delay_alu instid0(VALU_DEP_2) | instskip(NEXT) | instid1(VALU_DEP_1)
	v_dual_add_f32 v9, 0xbf2aaaaa, v13 :: v_dual_fmac_f32 v12, v7, v6
	v_sub_f32_e32 v9, v11, v9
	s_delay_alu instid0(VALU_DEP_1) | instskip(NEXT) | instid1(VALU_DEP_3)
	v_add_f32_e32 v2, v2, v9
	v_add_f32_e32 v9, v14, v12
	s_delay_alu instid0(VALU_DEP_2) | instskip(NEXT) | instid1(VALU_DEP_1)
	v_add_f32_e32 v7, v13, v2
	v_sub_f32_e32 v10, v13, v7
	s_delay_alu instid0(VALU_DEP_3) | instskip(SKIP_2) | instid1(VALU_DEP_4)
	v_mul_f32_e32 v11, v9, v7
	v_sub_f32_e32 v13, v9, v14
	v_subrev_co_ci_u32_e64 v1, s4, 0, v1, s4
	v_add_f32_e32 v2, v2, v10
	s_delay_alu instid0(VALU_DEP_4) | instskip(NEXT) | instid1(VALU_DEP_4)
	v_fma_f32 v10, v9, v7, -v11
	v_sub_f32_e32 v12, v12, v13
	s_delay_alu instid0(VALU_DEP_4) | instskip(NEXT) | instid1(VALU_DEP_3)
	v_cvt_f32_i32_e32 v1, v1
	v_fmac_f32_e32 v10, v9, v2
	v_ldexp_f32 v2, v6, 1
	s_delay_alu instid0(VALU_DEP_2) | instskip(NEXT) | instid1(VALU_DEP_1)
	v_fmac_f32_e32 v10, v12, v7
	v_add_f32_e32 v6, v11, v10
	s_delay_alu instid0(VALU_DEP_1) | instskip(NEXT) | instid1(VALU_DEP_1)
	v_add_f32_e32 v7, v2, v6
	v_dual_sub_f32 v2, v7, v2 :: v_dual_sub_f32 v9, v6, v11
	s_delay_alu instid0(VALU_DEP_1) | instskip(NEXT) | instid1(VALU_DEP_2)
	v_sub_f32_e32 v2, v6, v2
	v_sub_f32_e32 v9, v10, v9
	s_delay_alu instid0(VALU_DEP_1) | instskip(NEXT) | instid1(VALU_DEP_1)
	v_add_f32_e32 v6, v8, v9
	v_dual_mul_f32 v11, 0x3f317218, v1 :: v_dual_add_f32 v2, v6, v2
	s_delay_alu instid0(VALU_DEP_1) | instskip(NEXT) | instid1(VALU_DEP_2)
	v_fma_f32 v10, 0x3f317218, v1, -v11
	v_add_f32_e32 v8, v7, v2
	s_delay_alu instid0(VALU_DEP_1) | instskip(NEXT) | instid1(VALU_DEP_1)
	v_sub_f32_e32 v7, v8, v7
	v_dual_fmamk_f32 v1, v1, 0xb102e308, v10 :: v_dual_sub_f32 v2, v2, v7
	s_delay_alu instid0(VALU_DEP_1) | instskip(NEXT) | instid1(VALU_DEP_1)
	v_add_f32_e32 v6, v11, v1
	v_add_f32_e32 v9, v6, v8
	s_delay_alu instid0(VALU_DEP_1) | instskip(NEXT) | instid1(VALU_DEP_1)
	v_dual_sub_f32 v11, v6, v11 :: v_dual_sub_f32 v10, v9, v6
	v_sub_f32_e32 v12, v9, v10
	s_delay_alu instid0(VALU_DEP_2) | instskip(NEXT) | instid1(VALU_DEP_2)
	v_sub_f32_e32 v1, v1, v11
	v_dual_sub_f32 v7, v8, v10 :: v_dual_sub_f32 v6, v6, v12
	s_delay_alu instid0(VALU_DEP_2) | instskip(NEXT) | instid1(VALU_DEP_2)
	v_add_f32_e32 v8, v1, v2
	v_add_f32_e32 v6, v7, v6
	s_delay_alu instid0(VALU_DEP_1) | instskip(NEXT) | instid1(VALU_DEP_1)
	v_add_f32_e32 v6, v8, v6
	v_dual_sub_f32 v7, v8, v1 :: v_dual_add_f32 v10, v9, v6
	s_delay_alu instid0(VALU_DEP_1) | instskip(SKIP_1) | instid1(VALU_DEP_3)
	v_sub_f32_e32 v8, v8, v7
	v_sub_f32_e32 v2, v2, v7
	;; [unrolled: 1-line block ×3, first 2 shown]
	s_delay_alu instid0(VALU_DEP_3) | instskip(NEXT) | instid1(VALU_DEP_1)
	v_sub_f32_e32 v1, v1, v8
	v_add_f32_e32 v1, v2, v1
	s_delay_alu instid0(VALU_DEP_3) | instskip(NEXT) | instid1(VALU_DEP_1)
	v_sub_f32_e32 v2, v6, v7
	v_add_f32_e32 v1, v1, v2
	s_delay_alu instid0(VALU_DEP_1) | instskip(NEXT) | instid1(VALU_DEP_1)
	v_add_f32_e32 v2, v10, v1
	v_mul_f32_e32 v7, v4, v2
	v_sub_f32_e32 v6, v2, v10
	s_delay_alu instid0(VALU_DEP_2) | instskip(NEXT) | instid1(VALU_DEP_2)
	v_fma_f32 v2, v4, v2, -v7
	v_sub_f32_e32 v1, v1, v6
	v_cmp_class_f32_e64 s4, v7, 0x204
	s_delay_alu instid0(VALU_DEP_2) | instskip(NEXT) | instid1(VALU_DEP_1)
	v_fmac_f32_e32 v2, v4, v1
	v_add_f32_e32 v1, v7, v2
	s_delay_alu instid0(VALU_DEP_1) | instskip(NEXT) | instid1(VALU_DEP_1)
	v_cndmask_b32_e64 v6, v1, v7, s4
	v_cmp_eq_f32_e64 s4, 0x42b17218, v6
	s_delay_alu instid0(VALU_DEP_1) | instskip(SKIP_1) | instid1(VALU_DEP_2)
	v_cndmask_b32_e64 v8, 0, 0x37000000, s4
	v_cmp_neq_f32_e64 s4, 0x7f800000, |v6|
	v_sub_f32_e32 v9, v6, v8
	v_trunc_f32_e32 v6, v4
	s_delay_alu instid0(VALU_DEP_2) | instskip(NEXT) | instid1(VALU_DEP_1)
	v_mul_f32_e32 v10, 0x3fb8aa3b, v9
	v_fma_f32 v11, 0x3fb8aa3b, v9, -v10
	v_rndne_f32_e32 v12, v10
	s_delay_alu instid0(VALU_DEP_1) | instskip(NEXT) | instid1(VALU_DEP_1)
	v_dual_fmamk_f32 v11, v9, 0x32a5705f, v11 :: v_dual_sub_f32 v10, v10, v12
	v_add_f32_e32 v10, v10, v11
	v_sub_f32_e32 v1, v1, v7
	v_cvt_i32_f32_e32 v7, v12
	s_delay_alu instid0(VALU_DEP_3) | instskip(NEXT) | instid1(VALU_DEP_2)
	v_exp_f32_e32 v10, v10
	v_sub_f32_e32 v1, v2, v1
	s_delay_alu instid0(VALU_DEP_1)
	v_cndmask_b32_e64 v1, 0, v1, s4
	v_cmp_ngt_f32_e64 s4, 0xc2ce8ed0, v9
	s_waitcnt_depctr 0xfff
	v_ldexp_f32 v2, v10, v7
	v_mul_f32_e32 v7, 0.5, v4
	v_add_f32_e32 v1, v8, v1
	s_delay_alu instid0(VALU_DEP_3) | instskip(NEXT) | instid1(VALU_DEP_3)
	v_cndmask_b32_e64 v2, 0, v2, s4
	v_trunc_f32_e32 v10, v7
	v_cmp_nlt_f32_e64 s4, 0x42b17218, v9
	s_delay_alu instid0(VALU_DEP_2) | instskip(NEXT) | instid1(VALU_DEP_2)
	v_cmp_neq_f32_e64 s5, v10, v7
	v_cndmask_b32_e64 v2, 0x7f800000, v2, s4
	v_cmp_eq_f32_e64 s4, v6, v4
	s_delay_alu instid0(VALU_DEP_2) | instskip(NEXT) | instid1(VALU_DEP_2)
	v_fma_f32 v1, v2, v1, v2
	s_and_b32 vcc_lo, s4, s5
	v_cmp_class_f32_e64 s5, v2, 0x204
	v_cndmask_b32_e32 v6, 1.0, v3, vcc_lo
	s_delay_alu instid0(VALU_DEP_2) | instskip(SKIP_1) | instid1(VALU_DEP_2)
	v_cndmask_b32_e64 v1, v1, v2, s5
	v_cmp_gt_f32_e64 s5, 0, v4
	v_bfi_b32 v1, 0x7fffffff, v1, v6
	v_cndmask_b32_e32 v6, 0, v3, vcc_lo
	s_delay_alu instid0(VALU_DEP_3)
	s_xor_b32 s5, s5, s6
	v_cmp_eq_f32_e32 vcc_lo, 0x7f800000, v5
	v_cndmask_b32_e64 v2, 0x7f800000, 0, s5
	v_cndmask_b32_e64 v4, 0x7fc00000, v1, s4
	v_cmp_gt_f32_e64 s4, 0, v3
	s_or_b32 vcc_lo, vcc_lo, s6
	s_delay_alu instid0(VALU_DEP_3) | instskip(NEXT) | instid1(VALU_DEP_2)
	v_bfi_b32 v2, 0x7fffffff, v2, v6
	v_cndmask_b32_e64 v1, v1, v4, s4
	s_delay_alu instid0(VALU_DEP_1) | instskip(SKIP_1) | instid1(VALU_DEP_2)
	v_cndmask_b32_e32 v1, v1, v2, vcc_lo
	v_cmp_o_f32_e32 vcc_lo, v3, v3
	v_cndmask_b32_e32 v135, 0x7fc00000, v1, vcc_lo
.LBB31_2:
	s_load_b64 s[0:1], s[0:1], 0x4
	v_bfe_u32 v35, v0, 10, 10
	v_and_b32_e32 v38, 0x3ff, v0
	s_load_b512 s[16:31], s[2:3], 0x0
	v_bfe_u32 v0, v0, 20, 10
	s_lshl_b32 s15, s13, 1
	v_lshlrev_b32_e32 v36, 9, v35
	s_mov_b32 s7, exec_lo
	s_waitcnt lgkmcnt(0)
	v_mul_u32_u24_e32 v1, s1, v35
	s_lshr_b32 s0, s0, 16
	s_delay_alu instid0(SALU_CYCLE_1)
	s_mul_i32 s0, s0, s1
	s_delay_alu instid0(VALU_DEP_1) | instid1(SALU_CYCLE_1)
	v_mad_u32_u24 v1, s0, v38, v1
	v_cmp_lt_u32_e64 s0, 1, v35
	s_delay_alu instid0(VALU_DEP_2) | instskip(NEXT) | instid1(VALU_DEP_1)
	v_add_lshl_u32 v32, v1, v0, 5
	v_dual_mov_b32 v28, 0 :: v_dual_add_nc_u32 v1, 0xa0c, v32
	v_add_nc_u32_e32 v0, 0xa04, v32
	v_add_nc_u32_e32 v2, 0xa14, v32
	;; [unrolled: 1-line block ×3, first 2 shown]
	ds_store_2addr_b32 v0, v28, v28 offset1:1
	ds_store_2addr_b32 v1, v28, v28 offset1:1
	;; [unrolled: 1-line block ×3, first 2 shown]
	ds_store_2addr_b32 v3, v28, v28 offset0:128 offset1:135
	v_cmpx_gt_u32_e32 2, v35
	s_cbranch_execz .LBB31_17
; %bb.3:
	v_or_b32_e32 v0, s15, v35
	v_lshl_add_u32 v4, v38, 2, v36
	s_mov_b32 s1, exec_lo
	s_delay_alu instid0(VALU_DEP_2)
	v_cmpx_le_i32_e64 s34, v0
	s_xor_b32 s1, exec_lo, s1
	s_cbranch_execz .LBB31_7
; %bb.4:
	v_mov_b32_e32 v0, 0
	s_mov_b32 s4, exec_lo
	ds_store_2addr_b32 v4, v0, v0 offset1:32
	v_cmpx_gt_u32_e32 8, v38
	s_cbranch_execz .LBB31_6
; %bb.5:
	v_lshl_add_u32 v2, v38, 2, v4
	v_mov_b32_e32 v1, v0
	ds_store_b64 v2, v[0:1] offset:256
.LBB31_6:
	s_or_b32 exec_lo, exec_lo, s4
                                        ; implicit-def: $vgpr4
.LBB31_7:
	s_and_not1_saveexec_b32 s1, s1
	s_cbranch_execz .LBB31_17
; %bb.8:
	s_load_b128 s[44:47], s[2:3], 0x70
	v_lshlrev_b32_e32 v1, 4, v38
	s_mov_b32 s6, exec_lo
	s_waitcnt lgkmcnt(0)
	v_mul_lo_u32 v0, v35, s44
	s_mul_i32 s1, s33, s46
	s_mul_i32 s4, s15, s44
	;; [unrolled: 1-line block ×3, first 2 shown]
	s_add_i32 s1, s1, s4
	s_delay_alu instid0(SALU_CYCLE_1) | instskip(NEXT) | instid1(SALU_CYCLE_1)
	s_add_i32 s1, s1, s5
	s_ashr_i32 s4, s1, 31
	s_delay_alu instid0(VALU_DEP_1) | instskip(SKIP_3) | instid1(VALU_DEP_2)
	v_ashrrev_i32_e32 v2, 31, v0
	s_add_u32 s1, s16, s1
	s_addc_u32 s4, s17, s4
	v_add_co_u32 v0, vcc_lo, s1, v0
	v_add_co_ci_u32_e32 v2, vcc_lo, s4, v2, vcc_lo
	s_delay_alu instid0(VALU_DEP_2) | instskip(NEXT) | instid1(VALU_DEP_2)
	v_add_co_u32 v0, vcc_lo, v0, v1
	v_add_co_ci_u32_e32 v1, vcc_lo, 0, v2, vcc_lo
	v_mbcnt_lo_u32_b32 v2, -1, 0
	global_load_b128 v[12:15], v[0:1], off
	v_xor_b32_e32 v5, 4, v2
	v_xor_b32_e32 v9, 2, v2
	s_delay_alu instid0(VALU_DEP_2) | instskip(SKIP_1) | instid1(VALU_DEP_3)
	v_cmp_gt_i32_e32 vcc_lo, 32, v5
	v_cndmask_b32_e32 v5, v2, v5, vcc_lo
	v_cmp_gt_i32_e32 vcc_lo, 32, v9
	s_delay_alu instid0(VALU_DEP_2) | instskip(SKIP_4) | instid1(VALU_DEP_2)
	v_lshlrev_b32_e32 v5, 2, v5
	v_cndmask_b32_e32 v9, v2, v9, vcc_lo
	s_waitcnt vmcnt(0)
	v_dual_mul_f32 v3, s8, v12 :: v_dual_mul_f32 v12, s8, v14
	v_dual_mul_f32 v8, s8, v13 :: v_dual_mul_f32 v11, s8, v15
	v_max_f32_e64 v6, |v3|, |v3|
	s_delay_alu instid0(VALU_DEP_1) | instskip(NEXT) | instid1(VALU_DEP_1)
	v_max_f32_e64 v6, v6, |v8|
	v_max3_f32 v6, v6, |v12|, |v11|
	ds_bpermute_b32 v7, v5, v6
	s_waitcnt lgkmcnt(0)
	v_dual_max_f32 v10, v7, v7 :: v_dual_lshlrev_b32 v7, 2, v9
	s_delay_alu instid0(VALU_DEP_1)
	v_max_f32_e32 v9, v6, v10
	v_xor_b32_e32 v10, 1, v2
	ds_bpermute_b32 v6, v7, v9
	v_cmp_gt_i32_e32 vcc_lo, 32, v10
	v_cndmask_b32_e32 v2, v2, v10, vcc_lo
	s_waitcnt lgkmcnt(0)
	v_max_f32_e32 v10, v6, v6
	s_delay_alu instid0(VALU_DEP_2) | instskip(NEXT) | instid1(VALU_DEP_2)
	v_lshlrev_b32_e32 v6, 2, v2
	v_max_f32_e32 v2, v9, v10
	v_fma_f32 v10, s8, v13, v3
	ds_bpermute_b32 v9, v6, v2
	s_waitcnt lgkmcnt(0)
	v_dual_fmac_f32 v10, s8, v14 :: v_dual_max_f32 v9, v9, v9
	s_delay_alu instid0(VALU_DEP_1) | instskip(NEXT) | instid1(VALU_DEP_2)
	v_fmac_f32_e32 v10, s8, v15
	v_max_f32_e32 v2, v2, v9
	ds_bpermute_b32 v13, v5, v10
	v_div_scale_f32 v14, null, 0x42fe0000, 0x42fe0000, v2
	v_div_scale_f32 v16, vcc_lo, v2, 0x42fe0000, v2
	s_delay_alu instid0(VALU_DEP_2)
	v_rcp_f32_e32 v15, v14
	s_waitcnt lgkmcnt(0)
	v_add_f32_e32 v9, v10, v13
	s_waitcnt_depctr 0xfff
	v_fma_f32 v10, -v14, v15, 1.0
	ds_bpermute_b32 v13, v7, v9
	v_fmac_f32_e32 v15, v10, v15
	s_delay_alu instid0(VALU_DEP_1) | instskip(NEXT) | instid1(VALU_DEP_1)
	v_mul_f32_e32 v17, v16, v15
	v_fma_f32 v10, -v14, v17, v16
	s_delay_alu instid0(VALU_DEP_1) | instskip(SKIP_2) | instid1(VALU_DEP_2)
	v_fmac_f32_e32 v17, v10, v15
	s_waitcnt lgkmcnt(0)
	v_add_f32_e32 v9, v9, v13
	v_fma_f32 v13, -v14, v17, v16
	ds_bpermute_b32 v10, v6, v9
	v_div_fmas_f32 v13, v13, v15, v17
	s_delay_alu instid0(VALU_DEP_1) | instskip(SKIP_1) | instid1(VALU_DEP_2)
	v_div_fixup_f32 v2, v13, 0x42fe0000, v2
	v_mov_b32_e32 v13, 0
	v_cmpx_neq_f32_e32 0, v2
	s_cbranch_execz .LBB31_10
; %bb.9:
	v_div_scale_f32 v13, null, v2, v2, v3
	v_div_scale_f32 v14, null, v2, v2, v8
	v_div_scale_f32 v16, null, v2, v2, v12
	s_delay_alu instid0(VALU_DEP_3) | instskip(SKIP_1) | instid1(VALU_DEP_3)
	v_rcp_f32_e32 v15, v13
	v_div_scale_f32 v17, null, v2, v2, v11
	v_rcp_f32_e32 v18, v14
	s_delay_alu instid0(VALU_DEP_2) | instskip(SKIP_1) | instid1(VALU_DEP_2)
	v_rcp_f32_e32 v19, v16
	v_div_scale_f32 v23, vcc_lo, v3, v2, v3
	v_rcp_f32_e32 v20, v17
	v_fma_f32 v21, -v13, v15, 1.0
	s_delay_alu instid0(TRANS32_DEP_3)
	v_fma_f32 v22, -v14, v18, 1.0
	s_waitcnt_depctr 0xfff
	v_fma_f32 v24, -v16, v19, 1.0
	v_fmac_f32_e32 v15, v21, v15
	v_div_scale_f32 v21, s1, v8, v2, v8
	v_fmac_f32_e32 v18, v22, v18
	v_fma_f32 v25, -v17, v20, 1.0
	v_fmac_f32_e32 v19, v24, v19
	v_div_scale_f32 v22, s4, v12, v2, v12
	s_delay_alu instid0(VALU_DEP_4) | instskip(NEXT) | instid1(VALU_DEP_4)
	v_mul_f32_e32 v26, v21, v18
	v_dual_fmac_f32 v20, v25, v20 :: v_dual_mul_f32 v25, v23, v15
	v_div_scale_f32 v24, s5, v11, v2, v11
	s_delay_alu instid0(VALU_DEP_3) | instskip(SKIP_1) | instid1(VALU_DEP_4)
	v_fma_f32 v31, -v14, v26, v21
	v_mul_f32_e32 v27, v22, v19
	v_fma_f32 v30, -v13, v25, v23
	s_delay_alu instid0(VALU_DEP_3) | instskip(NEXT) | instid1(VALU_DEP_3)
	v_fmac_f32_e32 v26, v31, v18
	v_fma_f32 v33, -v16, v27, v22
	s_delay_alu instid0(VALU_DEP_3) | instskip(NEXT) | instid1(VALU_DEP_3)
	v_fmac_f32_e32 v25, v30, v15
	;; [unrolled: 3-line block ×3, first 2 shown]
	v_fma_f32 v13, -v13, v25, v23
	s_delay_alu instid0(VALU_DEP_2) | instskip(NEXT) | instid1(VALU_DEP_2)
	v_fma_f32 v16, -v16, v27, v22
	v_div_fmas_f32 v13, v13, v15, v25
	s_mov_b32 vcc_lo, s1
	v_div_fmas_f32 v14, v14, v18, v26
	s_mov_b32 vcc_lo, s4
	s_delay_alu instid0(VALU_DEP_2) | instskip(SKIP_3) | instid1(VALU_DEP_3)
	v_div_fixup_f32 v3, v13, v2, v3
	v_div_fmas_f32 v15, v16, v19, v27
	s_mov_b32 vcc_lo, s5
	v_div_fixup_f32 v8, v14, v2, v8
	v_trunc_f32_e32 v18, v3
	v_mul_f32_e32 v29, v24, v20
	v_div_fixup_f32 v12, v15, v2, v12
	s_delay_alu instid0(VALU_DEP_2) | instskip(NEXT) | instid1(VALU_DEP_2)
	v_fma_f32 v34, -v17, v29, v24
	v_trunc_f32_e32 v14, v12
	s_delay_alu instid0(VALU_DEP_2) | instskip(NEXT) | instid1(VALU_DEP_1)
	v_fmac_f32_e32 v29, v34, v20
	v_fma_f32 v16, -v17, v29, v24
	s_delay_alu instid0(VALU_DEP_1) | instskip(NEXT) | instid1(VALU_DEP_4)
	v_div_fmas_f32 v15, v16, v20, v29
	v_sub_f32_e32 v16, v12, v14
	s_delay_alu instid0(VALU_DEP_2) | instskip(NEXT) | instid1(VALU_DEP_2)
	v_div_fixup_f32 v11, v15, v2, v11
	v_cmp_ge_f32_e64 s1, |v16|, 0.5
	v_trunc_f32_e32 v15, v8
	s_delay_alu instid0(VALU_DEP_3) | instskip(NEXT) | instid1(VALU_DEP_3)
	v_trunc_f32_e32 v13, v11
	v_cndmask_b32_e64 v16, 0, 1.0, s1
	s_delay_alu instid0(VALU_DEP_3) | instskip(NEXT) | instid1(VALU_DEP_2)
	v_sub_f32_e32 v17, v8, v15
	v_bfi_b32 v12, 0x7fffffff, v16, v12
	s_delay_alu instid0(VALU_DEP_2) | instskip(SKIP_1) | instid1(VALU_DEP_3)
	v_cmp_ge_f32_e64 s1, |v17|, 0.5
	v_sub_f32_e32 v16, v3, v18
	v_add_f32_e32 v12, v14, v12
	s_delay_alu instid0(VALU_DEP_3) | instskip(NEXT) | instid1(VALU_DEP_2)
	v_cndmask_b32_e64 v17, 0, 1.0, s1
	v_cvt_i32_f32_e32 v12, v12
	v_sub_f32_e32 v19, v11, v13
	s_delay_alu instid0(VALU_DEP_3) | instskip(NEXT) | instid1(VALU_DEP_3)
	v_bfi_b32 v8, 0x7fffffff, v17, v8
	v_and_b32_e32 v12, 0xff, v12
	s_delay_alu instid0(VALU_DEP_3) | instskip(NEXT) | instid1(VALU_DEP_3)
	v_cmp_ge_f32_e64 s1, |v19|, 0.5
	v_add_f32_e32 v8, v15, v8
	s_delay_alu instid0(VALU_DEP_3) | instskip(NEXT) | instid1(VALU_DEP_3)
	v_lshlrev_b32_e32 v12, 16, v12
	v_cndmask_b32_e64 v19, 0, 1.0, s1
	v_cmp_ge_f32_e64 s1, |v16|, 0.5
	s_delay_alu instid0(VALU_DEP_4) | instskip(NEXT) | instid1(VALU_DEP_3)
	v_cvt_i32_f32_e32 v8, v8
	v_bfi_b32 v11, 0x7fffffff, v19, v11
	s_delay_alu instid0(VALU_DEP_3) | instskip(NEXT) | instid1(VALU_DEP_2)
	v_cndmask_b32_e64 v14, 0, 1.0, s1
	v_dual_add_f32 v11, v13, v11 :: v_dual_and_b32 v8, 0xff, v8
	s_delay_alu instid0(VALU_DEP_2) | instskip(NEXT) | instid1(VALU_DEP_2)
	v_bfi_b32 v3, 0x7fffffff, v14, v3
	v_lshlrev_b32_e32 v8, 8, v8
	s_delay_alu instid0(VALU_DEP_3) | instskip(NEXT) | instid1(VALU_DEP_3)
	v_cvt_i32_f32_e32 v11, v11
	v_add_f32_e32 v3, v18, v3
	s_delay_alu instid0(VALU_DEP_2) | instskip(NEXT) | instid1(VALU_DEP_2)
	v_lshl_or_b32 v11, v11, 24, v12
	v_cvt_i32_f32_e32 v3, v3
	s_delay_alu instid0(VALU_DEP_1) | instskip(NEXT) | instid1(VALU_DEP_1)
	v_and_b32_e32 v3, 0xff, v3
	v_or3_b32 v13, v11, v8, v3
.LBB31_10:
	s_or_b32 exec_lo, exec_lo, s6
	v_and_b32_e32 v3, 7, v38
	v_add_nc_u32_e32 v8, v36, v38
	ds_store_b32 v4, v13
	v_cmp_eq_u32_e64 s1, 0, v3
	s_delay_alu instid0(VALU_DEP_1)
	s_and_saveexec_b32 s4, s1
	s_cbranch_execz .LBB31_12
; %bb.11:
	s_waitcnt lgkmcnt(1)
	v_add_f32_e32 v3, v9, v10
	ds_store_b64 v8, v[2:3] offset:256
.LBB31_12:
	s_or_b32 exec_lo, exec_lo, s4
	global_load_b128 v[11:14], v[0:1], off offset:512
	s_waitcnt vmcnt(0) lgkmcnt(1)
	v_dual_mul_f32 v3, s8, v11 :: v_dual_mul_f32 v10, s8, v14
	v_mul_f32_e32 v9, s8, v12
	s_delay_alu instid0(VALU_DEP_2) | instskip(SKIP_1) | instid1(VALU_DEP_2)
	v_max_f32_e64 v0, |v3|, |v3|
	v_fma_f32 v2, s8, v12, v3
	v_max_f32_e64 v0, v0, |v9|
	s_delay_alu instid0(VALU_DEP_2) | instskip(NEXT) | instid1(VALU_DEP_1)
	v_fmac_f32_e32 v2, s8, v13
	v_dual_mul_f32 v11, s8, v13 :: v_dual_fmac_f32 v2, s8, v14
	s_delay_alu instid0(VALU_DEP_1)
	v_max3_f32 v0, v0, |v11|, |v10|
	s_mov_b32 s8, exec_lo
	ds_bpermute_b32 v1, v5, v0
	ds_bpermute_b32 v5, v5, v2
	s_waitcnt lgkmcnt(1)
	v_max_f32_e32 v1, v1, v1
	s_delay_alu instid0(VALU_DEP_1) | instskip(SKIP_3) | instid1(VALU_DEP_1)
	v_max_f32_e32 v0, v0, v1
	ds_bpermute_b32 v1, v7, v0
	s_waitcnt lgkmcnt(0)
	v_max_f32_e32 v1, v1, v1
	v_max_f32_e32 v0, v0, v1
	ds_bpermute_b32 v1, v6, v0
	s_waitcnt lgkmcnt(0)
	v_max_f32_e32 v1, v1, v1
	s_delay_alu instid0(VALU_DEP_1) | instskip(SKIP_1) | instid1(VALU_DEP_2)
	v_max_f32_e32 v0, v0, v1
	v_add_f32_e32 v1, v2, v5
	v_div_scale_f32 v12, null, 0x42fe0000, 0x42fe0000, v0
	ds_bpermute_b32 v5, v7, v1
	v_div_scale_f32 v7, vcc_lo, v0, 0x42fe0000, v0
	v_rcp_f32_e32 v13, v12
	s_waitcnt_depctr 0xfff
	v_fma_f32 v2, -v12, v13, 1.0
	s_delay_alu instid0(VALU_DEP_1) | instskip(SKIP_2) | instid1(VALU_DEP_2)
	v_fmac_f32_e32 v13, v2, v13
	s_waitcnt lgkmcnt(0)
	v_add_f32_e32 v1, v1, v5
	v_mul_f32_e32 v14, v7, v13
	s_delay_alu instid0(VALU_DEP_1) | instskip(NEXT) | instid1(VALU_DEP_1)
	v_fma_f32 v2, -v12, v14, v7
	v_fmac_f32_e32 v14, v2, v13
	ds_bpermute_b32 v2, v6, v1
	v_fma_f32 v5, -v12, v14, v7
	s_delay_alu instid0(VALU_DEP_1) | instskip(NEXT) | instid1(VALU_DEP_1)
	v_div_fmas_f32 v5, v5, v13, v14
	v_div_fixup_f32 v0, v5, 0x42fe0000, v0
	v_mov_b32_e32 v5, 0
	s_delay_alu instid0(VALU_DEP_2)
	v_cmpx_neq_f32_e32 0, v0
	s_cbranch_execz .LBB31_14
; %bb.13:
	v_div_scale_f32 v5, null, v0, v0, v3
	v_div_scale_f32 v6, null, v0, v0, v9
	;; [unrolled: 1-line block ×3, first 2 shown]
	s_delay_alu instid0(VALU_DEP_3) | instskip(SKIP_1) | instid1(VALU_DEP_3)
	v_rcp_f32_e32 v7, v5
	v_div_scale_f32 v13, null, v0, v0, v10
	v_rcp_f32_e32 v14, v6
	s_delay_alu instid0(VALU_DEP_2) | instskip(SKIP_1) | instid1(VALU_DEP_2)
	v_rcp_f32_e32 v15, v12
	v_div_scale_f32 v19, vcc_lo, v3, v0, v3
	v_rcp_f32_e32 v16, v13
	v_fma_f32 v17, -v5, v7, 1.0
	s_delay_alu instid0(TRANS32_DEP_3)
	v_fma_f32 v18, -v6, v14, 1.0
	s_waitcnt_depctr 0xfff
	v_fma_f32 v20, -v12, v15, 1.0
	v_fmac_f32_e32 v7, v17, v7
	v_div_scale_f32 v17, s4, v9, v0, v9
	v_fmac_f32_e32 v14, v18, v14
	v_fma_f32 v21, -v13, v16, 1.0
	v_fmac_f32_e32 v15, v20, v15
	v_div_scale_f32 v18, s5, v11, v0, v11
	s_delay_alu instid0(VALU_DEP_4) | instskip(NEXT) | instid1(VALU_DEP_4)
	v_mul_f32_e32 v22, v17, v14
	v_dual_fmac_f32 v16, v21, v16 :: v_dual_mul_f32 v21, v19, v7
	v_div_scale_f32 v20, s6, v10, v0, v10
	s_delay_alu instid0(VALU_DEP_4) | instskip(NEXT) | instid1(VALU_DEP_4)
	v_mul_f32_e32 v23, v18, v15
	v_fma_f32 v26, -v6, v22, v17
	s_delay_alu instid0(VALU_DEP_4) | instskip(NEXT) | instid1(VALU_DEP_4)
	v_fma_f32 v25, -v5, v21, v19
	v_mul_f32_e32 v24, v20, v16
	s_delay_alu instid0(VALU_DEP_4) | instskip(NEXT) | instid1(VALU_DEP_3)
	v_fma_f32 v27, -v12, v23, v18
	v_dual_fmac_f32 v22, v26, v14 :: v_dual_fmac_f32 v21, v25, v7
	s_delay_alu instid0(VALU_DEP_3) | instskip(NEXT) | instid1(VALU_DEP_3)
	v_fma_f32 v29, -v13, v24, v20
	v_fmac_f32_e32 v23, v27, v15
	s_delay_alu instid0(VALU_DEP_3) | instskip(NEXT) | instid1(VALU_DEP_4)
	v_fma_f32 v6, -v6, v22, v17
	v_fma_f32 v5, -v5, v21, v19
	s_delay_alu instid0(VALU_DEP_4) | instskip(NEXT) | instid1(VALU_DEP_4)
	v_fmac_f32_e32 v24, v29, v16
	v_fma_f32 v12, -v12, v23, v18
	s_delay_alu instid0(VALU_DEP_3) | instskip(SKIP_3) | instid1(VALU_DEP_2)
	v_div_fmas_f32 v5, v5, v7, v21
	s_mov_b32 vcc_lo, s4
	v_div_fmas_f32 v6, v6, v14, v22
	s_mov_b32 vcc_lo, s5
	v_div_fixup_f32 v3, v5, v0, v3
	v_div_fmas_f32 v7, v12, v15, v23
	v_fma_f32 v12, -v13, v24, v20
	s_mov_b32 vcc_lo, s6
	v_div_fixup_f32 v6, v6, v0, v9
	v_trunc_f32_e32 v14, v3
	v_div_fixup_f32 v7, v7, v0, v11
	v_div_fmas_f32 v11, v12, v16, v24
	s_delay_alu instid0(VALU_DEP_2) | instskip(NEXT) | instid1(VALU_DEP_2)
	v_trunc_f32_e32 v9, v7
	v_div_fixup_f32 v10, v11, v0, v10
	v_trunc_f32_e32 v11, v6
	s_delay_alu instid0(VALU_DEP_3) | instskip(NEXT) | instid1(VALU_DEP_3)
	v_sub_f32_e32 v12, v7, v9
	v_trunc_f32_e32 v5, v10
	s_delay_alu instid0(VALU_DEP_3) | instskip(NEXT) | instid1(VALU_DEP_3)
	v_sub_f32_e32 v13, v6, v11
	v_cmp_ge_f32_e64 s4, |v12|, 0.5
	s_delay_alu instid0(VALU_DEP_3) | instskip(NEXT) | instid1(VALU_DEP_2)
	v_sub_f32_e32 v15, v10, v5
	v_cndmask_b32_e64 v12, 0, 1.0, s4
	s_delay_alu instid0(VALU_DEP_4) | instskip(NEXT) | instid1(VALU_DEP_2)
	v_cmp_ge_f32_e64 s4, |v13|, 0.5
	v_bfi_b32 v7, 0x7fffffff, v12, v7
	v_sub_f32_e32 v12, v3, v14
	s_delay_alu instid0(VALU_DEP_3) | instskip(SKIP_1) | instid1(VALU_DEP_2)
	v_cndmask_b32_e64 v13, 0, 1.0, s4
	v_cmp_ge_f32_e64 s4, |v15|, 0.5
	v_bfi_b32 v6, 0x7fffffff, v13, v6
	s_delay_alu instid0(VALU_DEP_2) | instskip(SKIP_1) | instid1(VALU_DEP_3)
	v_cndmask_b32_e64 v15, 0, 1.0, s4
	v_cmp_ge_f32_e64 s4, |v12|, 0.5
	v_dual_add_f32 v7, v9, v7 :: v_dual_add_f32 v6, v11, v6
	s_delay_alu instid0(VALU_DEP_3) | instskip(NEXT) | instid1(VALU_DEP_3)
	v_bfi_b32 v10, 0x7fffffff, v15, v10
	v_cndmask_b32_e64 v9, 0, 1.0, s4
	s_delay_alu instid0(VALU_DEP_3) | instskip(NEXT) | instid1(VALU_DEP_4)
	v_cvt_i32_f32_e32 v7, v7
	v_cvt_i32_f32_e32 v6, v6
	s_delay_alu instid0(VALU_DEP_4) | instskip(NEXT) | instid1(VALU_DEP_4)
	v_add_f32_e32 v5, v5, v10
	v_bfi_b32 v3, 0x7fffffff, v9, v3
	s_delay_alu instid0(VALU_DEP_4) | instskip(NEXT) | instid1(VALU_DEP_4)
	v_and_b32_e32 v7, 0xff, v7
	v_and_b32_e32 v6, 0xff, v6
	s_delay_alu instid0(VALU_DEP_4) | instskip(NEXT) | instid1(VALU_DEP_4)
	v_cvt_i32_f32_e32 v5, v5
	v_add_f32_e32 v3, v14, v3
	s_delay_alu instid0(VALU_DEP_4) | instskip(NEXT) | instid1(VALU_DEP_4)
	v_lshlrev_b32_e32 v7, 16, v7
	v_lshlrev_b32_e32 v6, 8, v6
	s_delay_alu instid0(VALU_DEP_3) | instskip(NEXT) | instid1(VALU_DEP_3)
	v_cvt_i32_f32_e32 v3, v3
	v_lshl_or_b32 v5, v5, 24, v7
	s_delay_alu instid0(VALU_DEP_2) | instskip(NEXT) | instid1(VALU_DEP_1)
	v_and_b32_e32 v3, 0xff, v3
	v_or3_b32 v5, v5, v6, v3
.LBB31_14:
	s_or_b32 exec_lo, exec_lo, s8
	ds_store_b32 v4, v5 offset:128
	s_and_saveexec_b32 s4, s1
	s_cbranch_execz .LBB31_16
; %bb.15:
	s_waitcnt lgkmcnt(1)
	v_add_f32_e32 v1, v1, v2
	ds_store_b64 v8, v[0:1] offset:288
.LBB31_16:
	s_or_b32 exec_lo, exec_lo, s4
.LBB31_17:
	s_delay_alu instid0(SALU_CYCLE_1)
	s_or_b32 exec_lo, exec_lo, s7
	v_and_b32_e32 v34, 1, v38
	s_waitcnt lgkmcnt(0)
	s_barrier
	buffer_gl0_inv
	s_cmp_eq_u64 s[26:27], 0
	v_lshlrev_b32_e32 v140, 2, v34
	s_mov_b32 s36, s38
	ds_load_b128 v[0:3], v28 offset:256
	ds_load_b128 v[4:7], v28 offset:272
	ds_load_2addr_b32 v[61:62], v140 offset1:2
	ds_load_2addr_b32 v[63:64], v140 offset0:4 offset1:6
	ds_load_2addr_b32 v[65:66], v140 offset0:8 offset1:10
	;; [unrolled: 1-line block ×3, first 2 shown]
	ds_load_b128 v[8:11], v28 offset:288
	ds_load_b128 v[12:15], v28 offset:304
	ds_load_2addr_b32 v[69:70], v140 offset0:16 offset1:18
	ds_load_2addr_b32 v[71:72], v140 offset0:20 offset1:22
	;; [unrolled: 1-line block ×17, first 2 shown]
	ds_load_b128 v[16:19], v28 offset:768
	ds_load_b128 v[20:23], v28 offset:784
	ds_load_2addr_b32 v[103:104], v140 offset0:148 offset1:150
	ds_load_2addr_b32 v[105:106], v140 offset0:152 offset1:154
	;; [unrolled: 1-line block ×11, first 2 shown]
	ds_load_b128 v[24:27], v28 offset:800
	ds_load_b128 v[28:31], v28 offset:816
	s_waitcnt lgkmcnt(0)
	s_barrier
	buffer_gl0_inv
	s_cbranch_scc1 .LBB31_19
; %bb.18:
	s_load_b32 s1, s[2:3], 0xd0
	s_mov_b32 s5, 0
	s_waitcnt lgkmcnt(0)
	s_mul_i32 s1, s1, s33
	s_delay_alu instid0(SALU_CYCLE_1) | instskip(NEXT) | instid1(SALU_CYCLE_1)
	s_add_i32 s4, s1, s13
	s_lshl_b64 s[4:5], s[4:5], 2
	s_delay_alu instid0(SALU_CYCLE_1)
	s_add_u32 s4, s26, s4
	s_addc_u32 s5, s27, s5
	s_load_b32 s36, s[4:5], 0x0
.LBB31_19:
	s_mov_b32 s11, 0
	s_mov_b32 s4, 0xfeffffff
	;; [unrolled: 1-line block ×3, first 2 shown]
	v_dual_mov_b32 v60, s11 :: v_dual_lshlrev_b32 v33, 5, v35
	s_mov_b32 s5, s4
	s_delay_alu instid0(SALU_CYCLE_1) | instskip(NEXT) | instid1(VALU_DEP_2)
	v_dual_mov_b32 v130, s5 :: v_dual_add_nc_u32 v137, 0xa00, v32
	v_dual_mov_b32 v59, s10 :: v_dual_add_nc_u32 v32, v33, v38
	v_mov_b32_e32 v129, s4
	v_mbcnt_lo_u32_b32 v40, -1, 0
	v_lshlrev_b32_e32 v39, 2, v38
	s_delay_alu instid0(VALU_DEP_4)
	v_lshlrev_b32_e32 v136, 1, v32
	s_lshl_b32 s8, s14, 7
	s_waitcnt lgkmcnt(0)
	s_cmp_ge_i32 s8, s36
	s_cbranch_scc1 .LBB31_48
; %bb.20:
	s_clause 0x2
	scratch_store_b32 off, v32, off offset:28
	scratch_store_b32 off, v36, off offset:24
	;; [unrolled: 1-line block ×3, first 2 shown]
	s_clause 0x1
	s_load_b128 s[4:7], s[2:3], 0x98
	s_load_b64 s[16:17], s[2:3], 0x8c
	s_sub_i32 s1, 0, s40
	s_sub_i32 s10, 0, s39
	s_mul_i32 s1, s1, s43
	s_abs_i32 s13, s12
	s_mul_hi_u32 s1, s43, s1
	s_mul_i32 s10, s10, s9
	s_add_i32 s43, s43, s1
	s_ashr_i32 s26, s12, 31
	s_ashr_i32 s27, s42, 31
	s_mul_hi_u32 s1, s9, s10
	s_mul_hi_u32 s10, s13, s43
	s_ashr_i32 s45, s33, 31
	s_xor_b32 s46, s26, s27
	s_add_i32 s9, s9, s1
	s_mul_i32 s1, s10, s40
	s_load_b64 s[42:43], s[2:3], 0xa8
	s_sub_i32 s1, s13, s1
	s_abs_i32 s44, s33
	s_waitcnt lgkmcnt(0)
	s_mul_i32 s5, s33, s5
	s_mul_hi_u32 s26, s33, s4
	s_mul_i32 s27, s45, s4
	s_add_i32 s5, s26, s5
	s_add_i32 s13, s10, 1
	;; [unrolled: 1-line block ×3, first 2 shown]
	s_sub_i32 s26, s1, s40
	s_cmp_ge_u32 s1, s40
	s_mul_i32 s4, s33, s4
	s_cselect_b32 s10, s13, s10
	s_cselect_b32 s1, s26, s1
	s_add_i32 s13, s10, 1
	s_cmp_ge_u32 s1, s40
	s_mul_hi_u32 s9, s44, s9
	s_cselect_b32 s1, s13, s10
	s_mul_i32 s9, s9, s39
	s_xor_b32 s10, s1, s46
	s_clause 0x1
	s_load_b64 s[26:27], s[2:3], 0xc8
	s_load_b32 s1, s[2:3], 0xd4
	s_sub_i32 s10, s10, s46
	v_dual_mov_b32 v59, 0 :: v_dual_and_b32 v32, 0x7e, v38
	s_mul_i32 s13, s10, s17
	s_mul_i32 s17, s33, s43
	s_ashr_i32 s40, s13, 31
	s_add_u32 s4, s18, s4
	s_addc_u32 s5, s19, s5
	s_add_u32 s13, s4, s13
	s_mul_hi_u32 s4, s33, s42
	s_addc_u32 s18, s5, s40
	s_add_i32 s4, s4, s17
	s_mul_i32 s5, s45, s42
	s_mul_i32 s10, s10, s7
	s_add_i32 s4, s4, s5
	s_mul_i32 s5, s33, s42
	s_ashr_i32 s7, s10, 31
	s_add_u32 s5, s20, s5
	s_addc_u32 s4, s21, s4
	s_add_u32 s10, s5, s10
	s_addc_u32 s17, s4, s7
	s_sub_i32 s4, s44, s9
	v_add_nc_u32_e32 v143, v33, v32
	s_sub_i32 s5, s4, s39
	s_cmp_ge_u32 s4, s39
	v_or_b32_e32 v32, 56, v140
	v_or_b32_e32 v35, 0x58, v140
	;; [unrolled: 1-line block ×3, first 2 shown]
	s_cselect_b32 s4, s5, s4
	v_mul_lo_u32 v141, v33, s6
	s_sub_i32 s5, s4, s39
	s_cmp_ge_u32 s4, s39
	v_dual_add_f32 v5, v5, v5 :: v_dual_and_b32 v150, 12, v32
	v_dual_mov_b32 v60, 0 :: v_dual_and_b32 v151, 28, v32
	v_or_b32_e32 v32, 0x78, v140
	v_dual_add_f32 v9, v9, v9 :: v_dual_and_b32 v154, 28, v35
	v_dual_add_f32 v15, v15, v15 :: v_dual_and_b32 v164, 12, v36
	;; [unrolled: 1-line block ×3, first 2 shown]
	v_xor_b32_e32 v36, 16, v40
	v_and_b32_e32 v153, 12, v35
	v_or_b32_e32 v35, 0x98, v140
	s_cselect_b32 s4, s5, s4
	v_dual_add_f32 v11, v11, v11 :: v_dual_and_b32 v156, 12, v32
	s_xor_b32 s4, s4, s45
	v_and_b32_e32 v157, 28, v32
	s_sub_i32 s4, s4, s45
	v_or_b32_e32 v32, 0xb8, v140
	v_dual_add_f32 v13, v13, v13 :: v_dual_and_b32 v158, 12, v35
	v_dual_add_f32 v17, v17, v17 :: v_dual_and_b32 v160, 28, v35
	v_and_b32_e32 v35, 30, v40
	s_waitcnt lgkmcnt(0)
	s_mul_i32 s5, s4, s27
	s_mul_hi_u32 s7, s4, s26
	s_ashr_i32 s9, s4, 31
	s_add_i32 s5, s7, s5
	s_mul_i32 s9, s9, s26
	s_mul_i32 s4, s4, s26
	v_and_b32_e32 v161, 12, v32
	v_xor_b32_e32 v37, 1, v40
	v_add_nc_u32_e32 v35, 2, v35
	v_and_b32_e32 v163, 28, v32
	v_or_b32_e32 v32, 0xf8, v140
	s_add_i32 s5, s5, s9
	s_mul_i32 s7, s15, s41
	s_add_u32 s4, s22, s4
	s_addc_u32 s5, s23, s5
	s_ashr_i32 s19, s7, 31
	s_mov_b32 s9, s11
	s_add_u32 s7, s4, s7
	s_addc_u32 s19, s5, s19
	s_lshl_b64 s[4:5], s[8:9], 1
	v_dual_add_f32 v3, v3, v3 :: v_dual_add_nc_u32 v142, s6, v141
	v_cmp_lt_i32_e32 vcc_lo, v37, v35
	v_dual_add_f32 v23, v23, v23 :: v_dual_and_b32 v168, 12, v32
	v_and_b32_e32 v169, 28, v32
	v_xor_b32_e32 v32, 2, v40
	s_add_u32 s4, s7, s4
	s_mul_i32 s7, s8, s6
	s_addc_u32 s5, s19, s5
	s_add_u32 s7, s10, s7
	s_mul_i32 s10, s8, s16
	s_addc_u32 s9, s17, 0
	v_dual_cndmask_b32 v35, v40, v37 :: v_dual_add_nc_u32 v144, s6, v142
	v_or_b32_e32 v145, 24, v140
	v_cmp_gt_i32_e32 vcc_lo, 32, v32
	s_add_u32 s13, s13, s10
	s_addc_u32 s17, s18, 0
	s_cmp_lg_u64 s[22:23], 0
	v_and_b32_e32 v149, 12, v145
	v_dual_add_f32 v25, v25, v25 :: v_dual_lshlrev_b32 v172, 2, v35
	s_cselect_b32 s20, -1, 0
	s_lshl_b32 s10, s1, 7
	v_cmp_eq_u32_e64 s1, 0, v34
	v_cndmask_b32_e32 v34, v40, v32, vcc_lo
	v_xor_b32_e32 v35, 4, v40
	v_dual_add_f32 v1, v1, v1 :: v_dual_add_nc_u32 v148, s6, v144
	v_add_f32_e32 v7, v7, v7
	s_delay_alu instid0(VALU_DEP_4)
	v_lshlrev_b32_e32 v187, 2, v34
	v_xor_b32_e32 v34, 8, v40
	v_cmp_gt_i32_e32 vcc_lo, 32, v35
	v_dual_add_f32 v21, v21, v21 :: v_dual_add_nc_u32 v152, s6, v148
	v_add_f32_e32 v29, v29, v29
	v_add_f32_e32 v27, v27, v27
	v_cndmask_b32_e32 v35, v40, v35, vcc_lo
	v_cmp_gt_i32_e32 vcc_lo, 32, v34
	v_add_nc_u32_e32 v155, s6, v152
	v_add_f32_e32 v181, v31, v31
	s_cmp_lt_i32 s15, s34
	v_lshlrev_b32_e32 v190, 2, v35
	v_cndmask_b32_e32 v34, v40, v34, vcc_lo
	v_cmp_gt_i32_e32 vcc_lo, 32, v36
	v_add_nc_u32_e32 v35, 0x80, v39
	v_add_nc_u32_e32 v31, s38, v143
	v_mul_lo_u32 v170, v143, s16
	s_cselect_b32 s19, -1, 0
	v_cndmask_b32_e32 v36, v40, v36, vcc_lo
	v_lshrrev_b32_e32 v197, 5, v35
	v_dual_mov_b32 v35, 0xfeffffff :: v_dual_and_b32 v198, 12, v35
	s_or_b32 s21, s15, 1
	s_delay_alu instid0(VALU_DEP_3)
	v_dual_mov_b32 v36, 0xfeffffff :: v_dual_lshlrev_b32 v193, 2, v36
	v_add_nc_u32_e32 v159, s6, v155
	v_ashrrev_i32_e32 v32, 31, v31
	s_and_b32 s19, s20, s19
	s_cmp_lt_i32 s21, s34
	s_mul_i32 s18, s10, s16
	v_add_nc_u32_e32 v162, s6, v159
	s_cselect_b32 s21, -1, 0
	v_add_nc_u32_e32 v183, s16, v170
	v_lshlrev_b32_e32 v194, 1, v33
	s_ashr_i32 s16, s38, 31
	v_add_nc_u32_e32 v165, s6, v162
	v_add_co_u32 v33, s22, v143, s38
	v_lshlrev_b64 v[31:32], 1, v[31:32]
	v_lshlrev_b32_e32 v191, 2, v34
	s_delay_alu instid0(VALU_DEP_4)
	v_add_nc_u32_e32 v167, s6, v165
	v_add_co_ci_u32_e64 v34, null, 0, s16, s22
	v_or_b32_e32 v146, 8, v140
	s_clause 0x1
	scratch_store_b64 off, v[31:32], off
	scratch_store_b32 off, v38, off offset:16
	v_add_nc_u32_e32 v171, s6, v167
	v_lshlrev_b64 v[31:32], 1, v[33:34]
	v_or_b32_e32 v147, 16, v140
	v_and_b32_e32 v173, 4, v38
	v_bfe_u32 v200, v38, 3, 27
	v_add_nc_u32_e32 v174, s6, v171
	v_and_b32_e32 v201, 12, v39
	s_and_b32 s16, s20, s21
	s_mov_b32 s20, 0xbbbac73d
	s_clause 0x1
	scratch_store_b64 off, v[31:32], off offset:8
	scratch_store_b32 off, v39, off offset:32
	v_add_nc_u32_e32 v176, s6, v174
                                        ; implicit-def: $vgpr240
	s_delay_alu instid0(VALU_DEP_1) | instskip(NEXT) | instid1(VALU_DEP_1)
	v_add_nc_u32_e32 v177, s6, v176
	v_add_nc_u32_e32 v178, s6, v177
	s_delay_alu instid0(VALU_DEP_1) | instskip(NEXT) | instid1(VALU_DEP_1)
	v_add_nc_u32_e32 v179, s6, v178
	v_add_nc_u32_e32 v180, s6, v179
	;; [unrolled: 3-line block ×6, first 2 shown]
	v_ashrrev_i32_e32 v230, 31, v196
	s_delay_alu instid0(VALU_DEP_2) | instskip(SKIP_1) | instid1(VALU_DEP_2)
	v_add_nc_u32_e32 v204, s6, v199
	v_ashrrev_i32_e32 v231, 31, v199
	v_add_nc_u32_e32 v209, s6, v204
	v_ashrrev_i32_e32 v232, 31, v204
	s_delay_alu instid0(VALU_DEP_2) | instskip(SKIP_1) | instid1(VALU_DEP_2)
	v_add_nc_u32_e32 v214, s6, v209
	v_ashrrev_i32_e32 v233, 31, v209
	v_add_nc_u32_e32 v219, s6, v214
	;; [unrolled: 5-line block ×3, first 2 shown]
	v_ashrrev_i32_e32 v237, 31, v224
	s_delay_alu instid0(VALU_DEP_2) | instskip(SKIP_2) | instid1(VALU_DEP_2)
	v_add_nc_u32_e32 v234, s6, v229
	v_ashrrev_i32_e32 v238, 31, v229
	s_mul_i32 s6, s10, s6
	v_ashrrev_i32_e32 v239, 31, v234
.LBB31_21:                              ; =>This Inner Loop Header: Depth=1
	v_ashrrev_i32_e32 v32, 31, v170
	v_add_co_u32 v31, vcc_lo, s13, v170
	s_delay_alu instid0(VALU_DEP_2)
	v_add_co_ci_u32_e32 v32, vcc_lo, s17, v32, vcc_lo
	s_clause 0x1
	global_load_b32 v38, v[31:32], off
	global_load_u16 v33, v[31:32], off offset:4
	s_waitcnt vmcnt(0)
	v_perm_b32 v37, v38, v33, 0x1000706
	v_add_co_u32 v33, vcc_lo, v31, v140
	v_add_co_ci_u32_e32 v34, vcc_lo, 0, v32, vcc_lo
	s_delay_alu instid0(VALU_DEP_3)
	v_ashrrev_i32_e32 v45, v140, v37
	v_ashrrev_i32_e32 v47, v146, v37
	;; [unrolled: 1-line block ×3, first 2 shown]
	global_load_b32 v41, v[33:34], off offset:6
	v_ashrrev_i32_e32 v37, v145, v37
	v_lshlrev_b32_e32 v39, 18, v45
	v_lshlrev_b32_e32 v40, 25, v45
	s_delay_alu instid0(VALU_DEP_2) | instskip(NEXT) | instid1(VALU_DEP_2)
	v_and_b32_e32 v39, 0x100000, v39
	v_and_b32_e32 v40, 0x10000000, v40
	s_waitcnt vmcnt(0)
	v_and_b32_e32 v42, 0xf0f0f0f, v41
	s_delay_alu instid0(VALU_DEP_1) | instskip(SKIP_3) | instid1(VALU_DEP_2)
	v_or3_b32 v46, v40, v42, v39
	global_load_b32 v39, v[33:34], off offset:14
	v_lshlrev_b32_e32 v40, 18, v47
	v_lshlrev_b32_e32 v42, 25, v47
	v_and_b32_e32 v40, 0x100000, v40
	s_delay_alu instid0(VALU_DEP_2) | instskip(SKIP_2) | instid1(VALU_DEP_1)
	v_and_b32_e32 v42, 0x10000000, v42
	s_waitcnt vmcnt(0)
	v_and_b32_e32 v39, 0xf0f0f0f, v39
	v_or3_b32 v58, v42, v39, v40
	v_lshrrev_b32_e32 v39, 4, v41
	v_lshlrev_b32_e32 v40, 18, v131
	v_lshlrev_b32_e32 v41, 25, v131
	s_delay_alu instid0(VALU_DEP_3) | instskip(NEXT) | instid1(VALU_DEP_3)
	v_and_b32_e32 v39, 0xf0f0f0f, v39
	v_and_b32_e32 v40, 0x100000, v40
	s_delay_alu instid0(VALU_DEP_3) | instskip(NEXT) | instid1(VALU_DEP_1)
	v_and_b32_e32 v41, 0x10000000, v41
	v_or3_b32 v132, v41, v39, v40
	v_lshlrev_b32_e32 v39, 4, v37
	v_lshlrev_b32_e32 v40, 18, v37
	;; [unrolled: 1-line block ×4, first 2 shown]
	s_delay_alu instid0(VALU_DEP_4) | instskip(NEXT) | instid1(VALU_DEP_4)
	v_and_b32_e32 v39, 16, v39
	v_and_b32_e32 v40, 0x100000, v40
	s_delay_alu instid0(VALU_DEP_4) | instskip(NEXT) | instid1(VALU_DEP_4)
	v_and_b32_e32 v41, 0x10000000, v41
	v_and_b32_e32 v37, 0x1000, v37
	s_delay_alu instid0(VALU_DEP_2)
	v_or3_b32 v39, v40, v41, v39
	s_clause 0x2
	global_load_b32 v40, v[31:32], off offset:22
	global_load_u16 v41, v[31:32], off offset:26
	global_load_b32 v44, v[33:34], off offset:28
	s_waitcnt vmcnt(1)
	v_perm_b32 v41, v40, v41, 0x1000706
	s_waitcnt vmcnt(0)
	v_and_b32_e32 v48, 0xf0f0f0f, v44
	s_delay_alu instid0(VALU_DEP_2) | instskip(SKIP_2) | instid1(VALU_DEP_3)
	v_ashrrev_i32_e32 v50, v140, v41
	v_ashrrev_i32_e32 v52, v146, v41
	v_ashrrev_i32_e32 v54, v147, v41
	v_lshlrev_b32_e32 v42, 18, v50
	v_lshlrev_b32_e32 v43, 25, v50
	s_delay_alu instid0(VALU_DEP_2) | instskip(NEXT) | instid1(VALU_DEP_2)
	v_and_b32_e32 v42, 0x100000, v42
	v_and_b32_e32 v43, 0x10000000, v43
	s_delay_alu instid0(VALU_DEP_1) | instskip(SKIP_3) | instid1(VALU_DEP_2)
	v_or3_b32 v51, v43, v48, v42
	global_load_b32 v42, v[33:34], off offset:36
	v_lshlrev_b32_e32 v43, 18, v52
	v_lshlrev_b32_e32 v48, 25, v52
	v_and_b32_e32 v43, 0x100000, v43
	s_delay_alu instid0(VALU_DEP_2) | instskip(SKIP_2) | instid1(VALU_DEP_1)
	v_and_b32_e32 v48, 0x10000000, v48
	s_waitcnt vmcnt(0)
	v_and_b32_e32 v42, 0xf0f0f0f, v42
	v_or3_b32 v53, v48, v42, v43
	v_lshrrev_b32_e32 v42, 4, v44
	v_lshlrev_b32_e32 v43, 18, v54
	v_lshlrev_b32_e32 v44, 25, v54
	v_ashrrev_i32_e32 v48, v151, v41
	s_delay_alu instid0(VALU_DEP_4) | instskip(NEXT) | instid1(VALU_DEP_4)
	v_and_b32_e32 v42, 0xf0f0f0f, v42
	v_and_b32_e32 v43, 0x100000, v43
	s_delay_alu instid0(VALU_DEP_4) | instskip(NEXT) | instid1(VALU_DEP_4)
	v_and_b32_e32 v44, 0x10000000, v44
	v_lshlrev_b32_e32 v41, 4, v48
	s_delay_alu instid0(VALU_DEP_2) | instskip(SKIP_2) | instid1(VALU_DEP_4)
	v_or3_b32 v55, v44, v42, v43
	v_lshlrev_b32_e32 v42, 18, v48
	v_lshlrev_b32_e32 v43, 25, v48
	v_and_b32_e32 v41, 16, v41
	s_delay_alu instid0(VALU_DEP_3) | instskip(NEXT) | instid1(VALU_DEP_3)
	v_and_b32_e32 v42, 0x100000, v42
	v_and_b32_e32 v43, 0x10000000, v43
	s_delay_alu instid0(VALU_DEP_1)
	v_or3_b32 v49, v42, v43, v41
	s_clause 0x2
	global_load_b32 v41, v[31:32], off offset:44
	global_load_u16 v42, v[31:32], off offset:48
	global_load_b32 v57, v[33:34], off offset:50
	s_waitcnt vmcnt(1)
	v_perm_b32 v42, v41, v42, 0x1000706
	s_waitcnt vmcnt(0)
	v_and_b32_e32 v125, 0xf0f0f0f, v57
	s_delay_alu instid0(VALU_DEP_2) | instskip(SKIP_2) | instid1(VALU_DEP_3)
	v_ashrrev_i32_e32 v56, v140, v42
	v_ashrrev_i32_e32 v127, v146, v42
	;; [unrolled: 1-line block ×3, first 2 shown]
	v_lshlrev_b32_e32 v43, 18, v56
	v_lshlrev_b32_e32 v44, 25, v56
	s_delay_alu instid0(VALU_DEP_2) | instskip(NEXT) | instid1(VALU_DEP_2)
	v_and_b32_e32 v43, 0x100000, v43
	v_and_b32_e32 v44, 0x10000000, v44
	s_delay_alu instid0(VALU_DEP_1) | instskip(SKIP_3) | instid1(VALU_DEP_2)
	v_or3_b32 v126, v44, v125, v43
	global_load_b32 v43, v[33:34], off offset:58
	v_lshlrev_b32_e32 v44, 18, v127
	v_lshlrev_b32_e32 v125, 25, v127
	v_and_b32_e32 v44, 0x100000, v44
	s_delay_alu instid0(VALU_DEP_2) | instskip(SKIP_2) | instid1(VALU_DEP_1)
	v_and_b32_e32 v125, 0x10000000, v125
	s_waitcnt vmcnt(0)
	v_and_b32_e32 v43, 0xf0f0f0f, v43
	v_or3_b32 v128, v125, v43, v44
	v_lshrrev_b32_e32 v43, 4, v57
	v_lshlrev_b32_e32 v44, 18, v129
	v_lshlrev_b32_e32 v57, 25, v129
	s_delay_alu instid0(VALU_DEP_3) | instskip(NEXT) | instid1(VALU_DEP_3)
	v_and_b32_e32 v43, 0xf0f0f0f, v43
	v_and_b32_e32 v44, 0x100000, v44
	s_delay_alu instid0(VALU_DEP_3) | instskip(NEXT) | instid1(VALU_DEP_1)
	v_and_b32_e32 v57, 0x10000000, v57
	v_or3_b32 v130, v57, v43, v44
	v_ashrrev_i32_e32 v57, v154, v42
	s_delay_alu instid0(VALU_DEP_1) | instskip(SKIP_2) | instid1(VALU_DEP_3)
	v_lshlrev_b32_e32 v42, 4, v57
	v_lshlrev_b32_e32 v43, 18, v57
	;; [unrolled: 1-line block ×3, first 2 shown]
	v_and_b32_e32 v42, 16, v42
	s_delay_alu instid0(VALU_DEP_3) | instskip(NEXT) | instid1(VALU_DEP_3)
	v_and_b32_e32 v43, 0x100000, v43
	v_and_b32_e32 v44, 0x10000000, v44
	s_delay_alu instid0(VALU_DEP_1)
	v_or3_b32 v125, v43, v44, v42
	s_clause 0x2
	global_load_b32 v42, v[31:32], off offset:66
	global_load_u16 v43, v[31:32], off offset:70
	global_load_b32 v138, v[33:34], off offset:72
	s_waitcnt vmcnt(1)
	v_perm_b32 v43, v42, v43, 0x1000706
	s_waitcnt vmcnt(0)
	v_and_b32_e32 v139, 0xf0f0f0f, v138
	s_delay_alu instid0(VALU_DEP_2) | instskip(SKIP_3) | instid1(VALU_DEP_4)
	v_ashrrev_i32_e32 v134, v140, v43
	v_ashrrev_i32_e32 v185, v146, v43
	;; [unrolled: 1-line block ×4, first 2 shown]
	v_lshlrev_b32_e32 v44, 18, v134
	v_lshlrev_b32_e32 v133, 25, v134
	v_lshlrev_b32_e32 v175, 25, v185
	s_delay_alu instid0(VALU_DEP_4) | instskip(NEXT) | instid1(VALU_DEP_4)
	v_lshlrev_b32_e32 v43, 4, v205
	v_and_b32_e32 v44, 0x100000, v44
	s_delay_alu instid0(VALU_DEP_4) | instskip(NEXT) | instid1(VALU_DEP_4)
	v_and_b32_e32 v133, 0x10000000, v133
	v_and_b32_e32 v175, 0x10000000, v175
	s_delay_alu instid0(VALU_DEP_4) | instskip(NEXT) | instid1(VALU_DEP_3)
	v_and_b32_e32 v43, 16, v43
	v_or3_b32 v139, v133, v139, v44
	global_load_b32 v44, v[33:34], off offset:80
	v_lshlrev_b32_e32 v133, 18, v185
	s_delay_alu instid0(VALU_DEP_1) | instskip(SKIP_2) | instid1(VALU_DEP_1)
	v_and_b32_e32 v133, 0x100000, v133
	s_waitcnt vmcnt(0)
	v_and_b32_e32 v44, 0xf0f0f0f, v44
	v_or3_b32 v195, v175, v44, v133
	v_lshrrev_b32_e32 v44, 4, v138
	v_lshlrev_b32_e32 v133, 18, v202
	v_lshlrev_b32_e32 v138, 25, v202
	s_delay_alu instid0(VALU_DEP_3) | instskip(NEXT) | instid1(VALU_DEP_3)
	v_and_b32_e32 v44, 0xf0f0f0f, v44
	v_and_b32_e32 v133, 0x100000, v133
	s_delay_alu instid0(VALU_DEP_3) | instskip(NEXT) | instid1(VALU_DEP_1)
	v_and_b32_e32 v138, 0x10000000, v138
	v_or3_b32 v203, v138, v44, v133
	v_lshlrev_b32_e32 v44, 18, v205
	v_lshlrev_b32_e32 v133, 25, v205
	s_delay_alu instid0(VALU_DEP_2) | instskip(NEXT) | instid1(VALU_DEP_2)
	v_and_b32_e32 v44, 0x100000, v44
	v_and_b32_e32 v133, 0x10000000, v133
	s_delay_alu instid0(VALU_DEP_1)
	v_or3_b32 v206, v44, v133, v43
	s_clause 0x2
	global_load_b32 v44, v[31:32], off offset:88
	global_load_u16 v43, v[31:32], off offset:92
	global_load_b32 v175, v[33:34], off offset:94
	s_waitcnt vmcnt(1)
	v_perm_b32 v43, v44, v43, 0x1000706
	s_waitcnt vmcnt(0)
	v_and_b32_e32 v208, 0xf0f0f0f, v175
	s_delay_alu instid0(VALU_DEP_2) | instskip(SKIP_3) | instid1(VALU_DEP_4)
	v_ashrrev_i32_e32 v207, v140, v43
	v_ashrrev_i32_e32 v210, v146, v43
	;; [unrolled: 1-line block ×4, first 2 shown]
	v_lshlrev_b32_e32 v133, 18, v207
	v_lshlrev_b32_e32 v138, 25, v207
	;; [unrolled: 1-line block ×3, first 2 shown]
	s_delay_alu instid0(VALU_DEP_4) | instskip(NEXT) | instid1(VALU_DEP_4)
	v_lshlrev_b32_e32 v43, 4, v215
	v_and_b32_e32 v133, 0x100000, v133
	s_delay_alu instid0(VALU_DEP_4) | instskip(NEXT) | instid1(VALU_DEP_4)
	v_and_b32_e32 v138, 0x10000000, v138
	v_and_b32_e32 v211, 0x10000000, v211
	s_delay_alu instid0(VALU_DEP_4) | instskip(NEXT) | instid1(VALU_DEP_3)
	v_and_b32_e32 v43, 16, v43
	v_or3_b32 v208, v138, v208, v133
	global_load_b32 v133, v[33:34], off offset:102
	v_lshlrev_b32_e32 v138, 18, v210
	s_delay_alu instid0(VALU_DEP_1) | instskip(SKIP_2) | instid1(VALU_DEP_1)
	v_and_b32_e32 v138, 0x100000, v138
	s_waitcnt vmcnt(0)
	v_and_b32_e32 v133, 0xf0f0f0f, v133
	v_or3_b32 v211, v211, v133, v138
	v_lshrrev_b32_e32 v133, 4, v175
	v_lshlrev_b32_e32 v138, 18, v212
	v_lshlrev_b32_e32 v175, 25, v212
	s_delay_alu instid0(VALU_DEP_3) | instskip(NEXT) | instid1(VALU_DEP_3)
	v_and_b32_e32 v133, 0xf0f0f0f, v133
	v_and_b32_e32 v138, 0x100000, v138
	s_delay_alu instid0(VALU_DEP_3) | instskip(NEXT) | instid1(VALU_DEP_1)
	v_and_b32_e32 v175, 0x10000000, v175
	v_or3_b32 v213, v175, v133, v138
	v_lshlrev_b32_e32 v133, 18, v215
	v_lshlrev_b32_e32 v138, 25, v215
	s_delay_alu instid0(VALU_DEP_2) | instskip(NEXT) | instid1(VALU_DEP_2)
	v_and_b32_e32 v133, 0x100000, v133
	v_and_b32_e32 v138, 0x10000000, v138
	s_delay_alu instid0(VALU_DEP_1)
	v_or3_b32 v216, v133, v138, v43
	s_clause 0x2
	global_load_b32 v43, v[31:32], off offset:110
	global_load_u16 v133, v[31:32], off offset:114
	global_load_b32 v218, v[33:34], off offset:116
	s_waitcnt vmcnt(1)
	v_perm_b32 v175, v43, v133, 0x1000706
	s_waitcnt vmcnt(0)
	v_and_b32_e32 v220, 0xf0f0f0f, v218
	s_delay_alu instid0(VALU_DEP_2) | instskip(SKIP_1) | instid1(VALU_DEP_2)
	v_ashrrev_i32_e32 v217, v140, v175
	v_ashrrev_i32_e32 v221, v146, v175
	v_lshlrev_b32_e32 v133, 18, v217
	v_lshlrev_b32_e32 v138, 25, v217
	s_delay_alu instid0(VALU_DEP_3) | instskip(NEXT) | instid1(VALU_DEP_3)
	v_lshlrev_b32_e32 v222, 25, v221
	v_and_b32_e32 v133, 0x100000, v133
	s_delay_alu instid0(VALU_DEP_3) | instskip(NEXT) | instid1(VALU_DEP_3)
	v_and_b32_e32 v138, 0x10000000, v138
	v_and_b32_e32 v222, 0x10000000, v222
	s_delay_alu instid0(VALU_DEP_2) | instskip(SKIP_2) | instid1(VALU_DEP_1)
	v_or3_b32 v220, v138, v220, v133
	global_load_b32 v133, v[33:34], off offset:124
	v_lshlrev_b32_e32 v138, 18, v221
	v_and_b32_e32 v138, 0x100000, v138
	s_waitcnt vmcnt(0)
	v_and_b32_e32 v133, 0xf0f0f0f, v133
	s_delay_alu instid0(VALU_DEP_1) | instskip(SKIP_2) | instid1(VALU_DEP_2)
	v_or3_b32 v222, v222, v133, v138
	v_lshrrev_b32_e32 v133, 4, v218
	v_ashrrev_i32_e32 v218, v147, v175
	v_and_b32_e32 v133, 0xf0f0f0f, v133
	s_delay_alu instid0(VALU_DEP_2) | instskip(SKIP_1) | instid1(VALU_DEP_2)
	v_lshlrev_b32_e32 v138, 18, v218
	v_lshlrev_b32_e32 v223, 25, v218
	v_and_b32_e32 v138, 0x100000, v138
	s_delay_alu instid0(VALU_DEP_2) | instskip(NEXT) | instid1(VALU_DEP_1)
	v_and_b32_e32 v223, 0x10000000, v223
	v_or3_b32 v223, v223, v133, v138
	v_lshlrev_b32_e32 v133, 4, v45
	v_lshlrev_b32_e32 v45, 11, v45
	s_delay_alu instid0(VALU_DEP_2) | instskip(NEXT) | instid1(VALU_DEP_2)
	v_and_b32_e32 v133, 16, v133
	v_and_b32_e32 v45, 0x1000, v45
	s_delay_alu instid0(VALU_DEP_1) | instskip(SKIP_2) | instid1(VALU_DEP_2)
	v_or3_b32 v46, v46, v133, v45
	v_lshlrev_b32_e32 v45, 4, v47
	v_lshlrev_b32_e32 v47, 11, v47
	v_and_b32_e32 v45, 16, v45
	s_delay_alu instid0(VALU_DEP_2) | instskip(NEXT) | instid1(VALU_DEP_1)
	v_and_b32_e32 v47, 0x1000, v47
	v_or3_b32 v47, v58, v45, v47
	v_lshlrev_b32_e32 v45, 4, v131
	v_lshlrev_b32_e32 v58, 11, v131
	v_add_co_u32 v131, vcc_lo, v31, v149
	s_delay_alu instid0(VALU_DEP_3) | instskip(NEXT) | instid1(VALU_DEP_3)
	v_and_b32_e32 v45, 16, v45
	v_and_b32_e32 v58, 0x1000, v58
	s_delay_alu instid0(VALU_DEP_1) | instskip(SKIP_4) | instid1(VALU_DEP_1)
	v_or3_b32 v45, v132, v45, v58
	v_add_co_ci_u32_e32 v132, vcc_lo, 0, v32, vcc_lo
	global_load_b32 v58, v[131:132], off offset:6
	s_waitcnt vmcnt(0)
	v_lshrrev_b32_e32 v58, 4, v58
	v_and_b32_e32 v58, 0xf0f0f0f, v58
	s_delay_alu instid0(VALU_DEP_1) | instskip(SKIP_3) | instid1(VALU_DEP_3)
	v_or3_b32 v138, v39, v37, v58
	v_lshlrev_b32_e32 v37, 4, v50
	v_lshlrev_b32_e32 v39, 11, v50
	v_add_co_u32 v50, vcc_lo, v31, v150
	v_and_b32_e32 v37, 16, v37
	s_delay_alu instid0(VALU_DEP_3) | instskip(NEXT) | instid1(VALU_DEP_1)
	v_and_b32_e32 v39, 0x1000, v39
	v_or3_b32 v242, v51, v37, v39
	v_lshlrev_b32_e32 v37, 4, v52
	v_lshlrev_b32_e32 v39, 11, v52
	v_add_co_ci_u32_e32 v51, vcc_lo, 0, v32, vcc_lo
	s_delay_alu instid0(VALU_DEP_3) | instskip(NEXT) | instid1(VALU_DEP_3)
	v_and_b32_e32 v37, 16, v37
	v_and_b32_e32 v39, 0x1000, v39
	s_delay_alu instid0(VALU_DEP_1) | instskip(SKIP_2) | instid1(VALU_DEP_2)
	v_or3_b32 v58, v53, v37, v39
	v_lshlrev_b32_e32 v37, 4, v54
	v_lshlrev_b32_e32 v39, 11, v54
	v_and_b32_e32 v37, 16, v37
	s_delay_alu instid0(VALU_DEP_2) | instskip(NEXT) | instid1(VALU_DEP_1)
	v_and_b32_e32 v39, 0x1000, v39
	v_or3_b32 v53, v55, v37, v39
	global_load_b32 v37, v[50:51], off offset:28
	v_lshlrev_b32_e32 v39, 11, v48
	v_add_co_u32 v48, vcc_lo, v31, v153
	s_delay_alu instid0(VALU_DEP_2) | instskip(SKIP_2) | instid1(VALU_DEP_1)
	v_and_b32_e32 v39, 0x1000, v39
	s_waitcnt vmcnt(0)
	v_lshrrev_b32_e32 v37, 4, v37
	v_and_b32_e32 v37, 0xf0f0f0f, v37
	s_delay_alu instid0(VALU_DEP_1) | instskip(SKIP_3) | instid1(VALU_DEP_3)
	v_or3_b32 v245, v49, v39, v37
	v_lshlrev_b32_e32 v37, 4, v56
	v_lshlrev_b32_e32 v39, 11, v56
	v_add_co_ci_u32_e32 v49, vcc_lo, 0, v32, vcc_lo
	v_and_b32_e32 v37, 16, v37
	s_delay_alu instid0(VALU_DEP_3) | instskip(NEXT) | instid1(VALU_DEP_1)
	v_and_b32_e32 v39, 0x1000, v39
	v_or3_b32 v133, v126, v37, v39
	v_lshlrev_b32_e32 v37, 4, v127
	v_lshlrev_b32_e32 v39, 11, v127
	s_delay_alu instid0(VALU_DEP_2) | instskip(NEXT) | instid1(VALU_DEP_2)
	v_and_b32_e32 v37, 16, v37
	v_and_b32_e32 v39, 0x1000, v39
	s_delay_alu instid0(VALU_DEP_1) | instskip(SKIP_2) | instid1(VALU_DEP_2)
	v_or3_b32 v56, v128, v37, v39
	v_lshlrev_b32_e32 v37, 4, v129
	v_lshlrev_b32_e32 v39, 11, v129
	v_and_b32_e32 v37, 16, v37
	s_delay_alu instid0(VALU_DEP_2) | instskip(NEXT) | instid1(VALU_DEP_1)
	v_and_b32_e32 v39, 0x1000, v39
	v_or3_b32 v51, v130, v37, v39
	global_load_b32 v37, v[48:49], off offset:50
	v_lshlrev_b32_e32 v39, 11, v57
	v_add_co_u32 v48, vcc_lo, v31, v156
	v_add_co_ci_u32_e32 v49, vcc_lo, 0, v32, vcc_lo
	s_delay_alu instid0(VALU_DEP_3) | instskip(SKIP_2) | instid1(VALU_DEP_1)
	v_and_b32_e32 v39, 0x1000, v39
	s_waitcnt vmcnt(0)
	v_lshrrev_b32_e32 v37, 4, v37
	v_and_b32_e32 v37, 0xf0f0f0f, v37
	s_delay_alu instid0(VALU_DEP_1) | instskip(SKIP_4) | instid1(VALU_DEP_4)
	v_or3_b32 v244, v125, v39, v37
	v_lshlrev_b32_e32 v37, 4, v134
	v_lshlrev_b32_e32 v39, 11, v134
	v_add_co_u32 v125, vcc_lo, v31, v158
	v_add_co_ci_u32_e32 v126, vcc_lo, 0, v32, vcc_lo
	v_and_b32_e32 v37, 16, v37
	s_delay_alu instid0(VALU_DEP_4) | instskip(NEXT) | instid1(VALU_DEP_1)
	v_and_b32_e32 v39, 0x1000, v39
	v_or3_b32 v130, v139, v37, v39
	v_lshlrev_b32_e32 v37, 4, v185
	v_lshlrev_b32_e32 v39, 11, v185
	s_delay_alu instid0(VALU_DEP_2) | instskip(NEXT) | instid1(VALU_DEP_2)
	v_and_b32_e32 v37, 16, v37
	v_and_b32_e32 v39, 0x1000, v39
	s_delay_alu instid0(VALU_DEP_1) | instskip(SKIP_2) | instid1(VALU_DEP_2)
	v_or3_b32 v55, v195, v37, v39
	v_lshlrev_b32_e32 v37, 4, v202
	v_lshlrev_b32_e32 v39, 11, v202
	v_and_b32_e32 v37, 16, v37
	s_delay_alu instid0(VALU_DEP_2) | instskip(NEXT) | instid1(VALU_DEP_1)
	v_and_b32_e32 v39, 0x1000, v39
	v_or3_b32 v50, v203, v37, v39
	global_load_b32 v37, v[48:49], off offset:72
	v_lshlrev_b32_e32 v39, 11, v205
	s_delay_alu instid0(VALU_DEP_1) | instskip(SKIP_2) | instid1(VALU_DEP_1)
	v_and_b32_e32 v39, 0x1000, v39
	s_waitcnt vmcnt(0)
	v_lshrrev_b32_e32 v37, 4, v37
	v_and_b32_e32 v37, 0xf0f0f0f, v37
	s_delay_alu instid0(VALU_DEP_1) | instskip(SKIP_2) | instid1(VALU_DEP_2)
	v_or3_b32 v243, v206, v39, v37
	v_lshlrev_b32_e32 v37, 4, v207
	v_lshlrev_b32_e32 v39, 11, v207
	v_and_b32_e32 v37, 16, v37
	s_delay_alu instid0(VALU_DEP_2) | instskip(NEXT) | instid1(VALU_DEP_1)
	v_and_b32_e32 v39, 0x1000, v39
	v_or3_b32 v129, v208, v37, v39
	v_lshlrev_b32_e32 v37, 4, v210
	v_lshlrev_b32_e32 v39, 11, v210
	s_delay_alu instid0(VALU_DEP_2) | instskip(NEXT) | instid1(VALU_DEP_2)
	v_and_b32_e32 v37, 16, v37
	v_and_b32_e32 v39, 0x1000, v39
	s_delay_alu instid0(VALU_DEP_1) | instskip(SKIP_2) | instid1(VALU_DEP_2)
	v_or3_b32 v54, v211, v37, v39
	v_lshlrev_b32_e32 v37, 4, v212
	v_lshlrev_b32_e32 v39, 11, v212
	v_and_b32_e32 v37, 16, v37
	s_delay_alu instid0(VALU_DEP_2) | instskip(NEXT) | instid1(VALU_DEP_1)
	v_and_b32_e32 v39, 0x1000, v39
	v_or3_b32 v49, v213, v37, v39
	global_load_b32 v37, v[125:126], off offset:94
	v_lshlrev_b32_e32 v39, 11, v215
	s_delay_alu instid0(VALU_DEP_1) | instskip(SKIP_2) | instid1(VALU_DEP_1)
	v_and_b32_e32 v39, 0x1000, v39
	s_waitcnt vmcnt(0)
	v_lshrrev_b32_e32 v37, 4, v37
	v_and_b32_e32 v37, 0xf0f0f0f, v37
	s_delay_alu instid0(VALU_DEP_1) | instskip(SKIP_2) | instid1(VALU_DEP_2)
	v_or3_b32 v241, v216, v39, v37
	v_lshlrev_b32_e32 v37, 4, v217
	v_lshlrev_b32_e32 v39, 11, v217
	v_and_b32_e32 v37, 16, v37
	s_delay_alu instid0(VALU_DEP_2) | instskip(NEXT) | instid1(VALU_DEP_1)
	v_and_b32_e32 v39, 0x1000, v39
	v_or3_b32 v57, v220, v37, v39
	v_lshlrev_b32_e32 v37, 4, v221
	v_lshlrev_b32_e32 v39, 11, v221
	s_delay_alu instid0(VALU_DEP_2) | instskip(NEXT) | instid1(VALU_DEP_2)
	v_and_b32_e32 v37, 16, v37
	v_and_b32_e32 v39, 0x1000, v39
	s_delay_alu instid0(VALU_DEP_1) | instskip(SKIP_2) | instid1(VALU_DEP_2)
	v_or3_b32 v52, v222, v37, v39
	v_lshlrev_b32_e32 v37, 4, v218
	v_lshlrev_b32_e32 v39, 11, v218
	v_and_b32_e32 v37, 16, v37
	s_delay_alu instid0(VALU_DEP_2) | instskip(NEXT) | instid1(VALU_DEP_1)
	v_and_b32_e32 v39, 0x1000, v39
	v_or3_b32 v48, v223, v37, v39
	v_ashrrev_i32_e32 v37, v163, v175
	s_delay_alu instid0(VALU_DEP_1) | instskip(SKIP_3) | instid1(VALU_DEP_4)
	v_lshlrev_b32_e32 v39, 4, v37
	v_lshlrev_b32_e32 v125, 18, v37
	;; [unrolled: 1-line block ×4, first 2 shown]
	v_and_b32_e32 v39, 16, v39
	s_delay_alu instid0(VALU_DEP_4) | instskip(NEXT) | instid1(VALU_DEP_4)
	v_and_b32_e32 v125, 0x100000, v125
	v_and_b32_e32 v126, 0x10000000, v126
	s_delay_alu instid0(VALU_DEP_4) | instskip(NEXT) | instid1(VALU_DEP_2)
	v_and_b32_e32 v37, 0x1000, v37
	v_or3_b32 v39, v125, v126, v39
	v_add_co_u32 v125, vcc_lo, v31, v161
	v_add_co_ci_u32_e32 v126, vcc_lo, 0, v32, vcc_lo
	global_load_b32 v125, v[125:126], off offset:116
	s_waitcnt vmcnt(0)
	v_lshrrev_b32_e32 v125, 4, v125
	s_delay_alu instid0(VALU_DEP_1) | instskip(NEXT) | instid1(VALU_DEP_1)
	v_and_b32_e32 v125, 0xf0f0f0f, v125
	v_or3_b32 v131, v39, v37, v125
	s_clause 0x2
	global_load_b32 v132, v[31:32], off offset:132
	global_load_u16 v37, v[31:32], off offset:136
	global_load_b32 v127, v[33:34], off offset:138
	s_waitcnt vmcnt(1)
	v_perm_b32 v37, v132, v37, 0x1000706
	s_waitcnt vmcnt(0)
	v_and_b32_e32 v128, 0xf0f0f0f, v127
	s_delay_alu instid0(VALU_DEP_2) | instskip(NEXT) | instid1(VALU_DEP_1)
	v_ashrrev_i32_e32 v39, v140, v37
	v_lshlrev_b32_e32 v125, 18, v39
	v_lshlrev_b32_e32 v126, 25, v39
	s_delay_alu instid0(VALU_DEP_2) | instskip(NEXT) | instid1(VALU_DEP_2)
	v_and_b32_e32 v125, 0x100000, v125
	v_and_b32_e32 v126, 0x10000000, v126
	s_delay_alu instid0(VALU_DEP_1) | instskip(SKIP_2) | instid1(VALU_DEP_2)
	v_or3_b32 v125, v126, v128, v125
	v_lshlrev_b32_e32 v126, 4, v39
	v_lshlrev_b32_e32 v39, 11, v39
	v_and_b32_e32 v126, 16, v126
	s_delay_alu instid0(VALU_DEP_2) | instskip(NEXT) | instid1(VALU_DEP_1)
	v_and_b32_e32 v39, 0x1000, v39
	v_or3_b32 v134, v125, v126, v39
	global_load_b32 v39, v[33:34], off offset:146
	v_ashrrev_i32_e32 v125, v146, v37
	s_delay_alu instid0(VALU_DEP_1) | instskip(SKIP_1) | instid1(VALU_DEP_2)
	v_lshlrev_b32_e32 v126, 18, v125
	v_lshlrev_b32_e32 v128, 25, v125
	v_and_b32_e32 v126, 0x100000, v126
	s_delay_alu instid0(VALU_DEP_2) | instskip(SKIP_2) | instid1(VALU_DEP_1)
	v_and_b32_e32 v128, 0x10000000, v128
	s_waitcnt vmcnt(0)
	v_and_b32_e32 v39, 0xf0f0f0f, v39
	v_or3_b32 v39, v128, v39, v126
	v_lshlrev_b32_e32 v126, 4, v125
	v_lshlrev_b32_e32 v125, 11, v125
	s_delay_alu instid0(VALU_DEP_2) | instskip(NEXT) | instid1(VALU_DEP_2)
	v_and_b32_e32 v126, 16, v126
	v_and_b32_e32 v125, 0x1000, v125
	s_delay_alu instid0(VALU_DEP_1) | instskip(SKIP_3) | instid1(VALU_DEP_3)
	v_or3_b32 v139, v39, v126, v125
	v_ashrrev_i32_e32 v125, v147, v37
	v_lshrrev_b32_e32 v39, 4, v127
	v_ashrrev_i32_e32 v37, v166, v37
	v_lshlrev_b32_e32 v126, 18, v125
	v_lshlrev_b32_e32 v127, 25, v125
	s_delay_alu instid0(VALU_DEP_4) | instskip(NEXT) | instid1(VALU_DEP_3)
	v_and_b32_e32 v39, 0xf0f0f0f, v39
	v_and_b32_e32 v126, 0x100000, v126
	s_delay_alu instid0(VALU_DEP_3) | instskip(NEXT) | instid1(VALU_DEP_1)
	v_and_b32_e32 v127, 0x10000000, v127
	v_or3_b32 v39, v127, v39, v126
	v_lshlrev_b32_e32 v126, 4, v125
	v_lshlrev_b32_e32 v125, 11, v125
	s_delay_alu instid0(VALU_DEP_2) | instskip(NEXT) | instid1(VALU_DEP_2)
	v_and_b32_e32 v126, 16, v126
	v_and_b32_e32 v125, 0x1000, v125
	s_delay_alu instid0(VALU_DEP_1) | instskip(SKIP_4) | instid1(VALU_DEP_4)
	v_or3_b32 v246, v39, v126, v125
	v_lshlrev_b32_e32 v39, 4, v37
	v_lshlrev_b32_e32 v125, 18, v37
	;; [unrolled: 1-line block ×4, first 2 shown]
	v_and_b32_e32 v39, 16, v39
	s_delay_alu instid0(VALU_DEP_4) | instskip(NEXT) | instid1(VALU_DEP_4)
	v_and_b32_e32 v125, 0x100000, v125
	v_and_b32_e32 v126, 0x10000000, v126
	s_delay_alu instid0(VALU_DEP_4) | instskip(NEXT) | instid1(VALU_DEP_2)
	v_and_b32_e32 v37, 0x1000, v37
	v_or3_b32 v39, v125, v126, v39
	v_add_co_u32 v125, vcc_lo, v31, v164
	v_add_co_ci_u32_e32 v126, vcc_lo, 0, v32, vcc_lo
	global_load_b32 v125, v[125:126], off offset:138
	s_waitcnt vmcnt(0)
	v_lshrrev_b32_e32 v125, 4, v125
	s_delay_alu instid0(VALU_DEP_1) | instskip(NEXT) | instid1(VALU_DEP_1)
	v_and_b32_e32 v125, 0xf0f0f0f, v125
	v_or3_b32 v125, v39, v37, v125
	s_clause 0x2
	global_load_b32 v175, v[31:32], off offset:154
	global_load_u16 v37, v[31:32], off offset:158
	global_load_b32 v128, v[33:34], off offset:160
	v_add_co_u32 v31, vcc_lo, v31, v168
	v_add_co_ci_u32_e32 v32, vcc_lo, 0, v32, vcc_lo
	s_clause 0x1
	global_load_b32 v31, v[31:32], off offset:160
	global_load_b32 v33, v[33:34], off offset:168
	s_waitcnt vmcnt(3)
	v_perm_b32 v37, v175, v37, 0x1000706
	s_waitcnt vmcnt(2)
	v_and_b32_e32 v185, 0xf0f0f0f, v128
	s_delay_alu instid0(VALU_DEP_2) | instskip(SKIP_3) | instid1(VALU_DEP_3)
	v_ashrrev_i32_e32 v39, v140, v37
	v_ashrrev_i32_e32 v34, v146, v37
	s_waitcnt vmcnt(1)
	v_lshrrev_b32_e32 v31, 4, v31
	v_lshlrev_b32_e32 v126, 18, v39
	v_lshlrev_b32_e32 v127, 25, v39
	s_waitcnt vmcnt(0)
	v_and_b32_e32 v33, 0xf0f0f0f, v33
	v_and_b32_e32 v31, 0xf0f0f0f, v31
	;; [unrolled: 1-line block ×4, first 2 shown]
	s_delay_alu instid0(VALU_DEP_1) | instskip(SKIP_2) | instid1(VALU_DEP_2)
	v_or3_b32 v126, v127, v185, v126
	v_lshlrev_b32_e32 v127, 4, v39
	v_lshlrev_b32_e32 v39, 11, v39
	v_and_b32_e32 v127, 16, v127
	s_delay_alu instid0(VALU_DEP_2) | instskip(NEXT) | instid1(VALU_DEP_1)
	v_and_b32_e32 v39, 0x1000, v39
	v_or3_b32 v126, v126, v127, v39
	v_lshlrev_b32_e32 v39, 18, v34
	v_lshlrev_b32_e32 v127, 25, v34
	s_delay_alu instid0(VALU_DEP_2) | instskip(NEXT) | instid1(VALU_DEP_2)
	v_and_b32_e32 v39, 0x100000, v39
	v_and_b32_e32 v127, 0x10000000, v127
	s_delay_alu instid0(VALU_DEP_1) | instskip(SKIP_2) | instid1(VALU_DEP_2)
	v_or3_b32 v33, v127, v33, v39
	v_lshlrev_b32_e32 v39, 4, v34
	v_lshlrev_b32_e32 v34, 11, v34
	v_and_b32_e32 v39, 16, v39
	s_delay_alu instid0(VALU_DEP_2) | instskip(NEXT) | instid1(VALU_DEP_1)
	v_and_b32_e32 v34, 0x1000, v34
	v_or3_b32 v33, v33, v39, v34
	v_ashrrev_i32_e32 v39, v147, v37
	v_lshrrev_b32_e32 v34, 4, v128
	v_ashrrev_i32_e32 v37, v169, v37
	s_delay_alu instid0(VALU_DEP_3) | instskip(SKIP_1) | instid1(VALU_DEP_4)
	v_lshlrev_b32_e32 v127, 18, v39
	v_lshlrev_b32_e32 v128, 25, v39
	v_and_b32_e32 v34, 0xf0f0f0f, v34
	s_delay_alu instid0(VALU_DEP_4) | instskip(NEXT) | instid1(VALU_DEP_4)
	v_lshlrev_b32_e32 v32, 11, v37
	v_and_b32_e32 v127, 0x100000, v127
	s_delay_alu instid0(VALU_DEP_4) | instskip(NEXT) | instid1(VALU_DEP_3)
	v_and_b32_e32 v128, 0x10000000, v128
	v_and_b32_e32 v32, 0x1000, v32
	s_delay_alu instid0(VALU_DEP_2) | instskip(SKIP_3) | instid1(VALU_DEP_3)
	v_or3_b32 v34, v128, v34, v127
	v_lshlrev_b32_e32 v127, 4, v39
	v_lshlrev_b32_e32 v39, 11, v39
	v_lshlrev_b32_e32 v128, 25, v37
	v_and_b32_e32 v127, 16, v127
	s_delay_alu instid0(VALU_DEP_3) | instskip(NEXT) | instid1(VALU_DEP_3)
	v_and_b32_e32 v39, 0x1000, v39
	v_and_b32_e32 v128, 0x10000000, v128
	s_delay_alu instid0(VALU_DEP_2) | instskip(SKIP_3) | instid1(VALU_DEP_3)
	v_or3_b32 v34, v34, v127, v39
	v_lshlrev_b32_e32 v39, 4, v37
	v_lshlrev_b32_e32 v127, 18, v37
	v_dot4_i32_iu8 v37, v47, v62, 0 neg_lo:[1,1,0]
	v_and_b32_e32 v39, 16, v39
	s_delay_alu instid0(VALU_DEP_3) | instskip(NEXT) | instid1(VALU_DEP_3)
	v_and_b32_e32 v127, 0x100000, v127
	v_cvt_f32_i32_e32 v37, v37
	s_delay_alu instid0(VALU_DEP_2) | instskip(NEXT) | instid1(VALU_DEP_2)
	v_or3_b32 v39, v127, v128, v39
	v_fma_f32 v37, v0, v37, -v1
	s_delay_alu instid0(VALU_DEP_2) | instskip(SKIP_1) | instid1(VALU_DEP_1)
	v_or3_b32 v31, v39, v32, v31
	v_dot4_i32_iu8 v32, v46, v61, 0 neg_lo:[1,1,0]
	v_cvt_f32_i32_e32 v32, v32
	s_delay_alu instid0(VALU_DEP_1) | instskip(NEXT) | instid1(VALU_DEP_1)
	v_fma_f32 v32, v0, v32, -v1
	v_fma_mix_f32 v32, v32, v38, 0 op_sel_hi:[0,1,0]
	s_delay_alu instid0(VALU_DEP_1) | instskip(SKIP_1) | instid1(VALU_DEP_1)
	v_fma_mix_f32 v32, v37, v38, v32 op_sel_hi:[0,1,0]
	v_dot4_i32_iu8 v37, v45, v63, 0 neg_lo:[1,1,0]
	v_cvt_f32_i32_e32 v37, v37
	s_delay_alu instid0(VALU_DEP_1) | instskip(NEXT) | instid1(VALU_DEP_1)
	v_fma_f32 v37, v0, v37, -v1
	v_fma_mix_f32 v32, v37, v38, v32 op_sel_hi:[0,1,0]
	v_dot4_i32_iu8 v37, v138, v64, 0 neg_lo:[1,1,0]
	s_delay_alu instid0(VALU_DEP_1) | instskip(NEXT) | instid1(VALU_DEP_1)
	v_cvt_f32_i32_e32 v37, v37
	v_fma_f32 v37, v0, v37, -v1
	s_delay_alu instid0(VALU_DEP_1) | instskip(SKIP_1) | instid1(VALU_DEP_1)
	v_fma_mix_f32 v32, v37, v38, v32 op_sel_hi:[0,1,0]
	v_dot4_i32_iu8 v37, v242, v65, 0 neg_lo:[1,1,0]
	v_cvt_f32_i32_e32 v37, v37
	s_delay_alu instid0(VALU_DEP_1) | instskip(NEXT) | instid1(VALU_DEP_1)
	v_fma_f32 v37, v2, v37, -v3
	v_fma_mix_f32 v32, v37, v40, v32 op_sel_hi:[0,1,0]
	v_dot4_i32_iu8 v37, v58, v66, 0 neg_lo:[1,1,0]
	s_delay_alu instid0(VALU_DEP_1) | instskip(NEXT) | instid1(VALU_DEP_1)
	v_cvt_f32_i32_e32 v37, v37
	v_fma_f32 v37, v2, v37, -v3
	;; [unrolled: 11-line block ×15, first 2 shown]
	s_delay_alu instid0(VALU_DEP_1) | instskip(SKIP_3) | instid1(VALU_DEP_1)
	v_fma_mix_f32 v32, v37, v175, v32 op_sel_hi:[0,1,0]
	ds_bpermute_b32 v37, v172, v32
	s_waitcnt lgkmcnt(0)
	v_add_f32_e32 v32, v32, v37
                                        ; implicit-def: $vgpr37
	v_cmp_ngt_f32_e64 s21, 0x3f200000, |v32|
	s_delay_alu instid0(VALU_DEP_1) | instskip(NEXT) | instid1(SALU_CYCLE_1)
	s_and_saveexec_b32 s22, s21
	s_xor_b32 s21, exec_lo, s22
	s_cbranch_execz .LBB31_23
; %bb.22:                               ;   in Loop: Header=BB31_21 Depth=1
	v_add_f32_e64 v37, |v32|, |v32|
	s_delay_alu instid0(VALU_DEP_1) | instskip(SKIP_1) | instid1(VALU_DEP_2)
	v_mul_f32_e32 v39, 0x3fb8aa3b, v37
	v_cmp_ngt_f32_e32 vcc_lo, 0xc2ce8ed0, v37
	v_rndne_f32_e32 v127, v39
	v_fma_f32 v128, 0x3fb8aa3b, v37, -v39
	s_delay_alu instid0(VALU_DEP_1) | instskip(SKIP_1) | instid1(VALU_DEP_2)
	v_dual_sub_f32 v39, v39, v127 :: v_dual_fmac_f32 v128, 0x32a5705f, v37
	v_cvt_i32_f32_e32 v127, v127
	v_add_f32_e32 v39, v39, v128
	s_delay_alu instid0(VALU_DEP_1) | instskip(SKIP_2) | instid1(VALU_DEP_1)
	v_exp_f32_e32 v39, v39
	s_waitcnt_depctr 0xfff
	v_ldexp_f32 v39, v39, v127
	v_cndmask_b32_e32 v39, 0, v39, vcc_lo
	v_cmp_nlt_f32_e32 vcc_lo, 0x42b17218, v37
	s_delay_alu instid0(VALU_DEP_2) | instskip(NEXT) | instid1(VALU_DEP_1)
	v_cndmask_b32_e32 v37, 0x7f800000, v39, vcc_lo
	v_add_f32_e32 v37, 1.0, v37
	s_delay_alu instid0(VALU_DEP_1)
	v_rcp_f32_e32 v37, v37
	s_waitcnt_depctr 0xfff
	v_fma_f32 v37, v37, -2.0, 1.0
.LBB31_23:                              ;   in Loop: Header=BB31_21 Depth=1
	s_and_not1_saveexec_b32 s21, s21
; %bb.24:                               ;   in Loop: Header=BB31_21 Depth=1
	v_mul_f32_e32 v37, v32, v32
	s_delay_alu instid0(VALU_DEP_1) | instskip(NEXT) | instid1(VALU_DEP_1)
	v_fmaak_f32 v39, s20, v37, 0x3ca908c9
	v_fmaak_f32 v39, v37, v39, 0xbd5c1c4e
	s_delay_alu instid0(VALU_DEP_1) | instskip(NEXT) | instid1(VALU_DEP_1)
	v_fmaak_f32 v39, v37, v39, 0x3e088382
	v_fmaak_f32 v39, v37, v39, 0xbeaaaa99
	s_delay_alu instid0(VALU_DEP_1) | instskip(NEXT) | instid1(VALU_DEP_1)
	v_mul_f32_e64 v39, |v32|, v39
	v_fma_f32 v37, v37, v39, |v32|
; %bb.25:                               ;   in Loop: Header=BB31_21 Depth=1
	s_or_b32 exec_lo, exec_lo, s21
	s_delay_alu instid0(VALU_DEP_1) | instskip(SKIP_2) | instid1(VALU_DEP_2)
	v_bfi_b32 v32, 0x7fffffff, v37, v32
	v_lshlrev_b32_e32 v39, 1, v143
	s_and_not1_b32 vcc_lo, exec_lo, s19
	v_mul_f32_e32 v37, s37, v32
	s_cbranch_vccnz .LBB31_27
; %bb.26:                               ;   in Loop: Header=BB31_21 Depth=1
	global_load_u16 v32, v39, s[4:5]
	s_waitcnt vmcnt(0)
	v_fma_mix_f32 v37, v135, v32, v37 op_sel_hi:[0,1,0]
.LBB31_27:                              ;   in Loop: Header=BB31_21 Depth=1
	v_dot4_i32_iu8 v32, v46, v93, 0 neg_lo:[1,1,0]
	v_dot4_i32_iu8 v46, v47, v94, 0 neg_lo:[1,1,0]
	v_cvt_f32_f16_e32 v38, v38
	v_dot4_i32_iu8 v45, v45, v95, 0 neg_lo:[1,1,0]
	v_cvt_f32_f16_e32 v40, v40
	v_cvt_f32_i32_e32 v32, v32
	v_cvt_f32_i32_e32 v46, v46
	v_dot4_i32_iu8 v33, v33, v122, 0 neg_lo:[1,1,0]
	v_cvt_f32_i32_e32 v45, v45
	v_dot4_i32_iu8 v31, v31, v124, 0 neg_lo:[1,1,0]
	v_fma_f32 v32, v16, v32, -v17
	v_fma_f32 v46, v16, v46, -v17
	v_cvt_f32_i32_e32 v33, v33
	v_fma_f32 v45, v16, v45, -v17
	v_cvt_f32_i32_e32 v31, v31
	v_fma_f32 v32, v32, v38, 0
	s_delay_alu instid0(VALU_DEP_4) | instskip(NEXT) | instid1(VALU_DEP_3)
	v_fma_f32 v33, v30, v33, -v181
	v_fma_f32 v31, v30, v31, -v181
	s_delay_alu instid0(VALU_DEP_3) | instskip(NEXT) | instid1(VALU_DEP_1)
	v_fmac_f32_e32 v32, v46, v38
	v_fmac_f32_e32 v32, v45, v38
	v_dot4_i32_iu8 v45, v138, v96, 0 neg_lo:[1,1,0]
	s_delay_alu instid0(VALU_DEP_1) | instskip(NEXT) | instid1(VALU_DEP_1)
	v_cvt_f32_i32_e32 v45, v45
	v_fma_f32 v45, v16, v45, -v17
	s_delay_alu instid0(VALU_DEP_1) | instskip(SKIP_1) | instid1(VALU_DEP_1)
	v_fmac_f32_e32 v32, v45, v38
	v_dot4_i32_iu8 v38, v242, v97, 0 neg_lo:[1,1,0]
	v_cvt_f32_i32_e32 v38, v38
	s_delay_alu instid0(VALU_DEP_1) | instskip(NEXT) | instid1(VALU_DEP_1)
	v_fma_f32 v38, v18, v38, -v19
	v_fmac_f32_e32 v32, v38, v40
	v_dot4_i32_iu8 v38, v58, v98, 0 neg_lo:[1,1,0]
	s_delay_alu instid0(VALU_DEP_1) | instskip(NEXT) | instid1(VALU_DEP_1)
	v_cvt_f32_i32_e32 v38, v38
	v_fma_f32 v38, v18, v38, -v19
	s_delay_alu instid0(VALU_DEP_1) | instskip(SKIP_1) | instid1(VALU_DEP_1)
	v_fmac_f32_e32 v32, v38, v40
	v_dot4_i32_iu8 v38, v53, v99, 0 neg_lo:[1,1,0]
	v_cvt_f32_i32_e32 v38, v38
	s_delay_alu instid0(VALU_DEP_1) | instskip(NEXT) | instid1(VALU_DEP_1)
	v_fma_f32 v38, v18, v38, -v19
	v_fmac_f32_e32 v32, v38, v40
	v_dot4_i32_iu8 v38, v245, v100, 0 neg_lo:[1,1,0]
	s_delay_alu instid0(VALU_DEP_1) | instskip(NEXT) | instid1(VALU_DEP_1)
	v_cvt_f32_i32_e32 v38, v38
	v_fma_f32 v38, v18, v38, -v19
	s_delay_alu instid0(VALU_DEP_1) | instskip(SKIP_2) | instid1(VALU_DEP_2)
	v_fmac_f32_e32 v32, v38, v40
	v_dot4_i32_iu8 v38, v133, v101, 0 neg_lo:[1,1,0]
	v_cvt_f32_f16_e32 v40, v41
	v_cvt_f32_i32_e32 v38, v38
	s_delay_alu instid0(VALU_DEP_1) | instskip(NEXT) | instid1(VALU_DEP_1)
	v_fma_f32 v38, v20, v38, -v21
	v_fmac_f32_e32 v32, v38, v40
	v_dot4_i32_iu8 v38, v56, v102, 0 neg_lo:[1,1,0]
	s_delay_alu instid0(VALU_DEP_1) | instskip(NEXT) | instid1(VALU_DEP_1)
	v_cvt_f32_i32_e32 v38, v38
	v_fma_f32 v38, v20, v38, -v21
	s_delay_alu instid0(VALU_DEP_1) | instskip(SKIP_1) | instid1(VALU_DEP_1)
	v_fmac_f32_e32 v32, v38, v40
	v_dot4_i32_iu8 v38, v51, v103, 0 neg_lo:[1,1,0]
	v_cvt_f32_i32_e32 v38, v38
	s_delay_alu instid0(VALU_DEP_1) | instskip(NEXT) | instid1(VALU_DEP_1)
	v_fma_f32 v38, v20, v38, -v21
	v_fmac_f32_e32 v32, v38, v40
	v_dot4_i32_iu8 v38, v244, v104, 0 neg_lo:[1,1,0]
	s_delay_alu instid0(VALU_DEP_1) | instskip(NEXT) | instid1(VALU_DEP_1)
	v_cvt_f32_i32_e32 v38, v38
	v_fma_f32 v38, v20, v38, -v21
	s_delay_alu instid0(VALU_DEP_1) | instskip(SKIP_2) | instid1(VALU_DEP_2)
	v_fmac_f32_e32 v32, v38, v40
	v_dot4_i32_iu8 v38, v130, v105, 0 neg_lo:[1,1,0]
	v_cvt_f32_f16_e32 v40, v42
	;; [unrolled: 23-line block ×4, first 2 shown]
	v_cvt_f32_i32_e32 v38, v38
	s_delay_alu instid0(VALU_DEP_1) | instskip(NEXT) | instid1(VALU_DEP_1)
	v_fma_f32 v38, v26, v38, -v27
	v_fmac_f32_e32 v32, v38, v40
	v_dot4_i32_iu8 v38, v52, v114, 0 neg_lo:[1,1,0]
	s_delay_alu instid0(VALU_DEP_1) | instskip(NEXT) | instid1(VALU_DEP_1)
	v_cvt_f32_i32_e32 v38, v38
	v_fma_f32 v38, v26, v38, -v27
	s_delay_alu instid0(VALU_DEP_1) | instskip(SKIP_1) | instid1(VALU_DEP_1)
	v_fmac_f32_e32 v32, v38, v40
	v_dot4_i32_iu8 v38, v48, v115, 0 neg_lo:[1,1,0]
	v_cvt_f32_i32_e32 v38, v38
	s_delay_alu instid0(VALU_DEP_1) | instskip(NEXT) | instid1(VALU_DEP_1)
	v_fma_f32 v38, v26, v38, -v27
	v_fmac_f32_e32 v32, v38, v40
	v_dot4_i32_iu8 v38, v131, v116, 0 neg_lo:[1,1,0]
	s_delay_alu instid0(VALU_DEP_1) | instskip(NEXT) | instid1(VALU_DEP_1)
	v_cvt_f32_i32_e32 v38, v38
	v_fma_f32 v38, v26, v38, -v27
	s_delay_alu instid0(VALU_DEP_1) | instskip(SKIP_2) | instid1(VALU_DEP_2)
	v_fmac_f32_e32 v32, v38, v40
	v_dot4_i32_iu8 v38, v134, v117, 0 neg_lo:[1,1,0]
	v_cvt_f32_f16_e64 v40, v132
	v_cvt_f32_i32_e32 v38, v38
	s_delay_alu instid0(VALU_DEP_1) | instskip(NEXT) | instid1(VALU_DEP_1)
	v_fma_f32 v38, v28, v38, -v29
	v_fmac_f32_e32 v32, v38, v40
	v_dot4_i32_iu8 v38, v139, v118, 0 neg_lo:[1,1,0]
	s_delay_alu instid0(VALU_DEP_1) | instskip(NEXT) | instid1(VALU_DEP_1)
	v_cvt_f32_i32_e32 v38, v38
	v_fma_f32 v38, v28, v38, -v29
	s_delay_alu instid0(VALU_DEP_1) | instskip(SKIP_1) | instid1(VALU_DEP_1)
	v_fmac_f32_e32 v32, v38, v40
	v_dot4_i32_iu8 v38, v246, v119, 0 neg_lo:[1,1,0]
	v_cvt_f32_i32_e32 v38, v38
	s_delay_alu instid0(VALU_DEP_1) | instskip(NEXT) | instid1(VALU_DEP_1)
	v_fma_f32 v38, v28, v38, -v29
	v_fmac_f32_e32 v32, v38, v40
	v_dot4_i32_iu8 v38, v125, v120, 0 neg_lo:[1,1,0]
	s_delay_alu instid0(VALU_DEP_1) | instskip(NEXT) | instid1(VALU_DEP_1)
	v_cvt_f32_i32_e32 v38, v38
	v_fma_f32 v38, v28, v38, -v29
	s_delay_alu instid0(VALU_DEP_1) | instskip(SKIP_2) | instid1(VALU_DEP_2)
	v_fmac_f32_e32 v32, v38, v40
	v_dot4_i32_iu8 v38, v126, v121, 0 neg_lo:[1,1,0]
	v_cvt_f32_f16_e64 v40, v175
	v_cvt_f32_i32_e32 v38, v38
	s_delay_alu instid0(VALU_DEP_1) | instskip(NEXT) | instid1(VALU_DEP_1)
	v_fma_f32 v38, v30, v38, -v181
	v_fmac_f32_e32 v32, v38, v40
	s_delay_alu instid0(VALU_DEP_1) | instskip(SKIP_1) | instid1(VALU_DEP_1)
	v_fmac_f32_e32 v32, v33, v40
	v_dot4_i32_iu8 v33, v34, v123, 0 neg_lo:[1,1,0]
	v_cvt_f32_i32_e32 v33, v33
	s_delay_alu instid0(VALU_DEP_1) | instskip(NEXT) | instid1(VALU_DEP_1)
	v_fma_f32 v33, v30, v33, -v181
	v_fmac_f32_e32 v32, v33, v40
	s_delay_alu instid0(VALU_DEP_1) | instskip(SKIP_3) | instid1(VALU_DEP_1)
	v_fmac_f32_e32 v32, v31, v40
	ds_bpermute_b32 v31, v172, v32
	s_waitcnt lgkmcnt(0)
	v_add_f32_e32 v31, v32, v31
                                        ; implicit-def: $vgpr32
	v_cmp_ngt_f32_e64 s21, 0x3f200000, |v31|
	s_delay_alu instid0(VALU_DEP_1) | instskip(NEXT) | instid1(SALU_CYCLE_1)
	s_and_saveexec_b32 s22, s21
	s_xor_b32 s21, exec_lo, s22
	s_cbranch_execz .LBB31_29
; %bb.28:                               ;   in Loop: Header=BB31_21 Depth=1
	v_add_f32_e64 v32, |v31|, |v31|
	s_delay_alu instid0(VALU_DEP_1) | instskip(SKIP_1) | instid1(VALU_DEP_2)
	v_mul_f32_e32 v33, 0x3fb8aa3b, v32
	v_cmp_ngt_f32_e32 vcc_lo, 0xc2ce8ed0, v32
	v_rndne_f32_e32 v34, v33
	v_fma_f32 v38, 0x3fb8aa3b, v32, -v33
	s_delay_alu instid0(VALU_DEP_1) | instskip(SKIP_1) | instid1(VALU_DEP_2)
	v_dual_sub_f32 v33, v33, v34 :: v_dual_fmac_f32 v38, 0x32a5705f, v32
	v_cvt_i32_f32_e32 v34, v34
	v_add_f32_e32 v33, v33, v38
	s_delay_alu instid0(VALU_DEP_1) | instskip(SKIP_2) | instid1(VALU_DEP_1)
	v_exp_f32_e32 v33, v33
	s_waitcnt_depctr 0xfff
	v_ldexp_f32 v33, v33, v34
	v_cndmask_b32_e32 v33, 0, v33, vcc_lo
	v_cmp_nlt_f32_e32 vcc_lo, 0x42b17218, v32
	s_delay_alu instid0(VALU_DEP_2) | instskip(NEXT) | instid1(VALU_DEP_1)
	v_cndmask_b32_e32 v32, 0x7f800000, v33, vcc_lo
	v_add_f32_e32 v32, 1.0, v32
	s_delay_alu instid0(VALU_DEP_1)
	v_rcp_f32_e32 v32, v32
	s_waitcnt_depctr 0xfff
	v_fma_f32 v32, v32, -2.0, 1.0
.LBB31_29:                              ;   in Loop: Header=BB31_21 Depth=1
	s_and_not1_saveexec_b32 s21, s21
; %bb.30:                               ;   in Loop: Header=BB31_21 Depth=1
	v_mul_f32_e32 v32, v31, v31
	s_delay_alu instid0(VALU_DEP_1) | instskip(NEXT) | instid1(VALU_DEP_1)
	v_fmaak_f32 v33, s20, v32, 0x3ca908c9
	v_fmaak_f32 v33, v32, v33, 0xbd5c1c4e
	s_delay_alu instid0(VALU_DEP_1) | instskip(NEXT) | instid1(VALU_DEP_1)
	v_fmaak_f32 v33, v32, v33, 0x3e088382
	v_fmaak_f32 v33, v32, v33, 0xbeaaaa99
	s_delay_alu instid0(VALU_DEP_1) | instskip(NEXT) | instid1(VALU_DEP_1)
	v_mul_f32_e64 v33, |v31|, v33
	v_fma_f32 v32, v32, v33, |v31|
; %bb.31:                               ;   in Loop: Header=BB31_21 Depth=1
	s_or_b32 exec_lo, exec_lo, s21
	s_delay_alu instid0(VALU_DEP_1) | instskip(SKIP_1) | instid1(VALU_DEP_1)
	v_bfi_b32 v31, 0x7fffffff, v32, v31
	s_and_not1_b32 vcc_lo, exec_lo, s16
	v_mul_f32_e32 v38, s37, v31
	s_cbranch_vccnz .LBB31_33
; %bb.32:                               ;   in Loop: Header=BB31_21 Depth=1
	scratch_load_b64 v[31:32], off, off     ; 8-byte Folded Reload
	s_waitcnt vmcnt(0)
	v_add_co_u32 v31, vcc_lo, s4, v31
	v_add_co_ci_u32_e32 v32, vcc_lo, s5, v32, vcc_lo
	global_load_u16 v31, v[31:32], off
	s_waitcnt vmcnt(0)
	v_fma_mix_f32 v38, v135, v31, v38 op_sel_hi:[0,1,0]
.LBB31_33:                              ;   in Loop: Header=BB31_21 Depth=1
	v_ashrrev_i32_e32 v32, 31, v183
	v_add_co_u32 v31, vcc_lo, s13, v183
	s_delay_alu instid0(VALU_DEP_2)
	v_add_co_ci_u32_e32 v32, vcc_lo, s17, v32, vcc_lo
	s_clause 0x1
	global_load_b32 v40, v[31:32], off
	global_load_u16 v33, v[31:32], off offset:4
	s_waitcnt vmcnt(0)
	v_perm_b32 v41, v40, v33, 0x1000706
	v_add_co_u32 v33, vcc_lo, v31, v140
	v_add_co_ci_u32_e32 v34, vcc_lo, 0, v32, vcc_lo
	s_delay_alu instid0(VALU_DEP_3)
	v_ashrrev_i32_e32 v46, v140, v41
	v_ashrrev_i32_e32 v48, v146, v41
	;; [unrolled: 1-line block ×3, first 2 shown]
	global_load_b32 v44, v[33:34], off offset:6
	v_ashrrev_i32_e32 v49, v145, v41
	v_lshlrev_b32_e32 v42, 18, v46
	v_lshlrev_b32_e32 v43, 25, v46
	s_delay_alu instid0(VALU_DEP_3) | instskip(NEXT) | instid1(VALU_DEP_3)
	v_lshlrev_b32_e32 v41, 4, v49
	v_and_b32_e32 v42, 0x100000, v42
	s_delay_alu instid0(VALU_DEP_3) | instskip(NEXT) | instid1(VALU_DEP_3)
	v_and_b32_e32 v43, 0x10000000, v43
	v_and_b32_e32 v41, 16, v41
	s_waitcnt vmcnt(0)
	v_and_b32_e32 v45, 0xf0f0f0f, v44
	s_delay_alu instid0(VALU_DEP_1) | instskip(SKIP_3) | instid1(VALU_DEP_2)
	v_or3_b32 v47, v43, v45, v42
	global_load_b32 v42, v[33:34], off offset:14
	v_lshlrev_b32_e32 v43, 18, v48
	v_lshlrev_b32_e32 v45, 25, v48
	v_and_b32_e32 v43, 0x100000, v43
	s_delay_alu instid0(VALU_DEP_2) | instskip(SKIP_2) | instid1(VALU_DEP_1)
	v_and_b32_e32 v45, 0x10000000, v45
	s_waitcnt vmcnt(0)
	v_and_b32_e32 v42, 0xf0f0f0f, v42
	v_or3_b32 v129, v45, v42, v43
	v_lshrrev_b32_e32 v42, 4, v44
	v_lshlrev_b32_e32 v43, 18, v134
	v_lshlrev_b32_e32 v44, 25, v134
	s_delay_alu instid0(VALU_DEP_3) | instskip(NEXT) | instid1(VALU_DEP_3)
	v_and_b32_e32 v42, 0xf0f0f0f, v42
	v_and_b32_e32 v43, 0x100000, v43
	s_delay_alu instid0(VALU_DEP_3) | instskip(NEXT) | instid1(VALU_DEP_1)
	v_and_b32_e32 v44, 0x10000000, v44
	v_or3_b32 v138, v44, v42, v43
	v_lshlrev_b32_e32 v42, 18, v49
	v_lshlrev_b32_e32 v43, 25, v49
	;; [unrolled: 1-line block ×3, first 2 shown]
	s_delay_alu instid0(VALU_DEP_3) | instskip(NEXT) | instid1(VALU_DEP_3)
	v_and_b32_e32 v42, 0x100000, v42
	v_and_b32_e32 v43, 0x10000000, v43
	s_delay_alu instid0(VALU_DEP_3) | instskip(NEXT) | instid1(VALU_DEP_2)
	v_and_b32_e32 v49, 0x1000, v49
	v_or3_b32 v50, v42, v43, v41
	s_clause 0x2
	global_load_b32 v41, v[31:32], off offset:22
	global_load_u16 v42, v[31:32], off offset:26
	global_load_b32 v45, v[33:34], off offset:28
	s_waitcnt vmcnt(1)
	v_perm_b32 v42, v41, v42, 0x1000706
	s_waitcnt vmcnt(0)
	v_and_b32_e32 v51, 0xf0f0f0f, v45
	s_delay_alu instid0(VALU_DEP_2) | instskip(SKIP_2) | instid1(VALU_DEP_3)
	v_ashrrev_i32_e32 v53, v140, v42
	v_ashrrev_i32_e32 v55, v146, v42
	;; [unrolled: 1-line block ×3, first 2 shown]
	v_lshlrev_b32_e32 v43, 18, v53
	v_lshlrev_b32_e32 v44, 25, v53
	s_delay_alu instid0(VALU_DEP_2) | instskip(NEXT) | instid1(VALU_DEP_2)
	v_and_b32_e32 v43, 0x100000, v43
	v_and_b32_e32 v44, 0x10000000, v44
	s_delay_alu instid0(VALU_DEP_1) | instskip(SKIP_3) | instid1(VALU_DEP_2)
	v_or3_b32 v54, v44, v51, v43
	global_load_b32 v43, v[33:34], off offset:36
	v_lshlrev_b32_e32 v44, 18, v55
	v_lshlrev_b32_e32 v51, 25, v55
	v_and_b32_e32 v44, 0x100000, v44
	s_delay_alu instid0(VALU_DEP_2) | instskip(SKIP_2) | instid1(VALU_DEP_1)
	v_and_b32_e32 v51, 0x10000000, v51
	s_waitcnt vmcnt(0)
	v_and_b32_e32 v43, 0xf0f0f0f, v43
	v_or3_b32 v56, v51, v43, v44
	v_lshrrev_b32_e32 v43, 4, v45
	v_lshlrev_b32_e32 v44, 18, v57
	v_lshlrev_b32_e32 v45, 25, v57
	v_ashrrev_i32_e32 v51, v151, v42
	s_delay_alu instid0(VALU_DEP_4) | instskip(NEXT) | instid1(VALU_DEP_4)
	v_and_b32_e32 v43, 0xf0f0f0f, v43
	v_and_b32_e32 v44, 0x100000, v44
	s_delay_alu instid0(VALU_DEP_4) | instskip(NEXT) | instid1(VALU_DEP_4)
	v_and_b32_e32 v45, 0x10000000, v45
	v_lshlrev_b32_e32 v42, 4, v51
	s_delay_alu instid0(VALU_DEP_2) | instskip(SKIP_2) | instid1(VALU_DEP_4)
	v_or3_b32 v58, v45, v43, v44
	v_lshlrev_b32_e32 v43, 18, v51
	v_lshlrev_b32_e32 v44, 25, v51
	v_and_b32_e32 v42, 16, v42
	s_delay_alu instid0(VALU_DEP_3) | instskip(NEXT) | instid1(VALU_DEP_3)
	v_and_b32_e32 v43, 0x100000, v43
	v_and_b32_e32 v44, 0x10000000, v44
	s_delay_alu instid0(VALU_DEP_1)
	v_or3_b32 v52, v43, v44, v42
	s_clause 0x2
	global_load_b32 v42, v[31:32], off offset:44
	global_load_u16 v43, v[31:32], off offset:48
	global_load_b32 v125, v[33:34], off offset:50
	s_waitcnt vmcnt(1)
	v_perm_b32 v43, v42, v43, 0x1000706
	s_waitcnt vmcnt(0)
	v_and_b32_e32 v126, 0xf0f0f0f, v125
	s_delay_alu instid0(VALU_DEP_2) | instskip(SKIP_2) | instid1(VALU_DEP_3)
	v_ashrrev_i32_e32 v127, v140, v43
	v_ashrrev_i32_e32 v130, v146, v43
	;; [unrolled: 1-line block ×3, first 2 shown]
	v_lshlrev_b32_e32 v44, 18, v127
	v_lshlrev_b32_e32 v45, 25, v127
	s_delay_alu instid0(VALU_DEP_2) | instskip(NEXT) | instid1(VALU_DEP_2)
	v_and_b32_e32 v44, 0x100000, v44
	v_and_b32_e32 v45, 0x10000000, v45
	s_delay_alu instid0(VALU_DEP_1) | instskip(SKIP_3) | instid1(VALU_DEP_2)
	v_or3_b32 v128, v45, v126, v44
	global_load_b32 v44, v[33:34], off offset:58
	v_lshlrev_b32_e32 v45, 18, v130
	v_lshlrev_b32_e32 v126, 25, v130
	v_and_b32_e32 v45, 0x100000, v45
	s_delay_alu instid0(VALU_DEP_2) | instskip(SKIP_2) | instid1(VALU_DEP_1)
	v_and_b32_e32 v126, 0x10000000, v126
	s_waitcnt vmcnt(0)
	v_and_b32_e32 v44, 0xf0f0f0f, v44
	v_or3_b32 v131, v126, v44, v45
	v_lshrrev_b32_e32 v44, 4, v125
	v_lshlrev_b32_e32 v45, 18, v132
	v_lshlrev_b32_e32 v125, 25, v132
	s_delay_alu instid0(VALU_DEP_3) | instskip(NEXT) | instid1(VALU_DEP_3)
	v_and_b32_e32 v44, 0xf0f0f0f, v44
	v_and_b32_e32 v45, 0x100000, v45
	s_delay_alu instid0(VALU_DEP_3) | instskip(NEXT) | instid1(VALU_DEP_1)
	v_and_b32_e32 v125, 0x10000000, v125
	v_or3_b32 v133, v125, v44, v45
	v_ashrrev_i32_e32 v125, v154, v43
	s_delay_alu instid0(VALU_DEP_1) | instskip(SKIP_2) | instid1(VALU_DEP_3)
	v_lshlrev_b32_e32 v43, 4, v125
	v_lshlrev_b32_e32 v44, 18, v125
	;; [unrolled: 1-line block ×3, first 2 shown]
	v_and_b32_e32 v43, 16, v43
	s_delay_alu instid0(VALU_DEP_3) | instskip(NEXT) | instid1(VALU_DEP_3)
	v_and_b32_e32 v44, 0x100000, v44
	v_and_b32_e32 v45, 0x10000000, v45
	s_delay_alu instid0(VALU_DEP_1)
	v_or3_b32 v126, v44, v45, v43
	s_clause 0x2
	global_load_b32 v43, v[31:32], off offset:66
	global_load_u16 v44, v[31:32], off offset:70
	global_load_b32 v185, v[33:34], off offset:72
	s_waitcnt vmcnt(1)
	v_perm_b32 v44, v43, v44, 0x1000706
	s_waitcnt vmcnt(0)
	v_and_b32_e32 v195, 0xf0f0f0f, v185
	s_delay_alu instid0(VALU_DEP_2) | instskip(SKIP_2) | instid1(VALU_DEP_3)
	v_ashrrev_i32_e32 v139, v140, v44
	v_ashrrev_i32_e32 v206, v147, v44
	;; [unrolled: 1-line block ×3, first 2 shown]
	v_lshlrev_b32_e32 v45, 18, v139
	v_lshlrev_b32_e32 v175, 25, v139
	s_delay_alu instid0(VALU_DEP_2) | instskip(NEXT) | instid1(VALU_DEP_2)
	v_and_b32_e32 v45, 0x100000, v45
	v_and_b32_e32 v175, 0x10000000, v175
	s_delay_alu instid0(VALU_DEP_1) | instskip(SKIP_3) | instid1(VALU_DEP_2)
	v_or3_b32 v175, v175, v195, v45
	global_load_b32 v45, v[33:34], off offset:80
	v_ashrrev_i32_e32 v195, v146, v44
	v_lshlrev_b32_e32 v44, 4, v208
	v_lshlrev_b32_e32 v202, 18, v195
	;; [unrolled: 1-line block ×3, first 2 shown]
	s_delay_alu instid0(VALU_DEP_3) | instskip(NEXT) | instid1(VALU_DEP_3)
	v_and_b32_e32 v44, 16, v44
	v_and_b32_e32 v202, 0x100000, v202
	s_delay_alu instid0(VALU_DEP_3) | instskip(SKIP_2) | instid1(VALU_DEP_1)
	v_and_b32_e32 v203, 0x10000000, v203
	s_waitcnt vmcnt(0)
	v_and_b32_e32 v45, 0xf0f0f0f, v45
	v_or3_b32 v205, v203, v45, v202
	v_lshrrev_b32_e32 v45, 4, v185
	v_lshlrev_b32_e32 v185, 18, v206
	v_lshlrev_b32_e32 v202, 25, v206
	s_delay_alu instid0(VALU_DEP_3) | instskip(NEXT) | instid1(VALU_DEP_3)
	v_and_b32_e32 v45, 0xf0f0f0f, v45
	v_and_b32_e32 v185, 0x100000, v185
	s_delay_alu instid0(VALU_DEP_3) | instskip(NEXT) | instid1(VALU_DEP_1)
	v_and_b32_e32 v202, 0x10000000, v202
	v_or3_b32 v207, v202, v45, v185
	v_lshlrev_b32_e32 v45, 18, v208
	v_lshlrev_b32_e32 v185, 25, v208
	s_delay_alu instid0(VALU_DEP_2) | instskip(NEXT) | instid1(VALU_DEP_2)
	v_and_b32_e32 v45, 0x100000, v45
	v_and_b32_e32 v185, 0x10000000, v185
	s_delay_alu instid0(VALU_DEP_1)
	v_or3_b32 v210, v45, v185, v44
	s_clause 0x2
	global_load_b32 v45, v[31:32], off offset:88
	global_load_u16 v44, v[31:32], off offset:92
	global_load_b32 v203, v[33:34], off offset:94
	s_waitcnt vmcnt(1)
	v_perm_b32 v44, v45, v44, 0x1000706
	s_waitcnt vmcnt(0)
	v_and_b32_e32 v212, 0xf0f0f0f, v203
	s_delay_alu instid0(VALU_DEP_2) | instskip(SKIP_3) | instid1(VALU_DEP_4)
	v_ashrrev_i32_e32 v211, v140, v44
	v_ashrrev_i32_e32 v213, v146, v44
	;; [unrolled: 1-line block ×4, first 2 shown]
	v_lshlrev_b32_e32 v185, 18, v211
	v_lshlrev_b32_e32 v202, 25, v211
	;; [unrolled: 1-line block ×3, first 2 shown]
	s_delay_alu instid0(VALU_DEP_4) | instskip(NEXT) | instid1(VALU_DEP_4)
	v_lshlrev_b32_e32 v44, 4, v218
	v_and_b32_e32 v185, 0x100000, v185
	s_delay_alu instid0(VALU_DEP_4) | instskip(NEXT) | instid1(VALU_DEP_4)
	v_and_b32_e32 v202, 0x10000000, v202
	v_and_b32_e32 v215, 0x10000000, v215
	s_delay_alu instid0(VALU_DEP_4) | instskip(NEXT) | instid1(VALU_DEP_3)
	v_and_b32_e32 v44, 16, v44
	v_or3_b32 v212, v202, v212, v185
	global_load_b32 v185, v[33:34], off offset:102
	v_lshlrev_b32_e32 v202, 18, v213
	s_delay_alu instid0(VALU_DEP_1) | instskip(SKIP_2) | instid1(VALU_DEP_1)
	v_and_b32_e32 v202, 0x100000, v202
	s_waitcnt vmcnt(0)
	v_and_b32_e32 v185, 0xf0f0f0f, v185
	v_or3_b32 v215, v215, v185, v202
	v_lshrrev_b32_e32 v185, 4, v203
	v_lshlrev_b32_e32 v202, 18, v216
	v_lshlrev_b32_e32 v203, 25, v216
	s_delay_alu instid0(VALU_DEP_3) | instskip(NEXT) | instid1(VALU_DEP_3)
	v_and_b32_e32 v185, 0xf0f0f0f, v185
	v_and_b32_e32 v202, 0x100000, v202
	s_delay_alu instid0(VALU_DEP_3) | instskip(NEXT) | instid1(VALU_DEP_1)
	v_and_b32_e32 v203, 0x10000000, v203
	v_or3_b32 v217, v203, v185, v202
	v_lshlrev_b32_e32 v185, 18, v218
	v_lshlrev_b32_e32 v202, 25, v218
	s_delay_alu instid0(VALU_DEP_2) | instskip(NEXT) | instid1(VALU_DEP_2)
	v_and_b32_e32 v185, 0x100000, v185
	v_and_b32_e32 v202, 0x10000000, v202
	s_delay_alu instid0(VALU_DEP_1)
	v_or3_b32 v220, v185, v202, v44
	s_clause 0x2
	global_load_b32 v44, v[31:32], off offset:110
	global_load_u16 v185, v[31:32], off offset:114
	global_load_b32 v222, v[33:34], off offset:116
	s_waitcnt vmcnt(1)
	v_perm_b32 v185, v44, v185, 0x1000706
	s_waitcnt vmcnt(0)
	v_and_b32_e32 v223, 0xf0f0f0f, v222
	s_delay_alu instid0(VALU_DEP_2) | instskip(SKIP_1) | instid1(VALU_DEP_2)
	v_ashrrev_i32_e32 v221, v140, v185
	v_ashrrev_i32_e32 v247, v146, v185
	v_lshlrev_b32_e32 v202, 18, v221
	v_lshlrev_b32_e32 v203, 25, v221
	s_delay_alu instid0(VALU_DEP_3) | instskip(NEXT) | instid1(VALU_DEP_3)
	v_lshlrev_b32_e32 v241, 25, v247
	v_and_b32_e32 v202, 0x100000, v202
	s_delay_alu instid0(VALU_DEP_3) | instskip(NEXT) | instid1(VALU_DEP_3)
	v_and_b32_e32 v203, 0x10000000, v203
	v_and_b32_e32 v241, 0x10000000, v241
	s_delay_alu instid0(VALU_DEP_2) | instskip(SKIP_2) | instid1(VALU_DEP_1)
	v_or3_b32 v223, v203, v223, v202
	global_load_b32 v202, v[33:34], off offset:124
	v_lshlrev_b32_e32 v203, 18, v247
	v_and_b32_e32 v203, 0x100000, v203
	s_waitcnt vmcnt(0)
	v_and_b32_e32 v202, 0xf0f0f0f, v202
	s_delay_alu instid0(VALU_DEP_1) | instskip(SKIP_2) | instid1(VALU_DEP_2)
	v_or3_b32 v248, v241, v202, v203
	v_lshrrev_b32_e32 v202, 4, v222
	v_ashrrev_i32_e32 v222, v147, v185
	v_and_b32_e32 v202, 0xf0f0f0f, v202
	s_delay_alu instid0(VALU_DEP_2) | instskip(SKIP_1) | instid1(VALU_DEP_2)
	v_lshlrev_b32_e32 v203, 18, v222
	v_lshlrev_b32_e32 v241, 25, v222
	v_and_b32_e32 v203, 0x100000, v203
	s_delay_alu instid0(VALU_DEP_2) | instskip(NEXT) | instid1(VALU_DEP_1)
	v_and_b32_e32 v241, 0x10000000, v241
	v_or3_b32 v249, v241, v202, v203
	v_lshlrev_b32_e32 v202, 4, v46
	v_lshlrev_b32_e32 v46, 11, v46
	s_delay_alu instid0(VALU_DEP_2) | instskip(NEXT) | instid1(VALU_DEP_2)
	v_and_b32_e32 v202, 16, v202
	v_and_b32_e32 v46, 0x1000, v46
	s_delay_alu instid0(VALU_DEP_1) | instskip(SKIP_4) | instid1(VALU_DEP_4)
	v_or3_b32 v47, v47, v202, v46
	v_lshlrev_b32_e32 v46, 4, v48
	v_lshlrev_b32_e32 v48, 11, v48
	v_add_co_u32 v202, vcc_lo, v31, v149
	v_add_co_ci_u32_e32 v203, vcc_lo, 0, v32, vcc_lo
	v_and_b32_e32 v46, 16, v46
	s_delay_alu instid0(VALU_DEP_4) | instskip(NEXT) | instid1(VALU_DEP_1)
	v_and_b32_e32 v48, 0x1000, v48
	v_or3_b32 v48, v129, v46, v48
	v_lshlrev_b32_e32 v46, 4, v134
	v_lshlrev_b32_e32 v129, 11, v134
	s_delay_alu instid0(VALU_DEP_2) | instskip(NEXT) | instid1(VALU_DEP_2)
	v_and_b32_e32 v46, 16, v46
	v_and_b32_e32 v129, 0x1000, v129
	s_delay_alu instid0(VALU_DEP_1) | instskip(SKIP_3) | instid1(VALU_DEP_1)
	v_or3_b32 v46, v138, v46, v129
	global_load_b32 v129, v[202:203], off offset:6
	s_waitcnt vmcnt(0)
	v_lshrrev_b32_e32 v129, 4, v129
	v_and_b32_e32 v129, 0xf0f0f0f, v129
	s_delay_alu instid0(VALU_DEP_1) | instskip(SKIP_3) | instid1(VALU_DEP_3)
	v_or3_b32 v246, v50, v49, v129
	v_lshlrev_b32_e32 v49, 4, v53
	v_lshlrev_b32_e32 v50, 11, v53
	;; [unrolled: 1-line block ×3, first 2 shown]
	v_and_b32_e32 v49, 16, v49
	s_delay_alu instid0(VALU_DEP_3) | instskip(NEXT) | instid1(VALU_DEP_3)
	v_and_b32_e32 v50, 0x1000, v50
	v_and_b32_e32 v53, 0x1000, v53
	s_delay_alu instid0(VALU_DEP_2) | instskip(SKIP_2) | instid1(VALU_DEP_2)
	v_or3_b32 v243, v54, v49, v50
	v_lshlrev_b32_e32 v49, 4, v55
	v_lshlrev_b32_e32 v50, 11, v55
	v_and_b32_e32 v49, 16, v49
	s_delay_alu instid0(VALU_DEP_2) | instskip(NEXT) | instid1(VALU_DEP_1)
	v_and_b32_e32 v50, 0x1000, v50
	v_or3_b32 v129, v56, v49, v50
	v_lshlrev_b32_e32 v49, 4, v57
	v_lshlrev_b32_e32 v50, 11, v57
	s_delay_alu instid0(VALU_DEP_2) | instskip(NEXT) | instid1(VALU_DEP_2)
	v_and_b32_e32 v49, 16, v49
	v_and_b32_e32 v50, 0x1000, v50
	s_delay_alu instid0(VALU_DEP_1) | instskip(SKIP_4) | instid1(VALU_DEP_1)
	v_or3_b32 v54, v58, v49, v50
	v_add_co_u32 v49, vcc_lo, v31, v150
	v_add_co_ci_u32_e32 v50, vcc_lo, 0, v32, vcc_lo
	global_load_b32 v49, v[49:50], off offset:28
	v_lshlrev_b32_e32 v50, 11, v51
	v_and_b32_e32 v50, 0x1000, v50
	s_waitcnt vmcnt(0)
	v_lshrrev_b32_e32 v49, 4, v49
	s_delay_alu instid0(VALU_DEP_1) | instskip(NEXT) | instid1(VALU_DEP_1)
	v_and_b32_e32 v49, 0xf0f0f0f, v49
	v_or3_b32 v245, v52, v50, v49
	v_lshlrev_b32_e32 v49, 4, v127
	v_lshlrev_b32_e32 v50, 11, v127
	v_ashrrev_i32_e32 v127, v163, v185
	s_delay_alu instid0(VALU_DEP_3) | instskip(NEXT) | instid1(VALU_DEP_3)
	v_and_b32_e32 v49, 16, v49
	v_and_b32_e32 v50, 0x1000, v50
	s_delay_alu instid0(VALU_DEP_1) | instskip(SKIP_3) | instid1(VALU_DEP_3)
	v_or3_b32 v241, v128, v49, v50
	v_lshlrev_b32_e32 v49, 4, v130
	v_lshlrev_b32_e32 v50, 11, v130
	;; [unrolled: 1-line block ×3, first 2 shown]
	v_and_b32_e32 v49, 16, v49
	s_delay_alu instid0(VALU_DEP_3) | instskip(NEXT) | instid1(VALU_DEP_3)
	v_and_b32_e32 v50, 0x1000, v50
	v_and_b32_e32 v128, 0x10000000, v128
	s_delay_alu instid0(VALU_DEP_2) | instskip(SKIP_2) | instid1(VALU_DEP_2)
	v_or3_b32 v57, v131, v49, v50
	v_lshlrev_b32_e32 v49, 4, v132
	v_lshlrev_b32_e32 v50, 11, v132
	v_and_b32_e32 v49, 16, v49
	s_delay_alu instid0(VALU_DEP_2) | instskip(NEXT) | instid1(VALU_DEP_1)
	v_and_b32_e32 v50, 0x1000, v50
	v_or3_b32 v52, v133, v49, v50
	v_add_co_u32 v49, vcc_lo, v31, v153
	v_add_co_ci_u32_e32 v50, vcc_lo, 0, v32, vcc_lo
	global_load_b32 v49, v[49:50], off offset:50
	v_lshlrev_b32_e32 v50, 11, v125
	s_delay_alu instid0(VALU_DEP_1) | instskip(SKIP_2) | instid1(VALU_DEP_1)
	v_and_b32_e32 v50, 0x1000, v50
	s_waitcnt vmcnt(0)
	v_lshrrev_b32_e32 v49, 4, v49
	v_and_b32_e32 v49, 0xf0f0f0f, v49
	s_delay_alu instid0(VALU_DEP_1) | instskip(SKIP_2) | instid1(VALU_DEP_2)
	v_or3_b32 v244, v126, v50, v49
	v_lshlrev_b32_e32 v49, 4, v139
	v_lshlrev_b32_e32 v50, 11, v139
	v_and_b32_e32 v49, 16, v49
	s_delay_alu instid0(VALU_DEP_2) | instskip(NEXT) | instid1(VALU_DEP_1)
	v_and_b32_e32 v50, 0x1000, v50
	v_or3_b32 v133, v175, v49, v50
	v_lshlrev_b32_e32 v49, 4, v195
	v_lshlrev_b32_e32 v50, 11, v195
	s_delay_alu instid0(VALU_DEP_2) | instskip(NEXT) | instid1(VALU_DEP_2)
	v_and_b32_e32 v49, 16, v49
	v_and_b32_e32 v50, 0x1000, v50
	s_delay_alu instid0(VALU_DEP_1) | instskip(SKIP_2) | instid1(VALU_DEP_2)
	v_or3_b32 v56, v205, v49, v50
	v_lshlrev_b32_e32 v49, 4, v206
	v_lshlrev_b32_e32 v50, 11, v206
	v_and_b32_e32 v49, 16, v49
	s_delay_alu instid0(VALU_DEP_2) | instskip(NEXT) | instid1(VALU_DEP_1)
	v_and_b32_e32 v50, 0x1000, v50
	v_or3_b32 v51, v207, v49, v50
	v_add_co_u32 v49, vcc_lo, v31, v156
	v_add_co_ci_u32_e32 v50, vcc_lo, 0, v32, vcc_lo
	v_add_co_u32 v125, vcc_lo, v31, v158
	v_add_co_ci_u32_e32 v126, vcc_lo, 0, v32, vcc_lo
	global_load_b32 v49, v[49:50], off offset:72
	v_lshlrev_b32_e32 v50, 11, v208
	s_delay_alu instid0(VALU_DEP_1) | instskip(SKIP_2) | instid1(VALU_DEP_1)
	v_and_b32_e32 v50, 0x1000, v50
	s_waitcnt vmcnt(0)
	v_lshrrev_b32_e32 v49, 4, v49
	v_and_b32_e32 v49, 0xf0f0f0f, v49
	s_delay_alu instid0(VALU_DEP_1) | instskip(SKIP_2) | instid1(VALU_DEP_2)
	v_or3_b32 v138, v210, v50, v49
	v_lshlrev_b32_e32 v49, 4, v211
	v_lshlrev_b32_e32 v50, 11, v211
	v_and_b32_e32 v49, 16, v49
	s_delay_alu instid0(VALU_DEP_2) | instskip(NEXT) | instid1(VALU_DEP_1)
	v_and_b32_e32 v50, 0x1000, v50
	v_or3_b32 v130, v212, v49, v50
	v_lshlrev_b32_e32 v49, 4, v213
	v_lshlrev_b32_e32 v50, 11, v213
	s_delay_alu instid0(VALU_DEP_2) | instskip(NEXT) | instid1(VALU_DEP_2)
	v_and_b32_e32 v49, 16, v49
	v_and_b32_e32 v50, 0x1000, v50
	s_delay_alu instid0(VALU_DEP_1) | instskip(SKIP_2) | instid1(VALU_DEP_2)
	v_or3_b32 v55, v215, v49, v50
	v_lshlrev_b32_e32 v49, 4, v216
	v_lshlrev_b32_e32 v50, 11, v216
	v_and_b32_e32 v49, 16, v49
	s_delay_alu instid0(VALU_DEP_2) | instskip(NEXT) | instid1(VALU_DEP_1)
	v_and_b32_e32 v50, 0x1000, v50
	v_or3_b32 v50, v217, v49, v50
	global_load_b32 v49, v[125:126], off offset:94
	v_lshlrev_b32_e32 v125, 11, v222
	v_lshlrev_b32_e32 v126, 18, v127
	s_delay_alu instid0(VALU_DEP_2) | instskip(NEXT) | instid1(VALU_DEP_2)
	v_and_b32_e32 v125, 0x1000, v125
	v_and_b32_e32 v126, 0x100000, v126
	s_waitcnt vmcnt(0)
	v_lshrrev_b32_e32 v49, 4, v49
	s_delay_alu instid0(VALU_DEP_1) | instskip(NEXT) | instid1(VALU_DEP_1)
	v_and_b32_e32 v49, 0xf0f0f0f, v49
	v_or3_b32 v242, v220, v53, v49
	v_lshlrev_b32_e32 v49, 4, v221
	v_lshlrev_b32_e32 v53, 11, v221
	s_delay_alu instid0(VALU_DEP_2) | instskip(NEXT) | instid1(VALU_DEP_2)
	v_and_b32_e32 v49, 16, v49
	v_and_b32_e32 v53, 0x1000, v53
	s_delay_alu instid0(VALU_DEP_1) | instskip(SKIP_2) | instid1(VALU_DEP_2)
	v_or3_b32 v58, v223, v49, v53
	v_lshlrev_b32_e32 v49, 4, v247
	v_lshlrev_b32_e32 v53, 11, v247
	v_and_b32_e32 v49, 16, v49
	s_delay_alu instid0(VALU_DEP_2) | instskip(NEXT) | instid1(VALU_DEP_1)
	v_and_b32_e32 v53, 0x1000, v53
	v_or3_b32 v53, v248, v49, v53
	v_lshlrev_b32_e32 v49, 4, v222
	s_delay_alu instid0(VALU_DEP_1) | instskip(NEXT) | instid1(VALU_DEP_1)
	v_and_b32_e32 v49, 16, v49
	v_or3_b32 v49, v249, v49, v125
	v_lshlrev_b32_e32 v125, 4, v127
	s_delay_alu instid0(VALU_DEP_1) | instskip(NEXT) | instid1(VALU_DEP_1)
	v_and_b32_e32 v125, 16, v125
	v_or3_b32 v128, v126, v128, v125
	v_add_co_u32 v125, vcc_lo, v31, v161
	v_add_co_ci_u32_e32 v126, vcc_lo, 0, v32, vcc_lo
	global_load_b32 v125, v[125:126], off offset:116
	v_lshlrev_b32_e32 v126, 11, v127
	s_delay_alu instid0(VALU_DEP_1) | instskip(SKIP_2) | instid1(VALU_DEP_1)
	v_and_b32_e32 v126, 0x1000, v126
	s_waitcnt vmcnt(0)
	v_lshrrev_b32_e32 v125, 4, v125
	v_and_b32_e32 v125, 0xf0f0f0f, v125
	s_delay_alu instid0(VALU_DEP_1)
	v_or3_b32 v132, v128, v126, v125
	s_clause 0x2
	global_load_b32 v131, v[31:32], off offset:132
	global_load_u16 v125, v[31:32], off offset:136
	global_load_b32 v175, v[33:34], off offset:138
	s_waitcnt vmcnt(1)
	v_perm_b32 v125, v131, v125, 0x1000706
	s_waitcnt vmcnt(0)
	v_and_b32_e32 v134, 0xf0f0f0f, v175
	s_delay_alu instid0(VALU_DEP_2) | instskip(NEXT) | instid1(VALU_DEP_1)
	v_ashrrev_i32_e32 v126, v140, v125
	v_lshlrev_b32_e32 v127, 18, v126
	v_lshlrev_b32_e32 v128, 25, v126
	s_delay_alu instid0(VALU_DEP_2) | instskip(NEXT) | instid1(VALU_DEP_2)
	v_and_b32_e32 v127, 0x100000, v127
	v_and_b32_e32 v128, 0x10000000, v128
	s_delay_alu instid0(VALU_DEP_1) | instskip(SKIP_2) | instid1(VALU_DEP_2)
	v_or3_b32 v127, v128, v134, v127
	v_lshlrev_b32_e32 v128, 4, v126
	v_lshlrev_b32_e32 v126, 11, v126
	v_and_b32_e32 v128, 16, v128
	s_delay_alu instid0(VALU_DEP_2) | instskip(NEXT) | instid1(VALU_DEP_1)
	v_and_b32_e32 v126, 0x1000, v126
	v_or3_b32 v134, v127, v128, v126
	global_load_b32 v126, v[33:34], off offset:146
	v_ashrrev_i32_e32 v127, v146, v125
	s_delay_alu instid0(VALU_DEP_1) | instskip(SKIP_1) | instid1(VALU_DEP_2)
	v_lshlrev_b32_e32 v128, 18, v127
	v_lshlrev_b32_e32 v139, 25, v127
	v_and_b32_e32 v128, 0x100000, v128
	s_delay_alu instid0(VALU_DEP_2) | instskip(SKIP_2) | instid1(VALU_DEP_1)
	v_and_b32_e32 v139, 0x10000000, v139
	s_waitcnt vmcnt(0)
	v_and_b32_e32 v126, 0xf0f0f0f, v126
	v_or3_b32 v126, v139, v126, v128
	v_lshlrev_b32_e32 v128, 4, v127
	v_lshlrev_b32_e32 v127, 11, v127
	s_delay_alu instid0(VALU_DEP_2) | instskip(NEXT) | instid1(VALU_DEP_2)
	v_and_b32_e32 v128, 16, v128
	v_and_b32_e32 v127, 0x1000, v127
	s_delay_alu instid0(VALU_DEP_1) | instskip(SKIP_2) | instid1(VALU_DEP_2)
	v_or3_b32 v139, v126, v128, v127
	v_ashrrev_i32_e32 v127, v147, v125
	v_lshrrev_b32_e32 v126, 4, v175
	v_lshlrev_b32_e32 v128, 18, v127
	v_lshlrev_b32_e32 v175, 25, v127
	s_delay_alu instid0(VALU_DEP_3) | instskip(NEXT) | instid1(VALU_DEP_3)
	v_and_b32_e32 v126, 0xf0f0f0f, v126
	v_and_b32_e32 v128, 0x100000, v128
	s_delay_alu instid0(VALU_DEP_3) | instskip(NEXT) | instid1(VALU_DEP_1)
	v_and_b32_e32 v175, 0x10000000, v175
	v_or3_b32 v126, v175, v126, v128
	v_lshlrev_b32_e32 v128, 4, v127
	v_lshlrev_b32_e32 v127, 11, v127
	s_delay_alu instid0(VALU_DEP_2) | instskip(NEXT) | instid1(VALU_DEP_2)
	v_and_b32_e32 v128, 16, v128
	v_and_b32_e32 v127, 0x1000, v127
	s_delay_alu instid0(VALU_DEP_1) | instskip(SKIP_1) | instid1(VALU_DEP_1)
	v_or3_b32 v247, v126, v128, v127
	v_ashrrev_i32_e32 v127, v166, v125
	v_lshlrev_b32_e32 v125, 4, v127
	v_lshlrev_b32_e32 v126, 18, v127
	;; [unrolled: 1-line block ×3, first 2 shown]
	s_delay_alu instid0(VALU_DEP_3) | instskip(NEXT) | instid1(VALU_DEP_3)
	v_and_b32_e32 v125, 16, v125
	v_and_b32_e32 v126, 0x100000, v126
	s_delay_alu instid0(VALU_DEP_3) | instskip(NEXT) | instid1(VALU_DEP_1)
	v_and_b32_e32 v128, 0x10000000, v128
	v_or3_b32 v128, v126, v128, v125
	v_add_co_u32 v125, vcc_lo, v31, v164
	v_add_co_ci_u32_e32 v126, vcc_lo, 0, v32, vcc_lo
	global_load_b32 v125, v[125:126], off offset:138
	v_lshlrev_b32_e32 v126, 11, v127
	s_delay_alu instid0(VALU_DEP_1) | instskip(SKIP_2) | instid1(VALU_DEP_1)
	v_and_b32_e32 v126, 0x1000, v126
	s_waitcnt vmcnt(0)
	v_lshrrev_b32_e32 v125, 4, v125
	v_and_b32_e32 v125, 0xf0f0f0f, v125
	s_delay_alu instid0(VALU_DEP_1)
	v_or3_b32 v125, v128, v126, v125
	s_clause 0x2
	global_load_b32 v175, v[31:32], off offset:154
	global_load_u16 v126, v[31:32], off offset:158
	global_load_b32 v195, v[33:34], off offset:160
	v_add_co_u32 v31, vcc_lo, v31, v168
	v_add_co_ci_u32_e32 v32, vcc_lo, 0, v32, vcc_lo
	s_clause 0x1
	global_load_b32 v31, v[31:32], off offset:160
	global_load_b32 v33, v[33:34], off offset:168
	s_waitcnt vmcnt(3)
	v_perm_b32 v127, v175, v126, 0x1000706
	s_waitcnt vmcnt(2)
	v_and_b32_e32 v202, 0xf0f0f0f, v195
	s_delay_alu instid0(VALU_DEP_2) | instskip(SKIP_3) | instid1(VALU_DEP_3)
	v_ashrrev_i32_e32 v126, v140, v127
	v_ashrrev_i32_e32 v34, v146, v127
	s_waitcnt vmcnt(1)
	v_lshrrev_b32_e32 v31, 4, v31
	v_lshlrev_b32_e32 v128, 18, v126
	v_lshlrev_b32_e32 v185, 25, v126
	s_waitcnt vmcnt(0)
	v_and_b32_e32 v33, 0xf0f0f0f, v33
	v_and_b32_e32 v31, 0xf0f0f0f, v31
	;; [unrolled: 1-line block ×4, first 2 shown]
	s_delay_alu instid0(VALU_DEP_1) | instskip(SKIP_2) | instid1(VALU_DEP_2)
	v_or3_b32 v128, v185, v202, v128
	v_lshlrev_b32_e32 v185, 4, v126
	v_lshlrev_b32_e32 v126, 11, v126
	v_and_b32_e32 v185, 16, v185
	s_delay_alu instid0(VALU_DEP_2) | instskip(NEXT) | instid1(VALU_DEP_1)
	v_and_b32_e32 v126, 0x1000, v126
	v_or3_b32 v126, v128, v185, v126
	v_lshlrev_b32_e32 v128, 18, v34
	v_lshlrev_b32_e32 v185, 25, v34
	s_delay_alu instid0(VALU_DEP_2) | instskip(NEXT) | instid1(VALU_DEP_2)
	v_and_b32_e32 v128, 0x100000, v128
	v_and_b32_e32 v185, 0x10000000, v185
	s_delay_alu instid0(VALU_DEP_1) | instskip(SKIP_2) | instid1(VALU_DEP_2)
	v_or3_b32 v33, v185, v33, v128
	v_lshlrev_b32_e32 v128, 4, v34
	v_lshlrev_b32_e32 v34, 11, v34
	v_and_b32_e32 v128, 16, v128
	s_delay_alu instid0(VALU_DEP_2) | instskip(NEXT) | instid1(VALU_DEP_1)
	v_and_b32_e32 v34, 0x1000, v34
	v_or3_b32 v33, v33, v128, v34
	v_ashrrev_i32_e32 v128, v147, v127
	v_lshrrev_b32_e32 v34, 4, v195
	v_ashrrev_i32_e32 v127, v169, v127
	s_delay_alu instid0(VALU_DEP_3) | instskip(SKIP_1) | instid1(VALU_DEP_4)
	v_lshlrev_b32_e32 v185, 18, v128
	v_lshlrev_b32_e32 v195, 25, v128
	v_and_b32_e32 v34, 0xf0f0f0f, v34
	s_delay_alu instid0(VALU_DEP_4) | instskip(NEXT) | instid1(VALU_DEP_4)
	v_lshlrev_b32_e32 v32, 11, v127
	v_and_b32_e32 v185, 0x100000, v185
	s_delay_alu instid0(VALU_DEP_4) | instskip(NEXT) | instid1(VALU_DEP_3)
	v_and_b32_e32 v195, 0x10000000, v195
	v_and_b32_e32 v32, 0x1000, v32
	s_delay_alu instid0(VALU_DEP_2) | instskip(SKIP_3) | instid1(VALU_DEP_3)
	v_or3_b32 v34, v195, v34, v185
	v_lshlrev_b32_e32 v185, 4, v128
	v_lshlrev_b32_e32 v128, 11, v128
	;; [unrolled: 1-line block ×3, first 2 shown]
	v_and_b32_e32 v185, 16, v185
	s_delay_alu instid0(VALU_DEP_3) | instskip(NEXT) | instid1(VALU_DEP_3)
	v_and_b32_e32 v128, 0x1000, v128
	v_and_b32_e32 v195, 0x10000000, v195
	s_delay_alu instid0(VALU_DEP_2) | instskip(SKIP_3) | instid1(VALU_DEP_3)
	v_or3_b32 v34, v34, v185, v128
	v_lshlrev_b32_e32 v128, 4, v127
	v_lshlrev_b32_e32 v185, 18, v127
	v_dot4_i32_iu8 v127, v48, v62, 0 neg_lo:[1,1,0]
	v_and_b32_e32 v128, 16, v128
	s_delay_alu instid0(VALU_DEP_3) | instskip(NEXT) | instid1(VALU_DEP_3)
	v_and_b32_e32 v185, 0x100000, v185
	v_cvt_f32_i32_e32 v127, v127
	s_delay_alu instid0(VALU_DEP_2) | instskip(NEXT) | instid1(VALU_DEP_2)
	v_or3_b32 v128, v185, v195, v128
	v_fma_f32 v127, v0, v127, -v1
	s_delay_alu instid0(VALU_DEP_2) | instskip(SKIP_1) | instid1(VALU_DEP_1)
	v_or3_b32 v31, v128, v32, v31
	v_dot4_i32_iu8 v32, v47, v61, 0 neg_lo:[1,1,0]
	v_cvt_f32_i32_e32 v32, v32
	s_delay_alu instid0(VALU_DEP_1) | instskip(NEXT) | instid1(VALU_DEP_1)
	v_fma_f32 v32, v0, v32, -v1
	v_fma_mix_f32 v32, v32, v40, 0 op_sel_hi:[0,1,0]
	s_delay_alu instid0(VALU_DEP_1) | instskip(SKIP_1) | instid1(VALU_DEP_1)
	v_fma_mix_f32 v32, v127, v40, v32 op_sel_hi:[0,1,0]
	v_dot4_i32_iu8 v127, v46, v63, 0 neg_lo:[1,1,0]
	v_cvt_f32_i32_e32 v127, v127
	s_delay_alu instid0(VALU_DEP_1) | instskip(NEXT) | instid1(VALU_DEP_1)
	v_fma_f32 v127, v0, v127, -v1
	v_fma_mix_f32 v32, v127, v40, v32 op_sel_hi:[0,1,0]
	v_dot4_i32_iu8 v127, v246, v64, 0 neg_lo:[1,1,0]
	s_delay_alu instid0(VALU_DEP_1) | instskip(NEXT) | instid1(VALU_DEP_1)
	v_cvt_f32_i32_e32 v127, v127
	v_fma_f32 v127, v0, v127, -v1
	s_delay_alu instid0(VALU_DEP_1) | instskip(SKIP_1) | instid1(VALU_DEP_1)
	v_fma_mix_f32 v32, v127, v40, v32 op_sel_hi:[0,1,0]
	v_dot4_i32_iu8 v127, v243, v65, 0 neg_lo:[1,1,0]
	v_cvt_f32_i32_e32 v127, v127
	s_delay_alu instid0(VALU_DEP_1) | instskip(NEXT) | instid1(VALU_DEP_1)
	v_fma_f32 v127, v2, v127, -v3
	v_fma_mix_f32 v32, v127, v41, v32 op_sel_hi:[0,1,0]
	v_dot4_i32_iu8 v127, v129, v66, 0 neg_lo:[1,1,0]
	s_delay_alu instid0(VALU_DEP_1) | instskip(NEXT) | instid1(VALU_DEP_1)
	v_cvt_f32_i32_e32 v127, v127
	v_fma_f32 v127, v2, v127, -v3
	;; [unrolled: 11-line block ×15, first 2 shown]
	s_delay_alu instid0(VALU_DEP_1) | instskip(SKIP_3) | instid1(VALU_DEP_1)
	v_fma_mix_f32 v32, v127, v175, v32 op_sel_hi:[0,1,0]
	ds_bpermute_b32 v127, v172, v32
	s_waitcnt lgkmcnt(0)
	v_add_f32_e32 v32, v32, v127
                                        ; implicit-def: $vgpr127
	v_cmp_ngt_f32_e64 s21, 0x3f200000, |v32|
	s_delay_alu instid0(VALU_DEP_1) | instskip(NEXT) | instid1(SALU_CYCLE_1)
	s_and_saveexec_b32 s22, s21
	s_xor_b32 s21, exec_lo, s22
	s_cbranch_execz .LBB31_35
; %bb.34:                               ;   in Loop: Header=BB31_21 Depth=1
	v_add_f32_e64 v127, |v32|, |v32|
	s_delay_alu instid0(VALU_DEP_1) | instskip(SKIP_1) | instid1(VALU_DEP_2)
	v_mul_f32_e32 v128, 0x3fb8aa3b, v127
	v_cmp_ngt_f32_e32 vcc_lo, 0xc2ce8ed0, v127
	v_rndne_f32_e32 v185, v128
	v_fma_f32 v195, 0x3fb8aa3b, v127, -v128
	s_delay_alu instid0(VALU_DEP_1) | instskip(SKIP_1) | instid1(VALU_DEP_2)
	v_dual_sub_f32 v128, v128, v185 :: v_dual_fmac_f32 v195, 0x32a5705f, v127
	v_cvt_i32_f32_e32 v185, v185
	v_add_f32_e32 v128, v128, v195
	s_delay_alu instid0(VALU_DEP_1) | instskip(SKIP_2) | instid1(VALU_DEP_1)
	v_exp_f32_e32 v128, v128
	s_waitcnt_depctr 0xfff
	v_ldexp_f32 v128, v128, v185
	v_cndmask_b32_e32 v128, 0, v128, vcc_lo
	v_cmp_nlt_f32_e32 vcc_lo, 0x42b17218, v127
	s_delay_alu instid0(VALU_DEP_2) | instskip(NEXT) | instid1(VALU_DEP_1)
	v_cndmask_b32_e32 v127, 0x7f800000, v128, vcc_lo
	v_add_f32_e32 v127, 1.0, v127
	s_delay_alu instid0(VALU_DEP_1)
	v_rcp_f32_e32 v127, v127
	s_waitcnt_depctr 0xfff
	v_fma_f32 v127, v127, -2.0, 1.0
.LBB31_35:                              ;   in Loop: Header=BB31_21 Depth=1
	s_and_not1_saveexec_b32 s21, s21
; %bb.36:                               ;   in Loop: Header=BB31_21 Depth=1
	v_mul_f32_e32 v127, v32, v32
	s_delay_alu instid0(VALU_DEP_1) | instskip(NEXT) | instid1(VALU_DEP_1)
	v_fmaak_f32 v128, s20, v127, 0x3ca908c9
	v_fmaak_f32 v128, v127, v128, 0xbd5c1c4e
	s_delay_alu instid0(VALU_DEP_1) | instskip(NEXT) | instid1(VALU_DEP_1)
	v_fmaak_f32 v128, v127, v128, 0x3e088382
	v_fmaak_f32 v128, v127, v128, 0xbeaaaa99
	s_delay_alu instid0(VALU_DEP_1) | instskip(NEXT) | instid1(VALU_DEP_1)
	v_mul_f32_e64 v128, |v32|, v128
	v_fma_f32 v127, v127, v128, |v32|
; %bb.37:                               ;   in Loop: Header=BB31_21 Depth=1
	s_or_b32 exec_lo, exec_lo, s21
	s_delay_alu instid0(VALU_DEP_1) | instskip(SKIP_1) | instid1(VALU_DEP_1)
	v_bfi_b32 v32, 0x7fffffff, v127, v32
	s_and_not1_b32 vcc_lo, exec_lo, s19
	v_mul_f32_e32 v202, s37, v32
	s_cbranch_vccnz .LBB31_39
; %bb.38:                               ;   in Loop: Header=BB31_21 Depth=1
	global_load_u16 v32, v39, s[4:5] offset:2
	s_waitcnt vmcnt(0)
	v_fma_mix_f32 v202, v135, v32, v202 op_sel_hi:[0,1,0]
.LBB31_39:                              ;   in Loop: Header=BB31_21 Depth=1
	v_dot4_i32_iu8 v32, v47, v93, 0 neg_lo:[1,1,0]
	v_dot4_i32_iu8 v39, v48, v94, 0 neg_lo:[1,1,0]
	v_cvt_f32_f16_e32 v40, v40
	v_dot4_i32_iu8 v33, v33, v122, 0 neg_lo:[1,1,0]
	v_dot4_i32_iu8 v31, v31, v124, 0 neg_lo:[1,1,0]
	v_cvt_f32_i32_e32 v32, v32
	v_cvt_f32_i32_e32 v39, v39
	s_delay_alu instid0(VALU_DEP_4) | instskip(NEXT) | instid1(VALU_DEP_4)
	v_cvt_f32_i32_e32 v33, v33
	v_cvt_f32_i32_e32 v31, v31
	s_delay_alu instid0(VALU_DEP_4) | instskip(NEXT) | instid1(VALU_DEP_4)
	v_fma_f32 v32, v16, v32, -v17
	v_fma_f32 v39, v16, v39, -v17
	s_delay_alu instid0(VALU_DEP_4) | instskip(NEXT) | instid1(VALU_DEP_4)
	v_fma_f32 v33, v30, v33, -v181
	v_fma_f32 v31, v30, v31, -v181
	s_delay_alu instid0(VALU_DEP_4) | instskip(NEXT) | instid1(VALU_DEP_1)
	v_fma_f32 v32, v32, v40, 0
	v_fmac_f32_e32 v32, v39, v40
	v_dot4_i32_iu8 v39, v46, v95, 0 neg_lo:[1,1,0]
	s_delay_alu instid0(VALU_DEP_1) | instskip(NEXT) | instid1(VALU_DEP_1)
	v_cvt_f32_i32_e32 v39, v39
	v_fma_f32 v39, v16, v39, -v17
	s_delay_alu instid0(VALU_DEP_1) | instskip(SKIP_1) | instid1(VALU_DEP_1)
	v_fmac_f32_e32 v32, v39, v40
	v_dot4_i32_iu8 v39, v246, v96, 0 neg_lo:[1,1,0]
	v_cvt_f32_i32_e32 v39, v39
	s_delay_alu instid0(VALU_DEP_1) | instskip(NEXT) | instid1(VALU_DEP_1)
	v_fma_f32 v39, v16, v39, -v17
	v_fmac_f32_e32 v32, v39, v40
	v_dot4_i32_iu8 v39, v243, v97, 0 neg_lo:[1,1,0]
	v_cvt_f32_f16_e32 v40, v41
	s_delay_alu instid0(VALU_DEP_2) | instskip(NEXT) | instid1(VALU_DEP_1)
	v_cvt_f32_i32_e32 v39, v39
	v_fma_f32 v39, v18, v39, -v19
	s_delay_alu instid0(VALU_DEP_1) | instskip(SKIP_1) | instid1(VALU_DEP_1)
	v_fmac_f32_e32 v32, v39, v40
	v_dot4_i32_iu8 v39, v129, v98, 0 neg_lo:[1,1,0]
	v_cvt_f32_i32_e32 v39, v39
	s_delay_alu instid0(VALU_DEP_1) | instskip(NEXT) | instid1(VALU_DEP_1)
	v_fma_f32 v39, v18, v39, -v19
	v_fmac_f32_e32 v32, v39, v40
	v_dot4_i32_iu8 v39, v54, v99, 0 neg_lo:[1,1,0]
	s_delay_alu instid0(VALU_DEP_1) | instskip(NEXT) | instid1(VALU_DEP_1)
	v_cvt_f32_i32_e32 v39, v39
	v_fma_f32 v39, v18, v39, -v19
	s_delay_alu instid0(VALU_DEP_1) | instskip(SKIP_1) | instid1(VALU_DEP_1)
	v_fmac_f32_e32 v32, v39, v40
	v_dot4_i32_iu8 v39, v245, v100, 0 neg_lo:[1,1,0]
	v_cvt_f32_i32_e32 v39, v39
	s_delay_alu instid0(VALU_DEP_1) | instskip(NEXT) | instid1(VALU_DEP_1)
	v_fma_f32 v39, v18, v39, -v19
	v_fmac_f32_e32 v32, v39, v40
	v_dot4_i32_iu8 v39, v241, v101, 0 neg_lo:[1,1,0]
	v_cvt_f32_f16_e32 v40, v42
	s_delay_alu instid0(VALU_DEP_2) | instskip(NEXT) | instid1(VALU_DEP_1)
	v_cvt_f32_i32_e32 v39, v39
	v_fma_f32 v39, v20, v39, -v21
	s_delay_alu instid0(VALU_DEP_1) | instskip(SKIP_1) | instid1(VALU_DEP_1)
	v_fmac_f32_e32 v32, v39, v40
	v_dot4_i32_iu8 v39, v57, v102, 0 neg_lo:[1,1,0]
	v_cvt_f32_i32_e32 v39, v39
	s_delay_alu instid0(VALU_DEP_1) | instskip(NEXT) | instid1(VALU_DEP_1)
	v_fma_f32 v39, v20, v39, -v21
	;; [unrolled: 23-line block ×5, first 2 shown]
	v_fmac_f32_e32 v32, v39, v40
	v_dot4_i32_iu8 v39, v49, v115, 0 neg_lo:[1,1,0]
	s_delay_alu instid0(VALU_DEP_1) | instskip(NEXT) | instid1(VALU_DEP_1)
	v_cvt_f32_i32_e32 v39, v39
	v_fma_f32 v39, v26, v39, -v27
	s_delay_alu instid0(VALU_DEP_1) | instskip(SKIP_1) | instid1(VALU_DEP_1)
	v_fmac_f32_e32 v32, v39, v40
	v_dot4_i32_iu8 v39, v132, v116, 0 neg_lo:[1,1,0]
	v_cvt_f32_i32_e32 v39, v39
	s_delay_alu instid0(VALU_DEP_1) | instskip(NEXT) | instid1(VALU_DEP_1)
	v_fma_f32 v39, v26, v39, -v27
	v_fmac_f32_e32 v32, v39, v40
	v_dot4_i32_iu8 v39, v134, v117, 0 neg_lo:[1,1,0]
	v_cvt_f32_f16_e64 v40, v131
	s_delay_alu instid0(VALU_DEP_2) | instskip(NEXT) | instid1(VALU_DEP_1)
	v_cvt_f32_i32_e32 v39, v39
	v_fma_f32 v39, v28, v39, -v29
	s_delay_alu instid0(VALU_DEP_1) | instskip(SKIP_1) | instid1(VALU_DEP_1)
	v_fmac_f32_e32 v32, v39, v40
	v_dot4_i32_iu8 v39, v139, v118, 0 neg_lo:[1,1,0]
	v_cvt_f32_i32_e32 v39, v39
	s_delay_alu instid0(VALU_DEP_1) | instskip(NEXT) | instid1(VALU_DEP_1)
	v_fma_f32 v39, v28, v39, -v29
	v_fmac_f32_e32 v32, v39, v40
	v_dot4_i32_iu8 v39, v247, v119, 0 neg_lo:[1,1,0]
	s_delay_alu instid0(VALU_DEP_1) | instskip(NEXT) | instid1(VALU_DEP_1)
	v_cvt_f32_i32_e32 v39, v39
	v_fma_f32 v39, v28, v39, -v29
	s_delay_alu instid0(VALU_DEP_1) | instskip(SKIP_1) | instid1(VALU_DEP_1)
	v_fmac_f32_e32 v32, v39, v40
	v_dot4_i32_iu8 v39, v125, v120, 0 neg_lo:[1,1,0]
	v_cvt_f32_i32_e32 v39, v39
	s_delay_alu instid0(VALU_DEP_1) | instskip(NEXT) | instid1(VALU_DEP_1)
	v_fma_f32 v39, v28, v39, -v29
	v_fmac_f32_e32 v32, v39, v40
	v_dot4_i32_iu8 v39, v126, v121, 0 neg_lo:[1,1,0]
	v_cvt_f32_f16_e64 v40, v175
	s_delay_alu instid0(VALU_DEP_2) | instskip(NEXT) | instid1(VALU_DEP_1)
	v_cvt_f32_i32_e32 v39, v39
	v_fma_f32 v39, v30, v39, -v181
	s_delay_alu instid0(VALU_DEP_1) | instskip(NEXT) | instid1(VALU_DEP_1)
	v_fmac_f32_e32 v32, v39, v40
	v_fmac_f32_e32 v32, v33, v40
	v_dot4_i32_iu8 v33, v34, v123, 0 neg_lo:[1,1,0]
	s_delay_alu instid0(VALU_DEP_1) | instskip(NEXT) | instid1(VALU_DEP_1)
	v_cvt_f32_i32_e32 v33, v33
	v_fma_f32 v33, v30, v33, -v181
	s_delay_alu instid0(VALU_DEP_1) | instskip(NEXT) | instid1(VALU_DEP_1)
	v_fmac_f32_e32 v32, v33, v40
	v_fmac_f32_e32 v32, v31, v40
	ds_bpermute_b32 v31, v172, v32
	s_waitcnt lgkmcnt(0)
	v_add_f32_e32 v31, v32, v31
                                        ; implicit-def: $vgpr32
	s_delay_alu instid0(VALU_DEP_1) | instskip(NEXT) | instid1(VALU_DEP_1)
	v_cmp_ngt_f32_e64 s21, 0x3f200000, |v31|
	s_and_saveexec_b32 s22, s21
	s_delay_alu instid0(SALU_CYCLE_1)
	s_xor_b32 s21, exec_lo, s22
	s_cbranch_execz .LBB31_41
; %bb.40:                               ;   in Loop: Header=BB31_21 Depth=1
	v_add_f32_e64 v32, |v31|, |v31|
	s_delay_alu instid0(VALU_DEP_1) | instskip(SKIP_1) | instid1(VALU_DEP_2)
	v_mul_f32_e32 v33, 0x3fb8aa3b, v32
	v_cmp_ngt_f32_e32 vcc_lo, 0xc2ce8ed0, v32
	v_rndne_f32_e32 v34, v33
	v_fma_f32 v39, 0x3fb8aa3b, v32, -v33
	s_delay_alu instid0(VALU_DEP_2) | instskip(NEXT) | instid1(VALU_DEP_2)
	v_sub_f32_e32 v33, v33, v34
	v_fmac_f32_e32 v39, 0x32a5705f, v32
	v_cvt_i32_f32_e32 v34, v34
	s_delay_alu instid0(VALU_DEP_2) | instskip(NEXT) | instid1(VALU_DEP_1)
	v_add_f32_e32 v33, v33, v39
	v_exp_f32_e32 v33, v33
	s_waitcnt_depctr 0xfff
	v_ldexp_f32 v33, v33, v34
	s_delay_alu instid0(VALU_DEP_1) | instskip(SKIP_1) | instid1(VALU_DEP_2)
	v_cndmask_b32_e32 v33, 0, v33, vcc_lo
	v_cmp_nlt_f32_e32 vcc_lo, 0x42b17218, v32
	v_cndmask_b32_e32 v32, 0x7f800000, v33, vcc_lo
	s_delay_alu instid0(VALU_DEP_1) | instskip(NEXT) | instid1(VALU_DEP_1)
	v_add_f32_e32 v32, 1.0, v32
	v_rcp_f32_e32 v32, v32
	s_waitcnt_depctr 0xfff
	v_fma_f32 v32, v32, -2.0, 1.0
.LBB31_41:                              ;   in Loop: Header=BB31_21 Depth=1
	s_and_not1_saveexec_b32 s21, s21
; %bb.42:                               ;   in Loop: Header=BB31_21 Depth=1
	v_mul_f32_e32 v32, v31, v31
	s_delay_alu instid0(VALU_DEP_1) | instskip(NEXT) | instid1(VALU_DEP_1)
	v_fmaak_f32 v33, s20, v32, 0x3ca908c9
	v_fmaak_f32 v33, v32, v33, 0xbd5c1c4e
	s_delay_alu instid0(VALU_DEP_1) | instskip(NEXT) | instid1(VALU_DEP_1)
	v_fmaak_f32 v33, v32, v33, 0x3e088382
	v_fmaak_f32 v33, v32, v33, 0xbeaaaa99
	s_delay_alu instid0(VALU_DEP_1) | instskip(NEXT) | instid1(VALU_DEP_1)
	v_mul_f32_e64 v33, |v31|, v33
	v_fma_f32 v32, v32, v33, |v31|
; %bb.43:                               ;   in Loop: Header=BB31_21 Depth=1
	s_or_b32 exec_lo, exec_lo, s21
	s_delay_alu instid0(VALU_DEP_1) | instskip(SKIP_1) | instid1(VALU_DEP_1)
	v_bfi_b32 v31, 0x7fffffff, v32, v31
	s_and_not1_b32 vcc_lo, exec_lo, s16
	v_mul_f32_e32 v31, s37, v31
	s_cbranch_vccnz .LBB31_45
; %bb.44:                               ;   in Loop: Header=BB31_21 Depth=1
	scratch_load_b64 v[32:33], off, off offset:8 ; 8-byte Folded Reload
	s_waitcnt vmcnt(0)
	v_add_co_u32 v32, vcc_lo, s4, v32
	v_add_co_ci_u32_e32 v33, vcc_lo, s5, v33, vcc_lo
	global_load_u16 v32, v[32:33], off offset:2
	s_waitcnt vmcnt(0)
	v_fma_mix_f32 v31, v135, v32, v31 op_sel_hi:[0,1,0]
.LBB31_45:                              ;   in Loop: Header=BB31_21 Depth=1
	v_ashrrev_i32_e32 v32, 31, v141
	v_mul_u32_u24_e32 v241, 20, v200
	v_add_co_u32 v34, vcc_lo, s7, v141
	v_mul_hi_u32_u24_e32 v242, 20, v200
	s_delay_alu instid0(VALU_DEP_4) | instskip(NEXT) | instid1(VALU_DEP_3)
	v_add_co_ci_u32_e32 v42, vcc_lo, s9, v32, vcc_lo
	v_add_co_u32 v32, vcc_lo, v34, v241
	v_ashrrev_i32_e32 v41, 31, v142
	s_delay_alu instid0(VALU_DEP_3) | instskip(NEXT) | instid1(VALU_DEP_3)
	v_add_co_ci_u32_e32 v33, vcc_lo, v42, v242, vcc_lo
	v_add_co_u32 v39, vcc_lo, v32, v201
	v_mul_u32_u24_e32 v244, 20, v197
	s_delay_alu instid0(VALU_DEP_3) | instskip(SKIP_4) | instid1(VALU_DEP_4)
	v_add_co_ci_u32_e32 v40, vcc_lo, 0, v33, vcc_lo
	v_mul_hi_u32_u24_e32 v243, 20, v197
	v_add_co_u32 v49, vcc_lo, s7, v142
	v_add_co_ci_u32_e32 v50, vcc_lo, s9, v41, vcc_lo
	v_add_co_u32 v41, vcc_lo, v34, v244
	v_add_co_ci_u32_e32 v42, vcc_lo, v42, v243, vcc_lo
	s_delay_alu instid0(VALU_DEP_4) | instskip(NEXT) | instid1(VALU_DEP_4)
	v_add_co_u32 v43, vcc_lo, v49, v241
	v_add_co_ci_u32_e32 v44, vcc_lo, v50, v242, vcc_lo
	s_delay_alu instid0(VALU_DEP_4) | instskip(NEXT) | instid1(VALU_DEP_4)
	v_add_co_u32 v45, vcc_lo, v41, v198
	v_add_co_ci_u32_e32 v46, vcc_lo, 0, v42, vcc_lo
	s_delay_alu instid0(VALU_DEP_4) | instskip(SKIP_3) | instid1(VALU_DEP_3)
	v_add_co_u32 v47, vcc_lo, v43, v201
	v_ashrrev_i32_e32 v51, 31, v144
	v_add_co_ci_u32_e32 v48, vcc_lo, 0, v44, vcc_lo
	v_add_co_u32 v34, vcc_lo, s7, v144
	v_add_co_ci_u32_e32 v56, vcc_lo, s9, v51, vcc_lo
	v_add_co_u32 v49, vcc_lo, v49, v244
	v_add_co_ci_u32_e32 v50, vcc_lo, v50, v243, vcc_lo
	s_delay_alu instid0(VALU_DEP_4) | instskip(NEXT) | instid1(VALU_DEP_4)
	v_add_co_u32 v125, vcc_lo, v34, v241
	v_add_co_ci_u32_e32 v126, vcc_lo, v56, v242, vcc_lo
	s_delay_alu instid0(VALU_DEP_4) | instskip(NEXT) | instid1(VALU_DEP_4)
	;; [unrolled: 3-line block ×3, first 2 shown]
	v_add_co_u32 v53, vcc_lo, v125, v201
	v_add_co_ci_u32_e32 v54, vcc_lo, 0, v126, vcc_lo
	s_clause 0x8
	global_load_b32 v133, v[39:40], off offset:4
	global_load_b32 v138, v[45:46], off offset:4
	;; [unrolled: 1-line block ×5, first 2 shown]
	global_load_b32 v53, v[49:50], off
	global_load_b32 v54, v[43:44], off
	;; [unrolled: 1-line block ×4, first 2 shown]
	v_dual_add_f32 v32, 0x40051340, v37 :: v_dual_add_f32 v33, 0x40051340, v202
	v_ashrrev_i32_e32 v42, 31, v148
	v_dual_add_f32 v39, 0x40051340, v38 :: v_dual_add_f32 v40, 0x40051340, v31
	v_add_co_u32 v41, vcc_lo, s7, v148
	s_delay_alu instid0(VALU_DEP_4) | instskip(NEXT) | instid1(VALU_DEP_4)
	v_max3_f32 v45, v36, v32, v33
	v_add_co_ci_u32_e32 v42, vcc_lo, s9, v42, vcc_lo
	s_delay_alu instid0(VALU_DEP_4)
	v_max3_f32 v46, v35, v39, v40
	v_add_co_u32 v32, vcc_lo, v34, v244
	ds_bpermute_b32 v34, v187, v45
	v_add_co_ci_u32_e32 v33, vcc_lo, v56, v243, vcc_lo
	v_add_co_u32 v39, vcc_lo, v41, v241
	v_add_co_ci_u32_e32 v40, vcc_lo, v42, v242, vcc_lo
	ds_bpermute_b32 v47, v187, v46
	v_add_co_u32 v41, vcc_lo, v41, v244
	v_add_co_ci_u32_e32 v42, vcc_lo, v42, v243, vcc_lo
	v_add_co_u32 v43, vcc_lo, v32, v198
	v_add_co_ci_u32_e32 v44, vcc_lo, 0, v33, vcc_lo
	s_clause 0x4
	global_load_b32 v51, v[41:42], off
	global_load_b32 v56, v[39:40], off
	;; [unrolled: 1-line block ×4, first 2 shown]
	global_load_b32 v128, v[43:44], off offset:4
	v_add_co_u32 v32, vcc_lo, v39, v201
	v_add_co_ci_u32_e32 v33, vcc_lo, 0, v40, vcc_lo
	s_waitcnt lgkmcnt(1)
	v_max_f32_e32 v34, v34, v34
	v_cndmask_b32_e64 v52, v31, v38, s1
	v_ashrrev_i32_e32 v43, 31, v152
	global_load_b32 v127, v[32:33], off offset:4
	v_add_co_u32 v32, vcc_lo, v41, v198
	s_waitcnt lgkmcnt(0)
	v_dual_max_f32 v39, v47, v47 :: v_dual_max_f32 v40, v45, v34
	v_add_co_ci_u32_e32 v33, vcc_lo, 0, v42, vcc_lo
	v_add_co_u32 v42, vcc_lo, s7, v152
	s_delay_alu instid0(VALU_DEP_3)
	v_max_f32_e32 v41, v46, v39
	ds_bpermute_b32 v38, v190, v40
	v_ashrrev_i32_e32 v45, 31, v155
	v_add_co_ci_u32_e32 v43, vcc_lo, s9, v43, vcc_lo
	ds_bpermute_b32 v39, v190, v41
	v_add_co_u32 v44, vcc_lo, s7, v155
	v_ashrrev_i32_e32 v46, 31, v159
	v_add_co_ci_u32_e32 v45, vcc_lo, s9, v45, vcc_lo
	v_add_co_u32 v125, vcc_lo, s7, v159
	s_delay_alu instid0(VALU_DEP_3)
	v_add_co_ci_u32_e32 v126, vcc_lo, s9, v46, vcc_lo
	v_ashrrev_i32_e32 v46, 31, v162
	v_add_co_u32 v132, vcc_lo, s7, v162
	v_cndmask_b32_e64 v37, v240, v37, s1
	global_load_b32 v131, v[32:33], off offset:4
	v_add_co_ci_u32_e32 v134, vcc_lo, s9, v46, vcc_lo
	s_waitcnt lgkmcnt(1)
	v_max_f32_e32 v46, v38, v38
	v_cndmask_b32_e64 v139, v202, v37, s1
	v_add_co_u32 v37, vcc_lo, v42, v241
	s_waitcnt lgkmcnt(0)
	s_delay_alu instid0(VALU_DEP_3) | instskip(SKIP_2) | instid1(VALU_DEP_3)
	v_dual_max_f32 v129, v39, v39 :: v_dual_max_f32 v130, v40, v46
	v_add_co_ci_u32_e32 v38, vcc_lo, v43, v242, vcc_lo
	v_add_co_u32 v39, vcc_lo, v42, v244
	v_max_f32_e32 v129, v41, v129
	v_add_co_ci_u32_e32 v40, vcc_lo, v43, v243, vcc_lo
	ds_bpermute_b32 v202, v191, v130
	v_add_co_u32 v41, vcc_lo, v44, v241
	v_add_co_ci_u32_e32 v42, vcc_lo, v45, v242, vcc_lo
	v_add_co_u32 v43, vcc_lo, v44, v244
	v_add_co_ci_u32_e32 v44, vcc_lo, v45, v243, vcc_lo
	;; [unrolled: 2-line block ×4, first 2 shown]
	ds_bpermute_b32 v203, v191, v129
	v_add_co_u32 v125, vcc_lo, v37, v201
	v_add_co_ci_u32_e32 v126, vcc_lo, 0, v38, vcc_lo
	ds_load_b128 v[31:34], v137
	ds_load_b128 v[47:50], v137 offset:16
	s_waitcnt lgkmcnt(3)
	v_max_f32_e32 v210, v202, v202
	v_add_co_u32 v207, vcc_lo, v132, v241
	global_load_b32 v202, v[125:126], off offset:4
	v_add_co_ci_u32_e32 v208, vcc_lo, v134, v242, vcc_lo
	v_add_co_u32 v125, vcc_lo, v41, v201
	v_add_co_ci_u32_e32 v126, vcc_lo, 0, v42, vcc_lo
	s_add_i32 s8, s10, s8
	s_add_u32 s13, s13, s18
	s_addc_u32 s17, s17, 0
	s_waitcnt lgkmcnt(2)
	v_dual_max_f32 v203, v203, v203 :: v_dual_max_f32 v212, v130, v210
	s_delay_alu instid0(VALU_DEP_1)
	v_max_f32_e32 v203, v129, v203
	v_add_co_u32 v129, vcc_lo, v43, v198
	v_add_co_ci_u32_e32 v130, vcc_lo, 0, v44, vcc_lo
	v_add_co_u32 v210, vcc_lo, v39, v198
	v_add_co_ci_u32_e32 v211, vcc_lo, 0, v40, vcc_lo
	s_clause 0x6
	global_load_b32 v250, v[129:130], off offset:4
	global_load_b32 v248, v[43:44], off
	global_load_b32 v125, v[125:126], off offset:4
	global_load_b32 v251, v[41:42], off
	;; [unrolled: 2-line block ×3, first 2 shown]
	global_load_b32 v247, v[37:38], off
	ds_bpermute_b32 v213, v193, v212
	ds_bpermute_b32 v215, v193, v203
	v_add_co_u32 v37, vcc_lo, v132, v244
	v_add_co_ci_u32_e32 v38, vcc_lo, v134, v243, vcc_lo
	v_add_co_u32 v39, vcc_lo, v45, v201
	v_add_co_ci_u32_e32 v40, vcc_lo, 0, v46, vcc_lo
	s_waitcnt lgkmcnt(0)
	v_max_f32_e32 v43, v215, v215
	s_delay_alu instid0(VALU_DEP_1) | instskip(NEXT) | instid1(VALU_DEP_1)
	v_dual_max_f32 v41, v213, v213 :: v_dual_max_f32 v130, v203, v43
	v_max_f32_e32 v129, v212, v41
	v_add_co_u32 v41, vcc_lo, v205, v198
	v_add_co_ci_u32_e32 v42, vcc_lo, 0, v206, vcc_lo
	s_delay_alu instid0(VALU_DEP_3) | instskip(SKIP_3) | instid1(VALU_DEP_4)
	v_sub_f32_e32 v134, v36, v129
	v_sub_f32_e32 v210, v52, v130
	v_add_co_u32 v43, vcc_lo, v207, v201
	v_add_co_ci_u32_e32 v44, vcc_lo, 0, v208, vcc_lo
	v_dual_mul_f32 v52, 0x3fb8aa3b, v134 :: v_dual_sub_f32 v139, v139, v129
	s_delay_alu instid0(VALU_DEP_4) | instskip(SKIP_2) | instid1(VALU_DEP_4)
	v_mul_f32_e32 v212, 0x3fb8aa3b, v210
	v_sub_f32_e32 v203, v35, v130
	v_add_co_u32 v35, vcc_lo, v37, v198
	v_mul_f32_e32 v132, 0x3fb8aa3b, v139
	v_fma_f32 v213, 0x3fb8aa3b, v134, -v52
	v_rndne_f32_e32 v215, v52
	v_add_co_ci_u32_e32 v36, vcc_lo, 0, v38, vcc_lo
	v_mul_f32_e32 v211, 0x3fb8aa3b, v203
	v_fma_f32 v216, 0x3fb8aa3b, v139, -v132
	v_rndne_f32_e32 v217, v132
	v_rndne_f32_e32 v222, v212
	v_fmac_f32_e32 v213, 0x32a5705f, v134
	v_sub_f32_e32 v223, v52, v215
	v_fma_f32 v218, 0x3fb8aa3b, v203, -v211
	v_rndne_f32_e32 v220, v211
	v_fma_f32 v221, 0x3fb8aa3b, v210, -v212
	v_fmac_f32_e32 v216, 0x32a5705f, v139
	v_sub_f32_e32 v132, v132, v217
	v_sub_f32_e32 v212, v212, v222
	s_clause 0x1
	global_load_b32 v245, v[35:36], off offset:4
	global_load_b32 v52, v[37:38], off
	v_dual_add_f32 v35, v223, v213 :: v_dual_fmac_f32 v218, 0x32a5705f, v203
	v_fmac_f32_e32 v221, 0x32a5705f, v210
	v_sub_f32_e32 v211, v211, v220
	v_add_f32_e32 v36, v132, v216
	s_delay_alu instid0(VALU_DEP_4)
	v_exp_f32_e32 v35, v35
	s_clause 0x1
	global_load_b32 v252, v[43:44], off offset:4
	global_load_b32 v246, v[207:208], off
	v_cvt_i32_f32_e32 v43, v215
	v_add_f32_e32 v37, v211, v218
	v_exp_f32_e32 v36, v36
	v_cvt_i32_f32_e32 v44, v217
	v_cmp_ngt_f32_e32 vcc_lo, 0xc2ce8ed0, v134
	v_cvt_i32_f32_e32 v207, v220
	v_exp_f32_e32 v37, v37
	v_cvt_i32_f32_e32 v208, v222
	v_ldexp_f32 v35, v35, v43
	v_add_f32_e32 v38, v212, v221
	s_clause 0x1
	global_load_b32 v132, v[41:42], off offset:4
	global_load_b32 v249, v[205:206], off
	v_ldexp_f32 v36, v36, v44
	v_cndmask_b32_e32 v35, 0, v35, vcc_lo
	v_exp_f32_e32 v38, v38
	v_cmp_ngt_f32_e32 vcc_lo, 0xc2ce8ed0, v139
	v_ldexp_f32 v37, v37, v207
	v_cndmask_b32_e32 v36, 0, v36, vcc_lo
	v_cmp_ngt_f32_e32 vcc_lo, 0xc2ce8ed0, v203
	s_waitcnt_depctr 0xfff
	v_ldexp_f32 v38, v38, v208
	v_cndmask_b32_e32 v37, 0, v37, vcc_lo
	v_cmp_ngt_f32_e32 vcc_lo, 0xc2ce8ed0, v210
	s_delay_alu instid0(VALU_DEP_3)
	v_cndmask_b32_e32 v38, 0, v38, vcc_lo
	v_cmp_nlt_f32_e32 vcc_lo, 0x42b17218, v134
	s_waitcnt vmcnt(29)
	v_ashrrev_i32_e32 v133, v173, v133
	v_cndmask_b32_e32 v35, 0x7f800000, v35, vcc_lo
	v_cmp_nlt_f32_e32 vcc_lo, 0x42b17218, v139
	s_clause 0x1
	global_load_b32 v139, v[39:40], off offset:4
	global_load_b32 v134, v[45:46], off
	s_waitcnt vmcnt(30)
	v_ashrrev_i32_e32 v138, v173, v138
	s_waitcnt vmcnt(29)
	v_ashrrev_i32_e32 v175, v173, v175
	v_lshrrev_b32_e32 v212, 16, v133
	v_cndmask_b32_e32 v240, 0x7f800000, v36, vcc_lo
	v_cmp_nlt_f32_e32 vcc_lo, 0x42b17218, v203
	v_and_b32_e32 v213, 15, v138
	v_lshrrev_b32_e32 v211, 8, v133
	v_and_b32_e32 v217, 15, v175
	v_and_b32_e32 v212, 15, v212
	v_cndmask_b32_e32 v36, 0x7f800000, v37, vcc_lo
	v_cmp_nlt_f32_e32 vcc_lo, 0x42b17218, v210
	v_and_b32_e32 v210, 15, v133
	v_fma_f32 v59, v59, v35, v240
	v_cvt_f16_f32_e32 v35, v35
	v_lshrrev_b32_e32 v215, 8, v138
	v_cndmask_b32_e32 v37, 0x7f800000, v38, vcc_lo
	v_cvt_f16_f32_e64 v38, v240
	v_lshrrev_b32_e32 v216, 16, v138
	v_lshrrev_b32_e32 v218, 8, v175
	;; [unrolled: 1-line block ×3, first 2 shown]
	v_fma_f32 v60, v60, v36, v37
	v_cvt_f16_f32_e32 v37, v37
	ds_store_b16 v136, v38
	ds_store_b16 v136, v37 offset:256
	v_and_b32_e32 v211, 15, v211
	v_cvt_f16_f32_e64 v203, v36
	v_pk_mul_f16 v208, v35, v31 op_sel_hi:[0,1]
	v_pk_mul_f16 v207, v35, v32 op_sel_hi:[0,1]
	;; [unrolled: 1-line block ×4, first 2 shown]
	ds_load_b128 v[43:46], v194
	ds_load_b128 v[35:38], v194 offset:16
	ds_load_b128 v[39:42], v194 offset:256
	ds_load_b128 v[31:34], v194 offset:272
	v_bfe_u32 v133, v133, 24, 4
	v_bfe_u32 v138, v138, 24, 4
	v_bfe_u32 v175, v175, 24, 4
	v_cvt_f16_u16_e64 v210, v210
	v_and_b32_e32 v215, 15, v215
	v_and_b32_e32 v216, 15, v216
	;; [unrolled: 1-line block ×4, first 2 shown]
	v_cvt_f16_u16_e64 v211, v211
	v_cvt_f16_u16_e64 v133, v133
	;; [unrolled: 1-line block ×11, first 2 shown]
	v_pack_b32_f16 v210, v210, v211
	s_waitcnt vmcnt(28)
	v_ashrrev_i32_e32 v185, v173, v185
	v_pack_b32_f16 v133, v212, v133
	v_pack_b32_f16 v211, v213, v215
	;; [unrolled: 1-line block ×5, first 2 shown]
	s_waitcnt vmcnt(23)
	v_pk_fma_f16 v210, v58, v210, v58 op_sel:[0,0,1] op_sel_hi:[0,1,1]
	v_lshrrev_b32_e32 v222, 8, v185
	v_ashrrev_i32_e32 v195, v173, v195
	v_pk_fma_f16 v58, v58, v133, v58 op_sel:[0,0,1] op_sel_hi:[0,1,1]
	v_pk_fma_f16 v133, v55, v211, v55 op_sel:[0,0,1] op_sel_hi:[0,1,1]
	;; [unrolled: 1-line block ×5, first 2 shown]
	s_waitcnt lgkmcnt(3)
	v_pk_fma_f16 v54, v210, v43, v208 op_sel_hi:[1,0,1]
	s_waitcnt lgkmcnt(1)
	v_pk_mul_f16 v208, v210, v39 op_sel_hi:[1,0]
	v_and_b32_e32 v221, 15, v185
	v_and_b32_e32 v222, 15, v222
	v_pk_mul_f16 v49, v203, v49 op_sel_hi:[0,1]
	v_pk_mul_f16 v50, v203, v50 op_sel_hi:[0,1]
	v_lshrrev_b32_e32 v223, 16, v185
	v_bfe_u32 v185, v185, 24, 4
	v_pk_fma_f16 v47, v203, v47, v208 op_sel_hi:[0,1,1]
	v_pk_fma_f16 v210, v138, v43, v54 op_sel:[0,1,0]
	v_lshrrev_b32_e32 v54, 8, v195
	v_pk_fma_f16 v211, v58, v43, v207 op_sel_hi:[1,0,1]
	v_pk_fma_f16 v212, v133, v43, v205 op_sel_hi:[1,0,1]
	v_pk_fma_f16 v213, v55, v43, v206 op_sel_hi:[1,0,1]
	v_cvt_f16_u16_e64 v221, v221
	v_cvt_f16_u16_e64 v222, v222
	v_pk_mul_f16 v58, v58, v39 op_sel_hi:[1,0]
	ds_store_b64 v137, v[49:50] offset:24
	ds_store_b32 v137, v47 offset:16
	ds_store_b128 v137, v[210:213]
	v_pk_fma_f16 v47, v138, v39, v47 op_sel:[0,1,0]
	v_cvt_f16_u16_e64 v138, v185
	v_and_b32_e32 v185, 15, v54
	v_ashrrev_i32_e32 v54, 31, v165
	v_pack_b32_f16 v215, v221, v222
	v_pk_fma_f16 v48, v203, v48, v58 op_sel_hi:[0,1,1]
	v_add_co_u32 v203, vcc_lo, s7, v165
	s_delay_alu instid0(VALU_DEP_4) | instskip(NEXT) | instid1(VALU_DEP_4)
	v_add_co_ci_u32_e32 v217, vcc_lo, s9, v54, vcc_lo
	v_pk_fma_f16 v58, v53, v215, v53 op_sel:[0,0,1] op_sel_hi:[0,1,1]
	s_delay_alu instid0(VALU_DEP_3)
	v_add_co_u32 v215, vcc_lo, v203, v241
	v_and_b32_e32 v223, 15, v223
	v_pk_fma_f16 v50, v55, v39, v50 op_sel_hi:[1,0,1]
	v_and_b32_e32 v55, 15, v195
	v_add_co_ci_u32_e32 v216, vcc_lo, v217, v242, vcc_lo
	v_lshrrev_b32_e32 v205, 16, v195
	v_add_co_u32 v54, vcc_lo, v215, v201
	v_pk_fma_f16 v49, v133, v39, v49 op_sel_hi:[1,0,1]
	v_cvt_f16_u16_e64 v133, v223
	v_cvt_f16_u16_e64 v207, v55
	v_add_co_ci_u32_e32 v55, vcc_lo, 0, v216, vcc_lo
	v_cvt_f16_u16_e64 v185, v185
	v_and_b32_e32 v205, 15, v205
	v_bfe_u32 v208, v195, 24, 4
	v_pack_b32_f16 v133, v133, v138
	global_load_b32 v195, v[54:55], off offset:4
	v_pack_b32_f16 v54, v207, v185
	v_cvt_f16_u16_e64 v55, v205
	v_cvt_f16_u16_e64 v138, v208
	v_pk_fma_f16 v53, v53, v133, v53 op_sel:[0,0,1] op_sel_hi:[0,1,1]
	v_pk_fma_f16 v206, v175, v43, v211 op_sel:[0,1,0]
	s_waitcnt vmcnt(20)
	v_pk_fma_f16 v54, v254, v54, v254 op_sel:[0,0,1] op_sel_hi:[0,1,1]
	v_pk_fma_f16 v207, v58, v43, v212 op_sel:[0,1,0]
	v_pack_b32_f16 v55, v55, v138
	v_pk_fma_f16 v208, v53, v43, v213 op_sel:[0,1,0]
	v_pk_fma_f16 v211, v175, v39, v48 op_sel:[0,1,0]
	v_pk_fma_f16 v205, v54, v44, v210 op_sel_hi:[1,0,1]
	v_pk_fma_f16 v212, v58, v39, v49 op_sel:[0,1,0]
	v_pk_fma_f16 v213, v53, v39, v50 op_sel:[0,1,0]
	v_pk_fma_f16 v39, v254, v55, v254 op_sel:[0,0,1] op_sel_hi:[0,1,1]
	ds_store_b128 v137, v[47:50] offset:16
	ds_store_b128 v137, v[205:208]
	v_ashrrev_i32_e32 v49, 31, v167
	s_waitcnt vmcnt(18)
	v_ashrrev_i32_e32 v175, v173, v127
	v_ashrrev_i32_e32 v43, v173, v128
	v_pk_fma_f16 v48, v39, v44, v206 op_sel_hi:[1,0,1]
	v_pk_fma_f16 v206, v39, v40, v211 op_sel_hi:[1,0,1]
	v_add_co_u32 v39, vcc_lo, s7, v167
	v_add_co_ci_u32_e32 v53, vcc_lo, s9, v49, vcc_lo
	v_add_co_u32 v49, vcc_lo, v203, v244
	v_add_co_ci_u32_e32 v50, vcc_lo, v217, v243, vcc_lo
	s_delay_alu instid0(VALU_DEP_4) | instskip(NEXT) | instid1(VALU_DEP_4)
	v_add_co_u32 v127, vcc_lo, v39, v241
	v_add_co_ci_u32_e32 v128, vcc_lo, v53, v242, vcc_lo
	v_add_co_u32 v217, vcc_lo, v39, v244
	v_add_co_ci_u32_e32 v218, vcc_lo, v53, v243, vcc_lo
	s_delay_alu instid0(VALU_DEP_4) | instskip(NEXT) | instid1(VALU_DEP_4)
	v_add_co_u32 v254, vcc_lo, v127, v201
	v_add_co_ci_u32_e32 v255, vcc_lo, 0, v128, vcc_lo
	s_delay_alu instid0(VALU_DEP_4)
	v_add_co_u32 v53, vcc_lo, v217, v198
	v_pk_fma_f16 v210, v54, v40, v47 op_sel_hi:[1,0,1]
	v_add_co_ci_u32_e32 v54, vcc_lo, 0, v218, vcc_lo
	v_add_co_u32 v220, vcc_lo, v49, v198
	v_add_co_ci_u32_e32 v221, vcc_lo, 0, v50, vcc_lo
	s_clause 0x6
	global_load_b32 v54, v[53:54], off offset:4
	global_load_b32 v53, v[217:218], off
	global_load_b32 v138, v[254:255], off offset:4
	global_load_b32 v55, v[127:128], off
	;; [unrolled: 2-line block ×3, first 2 shown]
	global_load_b32 v39, v[215:216], off
	v_lshrrev_b32_e32 v47, 8, v43
	v_lshrrev_b32_e32 v133, 16, v43
	v_and_b32_e32 v49, 15, v43
	v_lshrrev_b32_e32 v128, 8, v175
	v_bfe_u32 v43, v43, 24, 4
	v_and_b32_e32 v47, 15, v47
	v_and_b32_e32 v50, 15, v133
	v_cvt_f16_u16_e32 v49, v49
	v_and_b32_e32 v133, 15, v175
	v_and_b32_e32 v128, 15, v128
	v_cvt_f16_u16_e32 v47, v47
	v_cvt_f16_u16_e32 v50, v50
	v_lshrrev_b32_e32 v185, 16, v175
	v_cvt_f16_u16_e32 v43, v43
	v_cvt_f16_u16_e64 v133, v133
	v_cvt_f16_u16_e64 v128, v128
	v_pack_b32_f16 v47, v49, v47
	v_and_b32_e32 v49, 15, v185
	v_bfe_u32 v175, v175, 24, 4
	v_pack_b32_f16 v43, v50, v43
	v_pack_b32_f16 v50, v133, v128
	v_pk_fma_f16 v47, v57, v47, v57 op_sel:[0,0,1] op_sel_hi:[0,1,1]
	v_cvt_f16_u16_e64 v128, v49
	v_cvt_f16_u16_e64 v133, v175
	v_pk_fma_f16 v43, v57, v43, v57 op_sel:[0,0,1] op_sel_hi:[0,1,1]
	v_pk_fma_f16 v57, v56, v50, v56 op_sel:[0,0,1] op_sel_hi:[0,1,1]
	v_pk_fma_f16 v49, v47, v44, v207 op_sel_hi:[1,0,1]
	v_pk_fma_f16 v207, v47, v40, v212 op_sel_hi:[1,0,1]
	v_pack_b32_f16 v128, v128, v133
	v_pk_fma_f16 v50, v43, v44, v208 op_sel_hi:[1,0,1]
	v_pk_fma_f16 v208, v43, v40, v213 op_sel_hi:[1,0,1]
	s_waitcnt vmcnt(24)
	v_ashrrev_i32_e32 v43, v173, v131
	s_waitcnt vmcnt(23)
	v_ashrrev_i32_e32 v131, v173, v202
	v_pk_fma_f16 v56, v56, v128, v56 op_sel:[0,0,1] op_sel_hi:[0,1,1]
	v_pk_fma_f16 v47, v57, v44, v205 op_sel:[0,1,0]
	v_pk_fma_f16 v205, v57, v40, v210 op_sel:[0,1,0]
	v_lshrrev_b32_e32 v128, 16, v43
	v_lshrrev_b32_e32 v57, 8, v43
	v_and_b32_e32 v133, 15, v43
	v_bfe_u32 v43, v43, 24, 4
	v_lshrrev_b32_e32 v175, 8, v131
	v_and_b32_e32 v128, 15, v128
	v_and_b32_e32 v57, 15, v57
	;; [unrolled: 1-line block ×3, first 2 shown]
	v_cvt_f16_u16_e32 v43, v43
	v_and_b32_e32 v175, 15, v175
	v_cvt_f16_u16_e64 v128, v128
	v_cvt_f16_u16_e64 v133, v133
	v_cvt_f16_u16_e32 v57, v57
	v_lshrrev_b32_e32 v202, 16, v131
	v_cvt_f16_u16_e64 v185, v185
	v_pack_b32_f16 v43, v128, v43
	v_cvt_f16_u16_e64 v175, v175
	v_pack_b32_f16 v57, v133, v57
	v_and_b32_e32 v133, 15, v202
	v_bfe_u32 v131, v131, 24, 4
	v_pk_fma_f16 v43, v51, v43, v51 op_sel:[0,0,1] op_sel_hi:[0,1,1]
	v_pack_b32_f16 v128, v185, v175
	ds_store_b128 v137, v[210:213] offset:16
	ds_store_b128 v137, v[47:50]
	v_cvt_f16_u16_e64 v133, v133
	v_cvt_f16_u16_e64 v131, v131
	v_pk_fma_f16 v50, v43, v44, v50 op_sel:[0,1,0]
	v_pk_fma_f16 v213, v43, v40, v208 op_sel:[0,1,0]
	v_ashrrev_i32_e32 v43, 31, v171
	v_pk_fma_f16 v57, v51, v57, v51 op_sel:[0,0,1] op_sel_hi:[0,1,1]
	s_waitcnt vmcnt(16)
	v_pk_fma_f16 v51, v247, v128, v247 op_sel:[0,0,1] op_sel_hi:[0,1,1]
	v_add_co_u32 v128, vcc_lo, s7, v171
	v_pk_fma_f16 v48, v56, v44, v48 op_sel:[0,1,0]
	v_pk_fma_f16 v211, v56, v40, v206 op_sel:[0,1,0]
	v_pack_b32_f16 v56, v133, v131
	v_add_co_ci_u32_e32 v131, vcc_lo, s9, v43, vcc_lo
	v_add_co_u32 v43, vcc_lo, v128, v241
	v_pk_fma_f16 v49, v57, v44, v49 op_sel:[0,1,0]
	s_delay_alu instid0(VALU_DEP_3)
	v_add_co_ci_u32_e32 v44, vcc_lo, v131, v242, vcc_lo
	v_pk_fma_f16 v212, v57, v40, v207 op_sel:[0,1,0]
	v_pk_fma_f16 v40, v247, v56, v247 op_sel:[0,0,1] op_sel_hi:[0,1,1]
	v_add_co_u32 v56, vcc_lo, v43, v201
	v_pk_fma_f16 v47, v51, v45, v47 op_sel_hi:[1,0,1]
	v_add_co_ci_u32_e32 v57, vcc_lo, 0, v44, vcc_lo
	ds_store_b128 v137, v[205:208] offset:16
	ds_store_b128 v137, v[47:50]
	v_ashrrev_i32_e32 v222, v173, v125
	global_load_b32 v125, v[56:57], off offset:4
	v_ashrrev_i32_e32 v56, 31, v174
	v_pk_fma_f16 v210, v51, v41, v205 op_sel_hi:[1,0,1]
	v_add_co_u32 v51, vcc_lo, s7, v174
	v_ashrrev_i32_e32 v126, v173, v126
	s_delay_alu instid0(VALU_DEP_4) | instskip(SKIP_3) | instid1(VALU_DEP_4)
	v_add_co_ci_u32_e32 v56, vcc_lo, s9, v56, vcc_lo
	v_add_co_u32 v202, vcc_lo, v128, v244
	v_add_co_ci_u32_e32 v203, vcc_lo, v131, v243, vcc_lo
	v_add_co_u32 v205, vcc_lo, v51, v241
	;; [unrolled: 2-line block ×3, first 2 shown]
	v_add_co_ci_u32_e32 v208, vcc_lo, v56, v243, vcc_lo
	s_delay_alu instid0(VALU_DEP_4) | instskip(NEXT) | instid1(VALU_DEP_4)
	v_add_co_u32 v215, vcc_lo, v205, v201
	v_add_co_ci_u32_e32 v216, vcc_lo, 0, v206, vcc_lo
	s_delay_alu instid0(VALU_DEP_4) | instskip(NEXT) | instid1(VALU_DEP_4)
	v_add_co_u32 v56, vcc_lo, v207, v198
	v_add_co_ci_u32_e32 v57, vcc_lo, 0, v208, vcc_lo
	v_add_co_u32 v217, vcc_lo, v202, v198
	v_add_co_ci_u32_e32 v218, vcc_lo, 0, v203, vcc_lo
	s_clause 0x6
	global_load_b32 v56, v[56:57], off offset:4
	global_load_b32 v51, v[207:208], off
	global_load_b32 v133, v[215:216], off offset:4
	global_load_b32 v57, v[205:206], off
	;; [unrolled: 2-line block ×3, first 2 shown]
	global_load_b32 v185, v[43:44], off
	v_lshrrev_b32_e32 v220, 8, v126
	v_pk_fma_f16 v48, v40, v45, v48 op_sel_hi:[1,0,1]
	v_lshrrev_b32_e32 v221, 16, v126
	v_pk_fma_f16 v206, v40, v41, v211 op_sel_hi:[1,0,1]
	v_and_b32_e32 v40, 15, v126
	v_and_b32_e32 v43, 15, v220
	v_lshrrev_b32_e32 v128, 8, v222
	v_and_b32_e32 v44, 15, v221
	v_bfe_u32 v126, v126, 24, 4
	v_cvt_f16_u16_e32 v40, v40
	v_cvt_f16_u16_e32 v43, v43
	v_and_b32_e32 v131, 15, v222
	v_and_b32_e32 v128, 15, v128
	v_lshrrev_b32_e32 v202, 16, v222
	v_cvt_f16_u16_e32 v44, v44
	v_cvt_f16_u16_e32 v126, v126
	v_cvt_f16_u16_e64 v131, v131
	v_cvt_f16_u16_e64 v128, v128
	v_pack_b32_f16 v40, v40, v43
	v_and_b32_e32 v43, 15, v202
	v_bfe_u32 v202, v222, 24, 4
	v_pack_b32_f16 v44, v44, v126
	v_pack_b32_f16 v126, v131, v128
	v_pk_fma_f16 v40, v253, v40, v253 op_sel:[0,0,1] op_sel_hi:[0,1,1]
	v_cvt_f16_u16_e32 v43, v43
	v_cvt_f16_u16_e64 v128, v202
	v_pk_fma_f16 v44, v253, v44, v253 op_sel:[0,0,1] op_sel_hi:[0,1,1]
	v_pk_fma_f16 v126, v251, v126, v251 op_sel:[0,0,1] op_sel_hi:[0,1,1]
	v_pk_fma_f16 v49, v40, v45, v49 op_sel_hi:[1,0,1]
	v_pk_fma_f16 v207, v40, v41, v212 op_sel_hi:[1,0,1]
	v_pack_b32_f16 v40, v43, v128
	v_ashrrev_i32_e32 v43, v173, v250
	v_pk_fma_f16 v50, v44, v45, v50 op_sel_hi:[1,0,1]
	v_pk_fma_f16 v208, v44, v41, v213 op_sel_hi:[1,0,1]
	v_pk_fma_f16 v47, v126, v45, v47 op_sel:[0,1,0]
	v_pk_fma_f16 v40, v251, v40, v251 op_sel:[0,0,1] op_sel_hi:[0,1,1]
	v_lshrrev_b32_e32 v44, 8, v43
	ds_store_b128 v137, v[210:213] offset:16
	ds_store_b128 v137, v[47:50]
	v_pk_fma_f16 v205, v126, v41, v210 op_sel:[0,1,0]
	v_lshrrev_b32_e32 v126, 16, v43
	v_pk_fma_f16 v48, v40, v45, v48 op_sel:[0,1,0]
	v_pk_fma_f16 v211, v40, v41, v206 op_sel:[0,1,0]
	v_and_b32_e32 v40, 15, v43
	v_and_b32_e32 v44, 15, v44
	s_waitcnt vmcnt(17)
	v_ashrrev_i32_e32 v128, v173, v139
	v_and_b32_e32 v126, 15, v126
	v_bfe_u32 v43, v43, 24, 4
	v_cvt_f16_u16_e32 v40, v40
	v_cvt_f16_u16_e32 v44, v44
	v_lshrrev_b32_e32 v131, 8, v128
	v_cvt_f16_u16_e32 v126, v126
	v_cvt_f16_u16_e32 v43, v43
	v_lshrrev_b32_e32 v139, 16, v128
	v_pack_b32_f16 v40, v40, v44
	v_and_b32_e32 v44, 15, v128
	v_and_b32_e32 v131, 15, v131
	v_pack_b32_f16 v43, v126, v43
	v_and_b32_e32 v126, 15, v139
	v_pk_fma_f16 v40, v248, v40, v248 op_sel:[0,0,1] op_sel_hi:[0,1,1]
	v_cvt_f16_u16_e32 v44, v44
	v_cvt_f16_u16_e64 v131, v131
	v_pk_fma_f16 v43, v248, v43, v248 op_sel:[0,0,1] op_sel_hi:[0,1,1]
	v_bfe_u32 v128, v128, 24, 4
	v_pk_fma_f16 v49, v40, v45, v49 op_sel:[0,1,0]
	v_cvt_f16_u16_e32 v126, v126
	v_pack_b32_f16 v44, v44, v131
	v_ashrrev_i32_e32 v131, v173, v132
	v_pk_fma_f16 v50, v43, v45, v50 op_sel:[0,1,0]
	v_cvt_f16_u16_e64 v128, v128
	v_pk_fma_f16 v212, v40, v41, v207 op_sel:[0,1,0]
	s_waitcnt vmcnt(16)
	v_pk_fma_f16 v44, v134, v44, v134 op_sel:[0,0,1] op_sel_hi:[0,1,1]
	v_lshrrev_b32_e32 v45, 8, v131
	v_pk_fma_f16 v213, v43, v41, v208 op_sel:[0,1,0]
	v_and_b32_e32 v41, 15, v131
	v_pack_b32_f16 v40, v126, v128
	v_pk_fma_f16 v47, v44, v46, v47 op_sel_hi:[1,0,1]
	v_and_b32_e32 v43, 15, v45
	v_lshrrev_b32_e32 v45, 16, v131
	v_pk_fma_f16 v210, v44, v42, v205 op_sel_hi:[1,0,1]
	v_cvt_f16_u16_e32 v41, v41
	v_ashrrev_i32_e32 v126, v173, v252
	v_cvt_f16_u16_e32 v43, v43
	v_and_b32_e32 v44, 15, v45
	v_bfe_u32 v45, v131, 24, 4
	v_pk_fma_f16 v40, v134, v40, v134 op_sel:[0,0,1] op_sel_hi:[0,1,1]
	ds_store_b128 v137, v[205:208] offset:16
	ds_store_b128 v137, v[47:50]
	v_pack_b32_f16 v41, v41, v43
	v_cvt_f16_u16_e32 v43, v44
	v_cvt_f16_u16_e32 v44, v45
	v_lshrrev_b32_e32 v45, 16, v126
	v_pk_fma_f16 v206, v40, v46, v48 op_sel_hi:[1,0,1]
	v_pk_fma_f16 v48, v40, v42, v211 op_sel_hi:[1,0,1]
	v_lshrrev_b32_e32 v40, 8, v126
	v_pk_fma_f16 v128, v249, v41, v249 op_sel:[0,0,1] op_sel_hi:[0,1,1]
	v_pack_b32_f16 v43, v43, v44
	v_and_b32_e32 v41, 15, v126
	v_and_b32_e32 v44, 15, v45
	v_bfe_u32 v45, v126, 24, 4
	v_ashrrev_i32_e32 v126, 31, v176
	v_add_co_u32 v131, vcc_lo, s7, v176
	v_and_b32_e32 v40, 15, v40
	v_pk_fma_f16 v43, v249, v43, v249 op_sel:[0,0,1] op_sel_hi:[0,1,1]
	s_delay_alu instid0(VALU_DEP_4) | instskip(NEXT) | instid1(VALU_DEP_4)
	v_add_co_ci_u32_e32 v132, vcc_lo, s9, v126, vcc_lo
	v_add_co_u32 v202, vcc_lo, v131, v241
	v_cvt_f16_u16_e32 v126, v41
	s_delay_alu instid0(VALU_DEP_3) | instskip(SKIP_1) | instid1(VALU_DEP_4)
	v_add_co_ci_u32_e32 v203, vcc_lo, v132, v242, vcc_lo
	v_cvt_f16_u16_e64 v134, v40
	v_add_co_u32 v40, vcc_lo, v202, v201
	s_delay_alu instid0(VALU_DEP_3) | instskip(NEXT) | instid1(VALU_DEP_3)
	v_add_co_ci_u32_e32 v41, vcc_lo, 0, v203, vcc_lo
	v_pack_b32_f16 v134, v126, v134
	v_ashrrev_i32_e32 v139, 31, v177
	v_pk_fma_f16 v207, v128, v46, v49 op_sel_hi:[1,0,1]
	global_load_b32 v126, v[40:41], off offset:4
	v_pk_fma_f16 v208, v43, v46, v50 op_sel_hi:[1,0,1]
	v_pk_fma_f16 v40, v246, v134, v246 op_sel:[0,0,1] op_sel_hi:[0,1,1]
	v_add_co_u32 v134, vcc_lo, s7, v177
	v_add_co_ci_u32_e32 v139, vcc_lo, s9, v139, vcc_lo
	s_delay_alu instid0(VALU_DEP_3)
	v_pk_fma_f16 v205, v40, v46, v47 op_sel:[0,1,0]
	ds_store_b128 v137, v[210:213] offset:16
	ds_store_b128 v137, v[205:208]
	v_pk_fma_f16 v47, v40, v42, v210 op_sel:[0,1,0]
	v_add_co_u32 v210, vcc_lo, v131, v244
	v_add_co_ci_u32_e32 v211, vcc_lo, v132, v243, vcc_lo
	v_add_co_u32 v131, vcc_lo, v134, v241
	v_add_co_ci_u32_e32 v132, vcc_lo, v139, v242, vcc_lo
	v_pk_fma_f16 v49, v128, v42, v212 op_sel_hi:[1,0,1]
	v_add_co_u32 v212, vcc_lo, v134, v244
	v_pk_fma_f16 v50, v43, v42, v213 op_sel_hi:[1,0,1]
	v_add_co_ci_u32_e32 v213, vcc_lo, v139, v243, vcc_lo
	v_add_co_u32 v215, vcc_lo, v131, v201
	v_add_co_ci_u32_e32 v216, vcc_lo, 0, v132, vcc_lo
	v_cvt_f16_u16_e32 v44, v44
	v_cvt_f16_u16_e32 v45, v45
	v_add_co_u32 v217, vcc_lo, v212, v198
	v_add_co_ci_u32_e32 v218, vcc_lo, 0, v213, vcc_lo
	v_add_co_u32 v220, vcc_lo, v210, v198
	s_delay_alu instid0(VALU_DEP_4)
	v_pack_b32_f16 v41, v44, v45
	v_ashrrev_i32_e32 v43, v173, v245
	s_waitcnt vmcnt(16)
	v_ashrrev_i32_e32 v195, v173, v195
	v_add_co_ci_u32_e32 v221, vcc_lo, 0, v211, vcc_lo
	s_clause 0x6
	global_load_b32 v248, v[217:218], off offset:4
	global_load_b32 v245, v[212:213], off
	global_load_b32 v134, v[215:216], off offset:4
	global_load_b32 v249, v[131:132], off
	;; [unrolled: 2-line block ×3, first 2 shown]
	global_load_b32 v139, v[202:203], off
	v_pk_fma_f16 v41, v246, v41, v246 op_sel:[0,0,1] op_sel_hi:[0,1,1]
	v_lshrrev_b32_e32 v45, 8, v43
	v_lshrrev_b32_e32 v128, 16, v43
	;; [unrolled: 1-line block ×4, first 2 shown]
	v_pk_fma_f16 v44, v41, v46, v206 op_sel:[0,1,0]
	v_pk_fma_f16 v40, v41, v42, v48 op_sel:[0,1,0]
	v_and_b32_e32 v41, 15, v43
	v_and_b32_e32 v45, 15, v45
	v_and_b32_e32 v128, 15, v128
	v_bfe_u32 v43, v43, 24, 4
	v_and_b32_e32 v206, 15, v195
	v_and_b32_e32 v132, 15, v222
	v_cvt_f16_u16_e32 v41, v41
	v_cvt_f16_u16_e32 v45, v45
	v_cvt_f16_u16_e64 v128, v128
	v_cvt_f16_u16_e32 v43, v43
	v_cvt_f16_u16_e64 v203, v206
	v_cvt_f16_u16_e64 v132, v132
	v_pack_b32_f16 v41, v41, v45
	v_and_b32_e32 v45, 15, v202
	v_bfe_u32 v195, v195, 24, 4
	v_pack_b32_f16 v43, v128, v43
	v_pack_b32_f16 v128, v203, v132
	v_pk_fma_f16 v41, v52, v41, v52 op_sel:[0,0,1] op_sel_hi:[0,1,1]
	v_cvt_f16_u16_e64 v132, v45
	v_cvt_f16_u16_e64 v195, v195
	v_pk_fma_f16 v52, v52, v43, v52 op_sel:[0,0,1] op_sel_hi:[0,1,1]
	s_waitcnt vmcnt(22)
	v_ashrrev_i32_e32 v54, v173, v54
	v_pk_fma_f16 v45, v41, v46, v207 op_sel:[0,1,0]
	v_pk_fma_f16 v41, v41, v42, v49 op_sel:[0,1,0]
	v_pack_b32_f16 v132, v132, v195
	v_pk_fma_f16 v46, v52, v46, v208 op_sel:[0,1,0]
	v_pk_fma_f16 v42, v52, v42, v50 op_sel:[0,1,0]
	s_waitcnt vmcnt(16)
	v_pk_fma_f16 v128, v39, v128, v39 op_sel:[0,0,1] op_sel_hi:[0,1,1]
	v_ashrrev_i32_e32 v52, v173, v127
	v_pk_fma_f16 v127, v39, v132, v39 op_sel:[0,0,1] op_sel_hi:[0,1,1]
	v_ashrrev_i32_e32 v132, v173, v138
	s_delay_alu instid0(VALU_DEP_4)
	v_pk_fma_f16 v43, v128, v35, v205 op_sel_hi:[1,0,1]
	ds_store_b128 v137, v[47:50] offset:16
	ds_store_b128 v137, v[43:46]
	s_waitcnt lgkmcnt(17)
	v_pk_fma_f16 v39, v128, v31, v47 op_sel_hi:[1,0,1]
	v_lshrrev_b32_e32 v47, 8, v52
	v_lshrrev_b32_e32 v48, 16, v52
	v_and_b32_e32 v49, 15, v52
	v_bfe_u32 v50, v52, 24, 4
	v_add_co_u32 v52, vcc_lo, s7, v178
	v_and_b32_e32 v47, 15, v47
	v_pk_fma_f16 v44, v127, v35, v44 op_sel_hi:[1,0,1]
	v_pk_fma_f16 v206, v127, v31, v40 op_sel_hi:[1,0,1]
	v_and_b32_e32 v48, 15, v48
	v_cvt_f16_u16_e64 v138, v49
	v_cvt_f16_u16_e64 v195, v47
	v_ashrrev_i32_e32 v47, 31, v178
	v_and_b32_e32 v49, 15, v132
	v_cvt_f16_u16_e64 v205, v48
	v_cvt_f16_u16_e64 v217, v50
	v_lshrrev_b32_e32 v218, 16, v132
	v_add_co_ci_u32_e32 v127, vcc_lo, s9, v47, vcc_lo
	v_lshrrev_b32_e32 v47, 8, v132
	v_add_co_u32 v207, vcc_lo, v52, v241
	s_delay_alu instid0(VALU_DEP_3) | instskip(NEXT) | instid1(VALU_DEP_3)
	v_add_co_ci_u32_e32 v208, vcc_lo, v127, v242, vcc_lo
	v_and_b32_e32 v128, 15, v47
	s_delay_alu instid0(VALU_DEP_3) | instskip(NEXT) | instid1(VALU_DEP_3)
	v_add_co_u32 v47, vcc_lo, v207, v201
	v_add_co_ci_u32_e32 v48, vcc_lo, 0, v208, vcc_lo
	v_cvt_f16_u16_e64 v220, v49
	v_ashrrev_i32_e32 v49, 31, v179
	v_cvt_f16_u16_e64 v221, v128
	global_load_b32 v48, v[47:48], off offset:4
	v_add_co_u32 v47, vcc_lo, s7, v179
	v_add_co_ci_u32_e32 v50, vcc_lo, s9, v49, vcc_lo
	v_add_co_u32 v210, vcc_lo, v52, v244
	v_add_co_ci_u32_e32 v211, vcc_lo, v127, v243, vcc_lo
	s_delay_alu instid0(VALU_DEP_4) | instskip(NEXT) | instid1(VALU_DEP_4)
	v_add_co_u32 v127, vcc_lo, v47, v241
	v_add_co_ci_u32_e32 v128, vcc_lo, v50, v242, vcc_lo
	v_add_co_u32 v49, vcc_lo, v47, v244
	v_add_co_ci_u32_e32 v50, vcc_lo, v50, v243, vcc_lo
	s_delay_alu instid0(VALU_DEP_4) | instskip(NEXT) | instid1(VALU_DEP_4)
	v_add_co_u32 v202, vcc_lo, v127, v201
	v_add_co_ci_u32_e32 v203, vcc_lo, 0, v128, vcc_lo
	s_delay_alu instid0(VALU_DEP_4) | instskip(NEXT) | instid1(VALU_DEP_4)
	v_add_co_u32 v212, vcc_lo, v49, v198
	v_add_co_ci_u32_e32 v213, vcc_lo, 0, v50, vcc_lo
	v_add_co_u32 v215, vcc_lo, v210, v198
	v_add_co_ci_u32_e32 v216, vcc_lo, 0, v211, vcc_lo
	s_clause 0x6
	global_load_b32 v47, v[212:213], off offset:4
	global_load_b32 v52, v[49:50], off
	global_load_b32 v50, v[202:203], off offset:4
	global_load_b32 v127, v[127:128], off
	;; [unrolled: 2-line block ×3, first 2 shown]
	global_load_b32 v128, v[207:208], off
	v_pack_b32_f16 v138, v138, v195
	v_pack_b32_f16 v203, v205, v217
	;; [unrolled: 1-line block ×3, first 2 shown]
	v_and_b32_e32 v195, 15, v218
	v_bfe_u32 v132, v132, 24, 4
	v_pk_fma_f16 v138, v58, v138, v58 op_sel:[0,0,1] op_sel_hi:[0,1,1]
	v_pk_fma_f16 v58, v58, v203, v58 op_sel:[0,0,1] op_sel_hi:[0,1,1]
	;; [unrolled: 1-line block ×3, first 2 shown]
	v_cvt_f16_u16_e64 v195, v195
	v_cvt_f16_u16_e64 v132, v132
	v_pk_fma_f16 v45, v138, v35, v45 op_sel_hi:[1,0,1]
	v_pk_fma_f16 v46, v58, v35, v46 op_sel_hi:[1,0,1]
	v_pk_fma_f16 v43, v203, v35, v43 op_sel:[0,1,0]
	v_pk_fma_f16 v208, v58, v31, v42 op_sel_hi:[1,0,1]
	v_pack_b32_f16 v132, v195, v132
	ds_store_b128 v137, v[39:42] offset:16
	ds_store_b128 v137, v[43:46]
	s_waitcnt vmcnt(23)
	v_ashrrev_i32_e32 v42, v173, v125
	v_pk_fma_f16 v207, v138, v31, v41 op_sel_hi:[1,0,1]
	v_pk_fma_f16 v55, v55, v132, v55 op_sel:[0,0,1] op_sel_hi:[0,1,1]
	v_pk_fma_f16 v205, v203, v31, v39 op_sel:[0,1,0]
	v_lshrrev_b32_e32 v39, 8, v54
	v_lshrrev_b32_e32 v41, 16, v54
	;; [unrolled: 1-line block ×3, first 2 shown]
	v_pk_fma_f16 v40, v55, v35, v44 op_sel:[0,1,0]
	v_and_b32_e32 v44, 15, v54
	v_and_b32_e32 v39, 15, v39
	;; [unrolled: 1-line block ×3, first 2 shown]
	v_bfe_u32 v54, v54, 24, 4
	v_lshrrev_b32_e32 v132, 16, v42
	v_and_b32_e32 v125, 15, v42
	v_and_b32_e32 v58, 15, v58
	v_cvt_f16_u16_e32 v44, v44
	v_cvt_f16_u16_e32 v39, v39
	;; [unrolled: 1-line block ×4, first 2 shown]
	v_and_b32_e32 v132, 15, v132
	v_bfe_u32 v42, v42, 24, 4
	v_cvt_f16_u16_e32 v125, v125
	v_cvt_f16_u16_e32 v58, v58
	v_pack_b32_f16 v39, v44, v39
	v_pack_b32_f16 v41, v41, v54
	v_cvt_f16_u16_e64 v54, v132
	v_cvt_f16_u16_e32 v42, v42
	v_pack_b32_f16 v44, v125, v58
	v_pk_fma_f16 v58, v53, v39, v53 op_sel:[0,0,1] op_sel_hi:[0,1,1]
	v_pk_fma_f16 v53, v53, v41, v53 op_sel:[0,0,1] op_sel_hi:[0,1,1]
	v_pk_fma_f16 v211, v55, v31, v206 op_sel:[0,1,0]
	v_pack_b32_f16 v54, v54, v42
	s_waitcnt vmcnt(16)
	v_pk_fma_f16 v44, v185, v44, v185 op_sel:[0,0,1] op_sel_hi:[0,1,1]
	v_pk_fma_f16 v41, v58, v35, v45 op_sel:[0,1,0]
	v_pk_fma_f16 v42, v53, v35, v46 op_sel:[0,1,0]
	;; [unrolled: 1-line block ×3, first 2 shown]
	v_pk_fma_f16 v35, v185, v54, v185 op_sel:[0,0,1] op_sel_hi:[0,1,1]
	v_pk_fma_f16 v39, v44, v36, v43 op_sel_hi:[1,0,1]
	ds_store_b128 v137, v[205:208] offset:16
	ds_store_b128 v137, v[39:42]
	v_pk_fma_f16 v210, v44, v32, v205 op_sel_hi:[1,0,1]
	v_pk_fma_f16 v44, v35, v36, v40 op_sel_hi:[1,0,1]
	;; [unrolled: 1-line block ×3, first 2 shown]
	v_ashrrev_i32_e32 v35, 31, v180
	v_pk_fma_f16 v213, v53, v31, v208 op_sel:[0,1,0]
	v_add_co_u32 v31, vcc_lo, s7, v180
	v_ashrrev_i32_e32 v43, v173, v175
	s_delay_alu instid0(VALU_DEP_4) | instskip(NEXT) | instid1(VALU_DEP_3)
	v_add_co_ci_u32_e32 v55, vcc_lo, s9, v35, vcc_lo
	v_add_co_u32 v45, vcc_lo, v31, v241
	s_delay_alu instid0(VALU_DEP_3) | instskip(NEXT) | instid1(VALU_DEP_3)
	v_lshrrev_b32_e32 v35, 8, v43
	v_add_co_ci_u32_e32 v46, vcc_lo, v55, v242, vcc_lo
	s_delay_alu instid0(VALU_DEP_3) | instskip(NEXT) | instid1(VALU_DEP_3)
	v_add_co_u32 v53, vcc_lo, v45, v201
	v_and_b32_e32 v175, 15, v35
	s_delay_alu instid0(VALU_DEP_3)
	v_add_co_ci_u32_e32 v54, vcc_lo, 0, v46, vcc_lo
	v_add_co_u32 v125, vcc_lo, s7, v182
	v_ashrrev_i32_e32 v185, v173, v133
	global_load_b32 v35, v[53:54], off offset:4
	v_ashrrev_i32_e32 v53, 31, v182
	v_lshrrev_b32_e32 v58, 16, v43
	v_and_b32_e32 v138, 15, v43
	v_bfe_u32 v43, v43, 24, 4
	s_delay_alu instid0(VALU_DEP_4) | instskip(SKIP_3) | instid1(VALU_DEP_4)
	v_add_co_ci_u32_e32 v133, vcc_lo, s9, v53, vcc_lo
	v_add_co_u32 v53, vcc_lo, v31, v244
	v_add_co_ci_u32_e32 v54, vcc_lo, v55, v243, vcc_lo
	v_add_co_u32 v205, vcc_lo, v125, v241
	;; [unrolled: 2-line block ×3, first 2 shown]
	v_add_co_ci_u32_e32 v133, vcc_lo, v133, v243, vcc_lo
	s_delay_alu instid0(VALU_DEP_4) | instskip(NEXT) | instid1(VALU_DEP_4)
	v_add_co_u32 v207, vcc_lo, v205, v201
	v_add_co_ci_u32_e32 v208, vcc_lo, 0, v206, vcc_lo
	s_delay_alu instid0(VALU_DEP_4) | instskip(NEXT) | instid1(VALU_DEP_4)
	v_add_co_u32 v215, vcc_lo, v132, v198
	v_add_co_ci_u32_e32 v216, vcc_lo, 0, v133, vcc_lo
	v_add_co_u32 v217, vcc_lo, v53, v198
	v_add_co_ci_u32_e32 v218, vcc_lo, 0, v54, vcc_lo
	s_clause 0x6
	global_load_b32 v253, v[215:216], off offset:4
	global_load_b32 v246, v[132:133], off
	global_load_b32 v133, v[207:208], off offset:4
	global_load_b32 v252, v[205:206], off
	global_load_b32 v31, v[217:218], off offset:4
	global_load_b32 v254, v[53:54], off
	global_load_b32 v125, v[45:46], off
	v_and_b32_e32 v58, 15, v58
	v_lshrrev_b32_e32 v45, 8, v185
	v_cvt_f16_u16_e64 v46, v138
	v_cvt_f16_u16_e64 v53, v175
	v_and_b32_e32 v54, 15, v185
	v_cvt_f16_u16_e32 v55, v58
	v_and_b32_e32 v45, 15, v45
	v_lshrrev_b32_e32 v58, 16, v185
	v_pack_b32_f16 v46, v46, v53
	v_cvt_f16_u16_e32 v54, v54
	v_ashrrev_i32_e32 v132, v173, v56
	v_cvt_f16_u16_e32 v45, v45
	v_and_b32_e32 v53, 15, v58
	v_bfe_u32 v58, v185, 24, 4
	v_cvt_f16_u16_e32 v43, v43
	v_pk_fma_f16 v46, v247, v46, v247 op_sel:[0,0,1] op_sel_hi:[0,1,1]
	v_pack_b32_f16 v45, v54, v45
	v_cvt_f16_u16_e32 v53, v53
	v_cvt_f16_u16_e32 v54, v58
	v_pack_b32_f16 v43, v55, v43
	v_bfe_u32 v216, v132, 24, 4
	v_pk_fma_f16 v58, v57, v45, v57 op_sel:[0,0,1] op_sel_hi:[0,1,1]
	v_pk_fma_f16 v45, v46, v36, v41 op_sel_hi:[1,0,1]
	v_pack_b32_f16 v53, v53, v54
	v_lshrrev_b32_e32 v54, 16, v132
	v_pk_fma_f16 v55, v247, v43, v247 op_sel:[0,0,1] op_sel_hi:[0,1,1]
	v_pk_fma_f16 v43, v58, v36, v39 op_sel:[0,1,0]
	v_pk_fma_f16 v39, v58, v32, v210 op_sel:[0,1,0]
	v_pk_fma_f16 v203, v57, v53, v57 op_sel:[0,0,1] op_sel_hi:[0,1,1]
	v_lshrrev_b32_e32 v53, 8, v132
	v_and_b32_e32 v215, 15, v54
	v_ashrrev_i32_e32 v54, 31, v184
	v_add_co_u32 v58, vcc_lo, s7, v184
	s_delay_alu instid0(VALU_DEP_4) | instskip(SKIP_1) | instid1(VALU_DEP_4)
	v_and_b32_e32 v53, 15, v53
	v_pk_fma_f16 v41, v46, v32, v212 op_sel_hi:[1,0,1]
	v_add_co_ci_u32_e32 v138, vcc_lo, s9, v54, vcc_lo
	v_pk_fma_f16 v46, v55, v36, v42 op_sel_hi:[1,0,1]
	v_pk_fma_f16 v42, v55, v32, v213 op_sel_hi:[1,0,1]
	v_and_b32_e32 v55, 15, v132
	v_cvt_f16_u16_e64 v175, v53
	v_add_co_u32 v53, vcc_lo, v58, v241
	v_add_co_ci_u32_e32 v54, vcc_lo, v138, v242, vcc_lo
	s_delay_alu instid0(VALU_DEP_4) | instskip(NEXT) | instid1(VALU_DEP_3)
	v_cvt_f16_u16_e32 v57, v55
	v_add_co_u32 v55, vcc_lo, v53, v201
	s_delay_alu instid0(VALU_DEP_3)
	v_add_co_ci_u32_e32 v56, vcc_lo, 0, v54, vcc_lo
	ds_store_b128 v137, v[210:213] offset:16
	ds_store_b128 v137, v[43:46]
	v_pack_b32_f16 v217, v57, v175
	v_add_co_u32 v57, vcc_lo, s7, v186
	global_load_b32 v195, v[55:56], off offset:4
	v_ashrrev_i32_e32 v55, 31, v186
	s_waitcnt vmcnt(24)
	v_ashrrev_i32_e32 v126, v173, v126
	v_pk_fma_f16 v44, v203, v36, v44 op_sel:[0,1,0]
	s_delay_alu instid0(VALU_DEP_3) | instskip(SKIP_3) | instid1(VALU_DEP_4)
	v_add_co_ci_u32_e32 v132, vcc_lo, s9, v55, vcc_lo
	v_add_co_u32 v55, vcc_lo, v58, v244
	v_add_co_ci_u32_e32 v56, vcc_lo, v138, v243, vcc_lo
	v_add_co_u32 v205, vcc_lo, v57, v241
	;; [unrolled: 2-line block ×3, first 2 shown]
	v_add_co_ci_u32_e32 v58, vcc_lo, v132, v243, vcc_lo
	s_delay_alu instid0(VALU_DEP_4) | instskip(NEXT) | instid1(VALU_DEP_4)
	v_add_co_u32 v207, vcc_lo, v205, v201
	v_add_co_ci_u32_e32 v208, vcc_lo, 0, v206, vcc_lo
	s_delay_alu instid0(VALU_DEP_4) | instskip(NEXT) | instid1(VALU_DEP_4)
	v_add_co_u32 v210, vcc_lo, v57, v198
	v_add_co_ci_u32_e32 v211, vcc_lo, 0, v58, vcc_lo
	v_add_co_u32 v212, vcc_lo, v55, v198
	v_add_co_ci_u32_e32 v213, vcc_lo, 0, v56, vcc_lo
	s_clause 0x6
	global_load_b32 v251, v[210:211], off offset:4
	global_load_b32 v58, v[57:58], off
	global_load_b32 v132, v[207:208], off offset:4
	global_load_b32 v250, v[205:206], off
	;; [unrolled: 2-line block ×3, first 2 shown]
	global_load_b32 v185, v[53:54], off
	v_lshrrev_b32_e32 v220, 8, v126
	v_and_b32_e32 v218, 15, v126
	v_cvt_f16_u16_e64 v55, v215
	v_cvt_f16_u16_e64 v56, v216
	v_lshrrev_b32_e32 v54, 16, v126
	v_and_b32_e32 v53, 15, v220
	v_cvt_f16_u16_e64 v57, v218
	v_bfe_u32 v126, v126, 24, 4
	v_pack_b32_f16 v55, v55, v56
	v_and_b32_e32 v54, 15, v54
	v_cvt_f16_u16_e32 v53, v53
	v_pk_fma_f16 v205, v51, v217, v51 op_sel:[0,0,1] op_sel_hi:[0,1,1]
	s_delay_alu instid0(VALU_DEP_4) | instskip(NEXT) | instid1(VALU_DEP_4)
	v_pk_fma_f16 v51, v51, v55, v51 op_sel:[0,0,1] op_sel_hi:[0,1,1]
	v_cvt_f16_u16_e32 v56, v54
	s_delay_alu instid0(VALU_DEP_4)
	v_pack_b32_f16 v53, v57, v53
	v_cvt_f16_u16_e32 v57, v126
	v_pk_fma_f16 v45, v205, v36, v45 op_sel:[0,1,0]
	v_pk_fma_f16 v46, v51, v36, v46 op_sel:[0,1,0]
	s_waitcnt vmcnt(26)
	v_ashrrev_i32_e32 v36, v173, v131
	s_waitcnt vmcnt(24)
	v_pk_fma_f16 v53, v139, v53, v139 op_sel:[0,0,1] op_sel_hi:[0,1,1]
	v_pack_b32_f16 v57, v56, v57
	v_pk_fma_f16 v56, v51, v32, v42 op_sel:[0,1,0]
	v_pk_fma_f16 v54, v203, v32, v40 op_sel:[0,1,0]
	v_pk_fma_f16 v55, v205, v32, v41 op_sel:[0,1,0]
	v_pk_fma_f16 v43, v53, v37, v43 op_sel_hi:[1,0,1]
	ds_store_b128 v137, v[39:42] offset:16
	ds_store_b128 v137, v[43:46]
	v_ashrrev_i32_e32 v42, v173, v134
	v_pk_fma_f16 v32, v139, v57, v139 op_sel:[0,0,1] op_sel_hi:[0,1,1]
	v_pk_fma_f16 v53, v53, v33, v39 op_sel_hi:[1,0,1]
	v_lshrrev_b32_e32 v39, 8, v36
	v_lshrrev_b32_e32 v41, 16, v36
	;; [unrolled: 1-line block ×3, first 2 shown]
	v_pk_fma_f16 v40, v32, v37, v44 op_sel_hi:[1,0,1]
	v_pk_fma_f16 v44, v32, v33, v54 op_sel_hi:[1,0,1]
	v_and_b32_e32 v32, 15, v36
	v_and_b32_e32 v39, 15, v39
	;; [unrolled: 1-line block ×3, first 2 shown]
	v_bfe_u32 v36, v36, 24, 4
	v_and_b32_e32 v57, 15, v42
	v_and_b32_e32 v51, 15, v51
	v_cvt_f16_u16_e32 v32, v32
	v_cvt_f16_u16_e32 v39, v39
	;; [unrolled: 1-line block ×3, first 2 shown]
	v_lshrrev_b32_e32 v126, 16, v42
	v_cvt_f16_u16_e32 v36, v36
	v_cvt_f16_u16_e32 v57, v57
	v_cvt_f16_u16_e32 v51, v51
	v_pack_b32_f16 v32, v32, v39
	v_and_b32_e32 v39, 15, v126
	v_bfe_u32 v42, v42, 24, 4
	v_pack_b32_f16 v36, v41, v36
	v_pack_b32_f16 v41, v57, v51
	v_pk_fma_f16 v32, v255, v32, v255 op_sel:[0,0,1] op_sel_hi:[0,1,1]
	v_cvt_f16_u16_e32 v39, v39
	v_cvt_f16_u16_e32 v42, v42
	v_pk_fma_f16 v36, v255, v36, v255 op_sel:[0,0,1] op_sel_hi:[0,1,1]
	v_pk_fma_f16 v51, v249, v41, v249 op_sel:[0,0,1] op_sel_hi:[0,1,1]
	v_pk_fma_f16 v41, v32, v37, v45 op_sel_hi:[1,0,1]
	v_pk_fma_f16 v45, v32, v33, v55 op_sel_hi:[1,0,1]
	v_pack_b32_f16 v32, v39, v42
	v_pk_fma_f16 v42, v36, v37, v46 op_sel_hi:[1,0,1]
	v_pk_fma_f16 v46, v36, v33, v56 op_sel_hi:[1,0,1]
	v_ashrrev_i32_e32 v36, v173, v248
	v_pk_fma_f16 v39, v51, v37, v43 op_sel:[0,1,0]
	v_pk_fma_f16 v32, v249, v32, v249 op_sel:[0,0,1] op_sel_hi:[0,1,1]
	ds_store_b128 v137, v[53:56] offset:16
	ds_store_b128 v137, v[39:42]
	v_pk_fma_f16 v43, v51, v33, v53 op_sel:[0,1,0]
	v_lshrrev_b32_e32 v51, 8, v36
	v_lshrrev_b32_e32 v53, 16, v36
	v_and_b32_e32 v55, 15, v36
	v_pk_fma_f16 v40, v32, v37, v40 op_sel:[0,1,0]
	v_pk_fma_f16 v54, v32, v33, v44 op_sel:[0,1,0]
	v_and_b32_e32 v32, 15, v51
	v_and_b32_e32 v51, 15, v53
	v_cvt_f16_u16_e32 v53, v55
	v_ashrrev_i32_e32 v55, 31, v188
	v_add_co_u32 v57, vcc_lo, s7, v188
	v_cvt_f16_u16_e32 v32, v32
	v_bfe_u32 v36, v36, 24, 4
	s_delay_alu instid0(VALU_DEP_4) | instskip(NEXT) | instid1(VALU_DEP_4)
	v_add_co_ci_u32_e32 v131, vcc_lo, s9, v55, vcc_lo
	v_add_co_u32 v207, vcc_lo, v57, v241
	s_waitcnt vmcnt(23)
	v_ashrrev_i32_e32 v48, v173, v48
	s_delay_alu instid0(VALU_DEP_3) | instskip(NEXT) | instid1(VALU_DEP_3)
	v_add_co_ci_u32_e32 v208, vcc_lo, v131, v242, vcc_lo
	v_add_co_u32 v55, vcc_lo, v207, v201
	s_delay_alu instid0(VALU_DEP_3) | instskip(NEXT) | instid1(VALU_DEP_3)
	v_lshrrev_b32_e32 v134, 8, v48
	v_add_co_ci_u32_e32 v56, vcc_lo, 0, v208, vcc_lo
	v_pack_b32_f16 v32, v53, v32
	v_and_b32_e32 v53, 15, v48
	v_cvt_f16_u16_e32 v51, v51
	global_load_b32 v126, v[55:56], off offset:4
	v_and_b32_e32 v55, 15, v134
	v_lshrrev_b32_e32 v56, 16, v48
	v_cvt_f16_u16_e32 v36, v36
	v_cvt_f16_u16_e32 v53, v53
	v_bfe_u32 v48, v48, 24, 4
	v_cvt_f16_u16_e32 v55, v55
	v_and_b32_e32 v56, 15, v56
	v_pack_b32_f16 v36, v51, v36
	v_pk_fma_f16 v32, v245, v32, v245 op_sel:[0,0,1] op_sel_hi:[0,1,1]
	v_cvt_f16_u16_e32 v48, v48
	v_pack_b32_f16 v51, v53, v55
	v_cvt_f16_u16_e32 v53, v56
	v_pk_fma_f16 v36, v245, v36, v245 op_sel:[0,0,1] op_sel_hi:[0,1,1]
	v_pk_fma_f16 v41, v32, v37, v41 op_sel:[0,1,0]
	v_pk_fma_f16 v55, v32, v33, v45 op_sel:[0,1,0]
	s_waitcnt vmcnt(19)
	v_ashrrev_i32_e32 v205, v173, v202
	v_pack_b32_f16 v32, v53, v48
	s_waitcnt vmcnt(17)
	v_pk_fma_f16 v51, v128, v51, v128 op_sel:[0,0,1] op_sel_hi:[0,1,1]
	v_pk_fma_f16 v56, v36, v33, v46 op_sel:[0,1,0]
	v_pk_fma_f16 v42, v36, v37, v42 op_sel:[0,1,0]
	v_lshrrev_b32_e32 v33, 8, v205
	v_pk_fma_f16 v32, v128, v32, v128 op_sel:[0,0,1] op_sel_hi:[0,1,1]
	v_pk_fma_f16 v39, v51, v38, v39 op_sel_hi:[1,0,1]
	ds_store_b128 v137, v[43:46] offset:16
	ds_store_b128 v137, v[39:42]
	v_pk_fma_f16 v206, v32, v38, v40 op_sel_hi:[1,0,1]
	v_pk_fma_f16 v48, v32, v34, v54 op_sel_hi:[1,0,1]
	v_ashrrev_i32_e32 v32, 31, v189
	v_pk_fma_f16 v53, v51, v34, v43 op_sel_hi:[1,0,1]
	v_and_b32_e32 v33, 15, v33
	v_add_co_u32 v43, vcc_lo, s7, v189
	v_and_b32_e32 v36, 15, v205
	v_add_co_ci_u32_e32 v44, vcc_lo, s9, v32, vcc_lo
	v_add_co_u32 v32, vcc_lo, v57, v244
	v_cvt_f16_u16_e64 v210, v33
	v_add_co_ci_u32_e32 v33, vcc_lo, v131, v243, vcc_lo
	v_cvt_f16_u16_e64 v128, v36
	v_add_co_u32 v36, vcc_lo, v43, v241
	v_add_co_ci_u32_e32 v37, vcc_lo, v44, v242, vcc_lo
	v_add_co_u32 v43, vcc_lo, v43, v244
	v_add_co_ci_u32_e32 v44, vcc_lo, v44, v243, vcc_lo
	s_delay_alu instid0(VALU_DEP_4) | instskip(NEXT) | instid1(VALU_DEP_4)
	v_add_co_u32 v45, vcc_lo, v36, v201
	v_add_co_ci_u32_e32 v46, vcc_lo, 0, v37, vcc_lo
	v_ashrrev_i32_e32 v211, v173, v50
	v_add_co_u32 v50, vcc_lo, v43, v198
	v_add_co_ci_u32_e32 v51, vcc_lo, 0, v44, vcc_lo
	v_add_co_u32 v202, vcc_lo, v32, v198
	v_add_co_ci_u32_e32 v203, vcc_lo, 0, v33, vcc_lo
	s_clause 0x6
	global_load_b32 v248, v[50:51], off offset:4
	global_load_b32 v245, v[43:44], off
	global_load_b32 v131, v[45:46], off offset:4
	global_load_b32 v247, v[36:37], off
	;; [unrolled: 2-line block ×3, first 2 shown]
	global_load_b32 v134, v[207:208], off
	v_lshrrev_b32_e32 v40, 16, v205
	v_lshrrev_b32_e32 v32, 8, v211
	v_bfe_u32 v36, v205, 24, 4
	v_lshrrev_b32_e32 v43, 16, v211
	v_pack_b32_f16 v37, v128, v210
	v_and_b32_e32 v33, 15, v40
	v_and_b32_e32 v40, 15, v211
	;; [unrolled: 1-line block ×3, first 2 shown]
	v_cvt_f16_u16_e32 v36, v36
	v_and_b32_e32 v43, 15, v43
	v_cvt_f16_u16_e32 v33, v33
	v_cvt_f16_u16_e32 v40, v40
	;; [unrolled: 1-line block ×3, first 2 shown]
	v_bfe_u32 v44, v211, 24, 4
	s_delay_alu instid0(VALU_DEP_4) | instskip(SKIP_1) | instid1(VALU_DEP_4)
	v_pack_b32_f16 v33, v33, v36
	v_pk_fma_f16 v36, v49, v37, v49 op_sel:[0,0,1] op_sel_hi:[0,1,1]
	v_pack_b32_f16 v32, v40, v32
	v_cvt_f16_u16_e32 v37, v43
	v_cvt_f16_u16_e32 v40, v44
	v_pk_fma_f16 v33, v49, v33, v49 op_sel:[0,0,1] op_sel_hi:[0,1,1]
	v_pk_fma_f16 v207, v36, v38, v41 op_sel_hi:[1,0,1]
	v_pk_fma_f16 v49, v36, v34, v55 op_sel_hi:[1,0,1]
	v_pk_fma_f16 v32, v127, v32, v127 op_sel:[0,0,1] op_sel_hi:[0,1,1]
	v_pack_b32_f16 v36, v37, v40
	v_ashrrev_i32_e32 v37, v173, v47
	v_pk_fma_f16 v208, v33, v38, v42 op_sel_hi:[1,0,1]
	v_pk_fma_f16 v50, v33, v34, v56 op_sel_hi:[1,0,1]
	v_pk_fma_f16 v205, v32, v38, v39 op_sel:[0,1,0]
	v_pk_fma_f16 v33, v127, v36, v127 op_sel:[0,0,1] op_sel_hi:[0,1,1]
	v_lshrrev_b32_e32 v36, 8, v37
	v_pk_fma_f16 v47, v32, v34, v53 op_sel:[0,1,0]
	s_waitcnt vmcnt(23)
	v_ashrrev_i32_e32 v35, v173, v35
	v_and_b32_e32 v32, 15, v37
	v_lshrrev_b32_e32 v39, 16, v37
	v_and_b32_e32 v36, 15, v36
	ds_store_b128 v137, v[53:56] offset:16
	ds_store_b128 v137, v[205:208]
	v_pk_fma_f16 v55, v33, v38, v206 op_sel:[0,1,0]
	v_pk_fma_f16 v51, v33, v34, v48 op_sel:[0,1,0]
	v_lshrrev_b32_e32 v33, 8, v35
	v_cvt_f16_u16_e32 v32, v32
	v_cvt_f16_u16_e32 v36, v36
	v_and_b32_e32 v39, 15, v39
	v_bfe_u32 v37, v37, 24, 4
	v_and_b32_e32 v53, 15, v35
	v_and_b32_e32 v33, 15, v33
	ds_load_b128 v[43:46], v194 offset:32
	v_pack_b32_f16 v32, v32, v36
	v_cvt_f16_u16_e32 v36, v39
	v_lshrrev_b32_e32 v54, 16, v35
	ds_load_b128 v[39:42], v194 offset:288
	v_cvt_f16_u16_e32 v37, v37
	v_cvt_f16_u16_e32 v53, v53
	v_cvt_f16_u16_e32 v33, v33
	v_and_b32_e32 v54, 15, v54
	v_bfe_u32 v35, v35, 24, 4
	v_pack_b32_f16 v36, v36, v37
	v_pk_fma_f16 v32, v52, v32, v52 op_sel:[0,0,1] op_sel_hi:[0,1,1]
	v_pack_b32_f16 v33, v53, v33
	v_cvt_f16_u16_e32 v37, v54
	v_cvt_f16_u16_e32 v35, v35
	v_pk_fma_f16 v53, v52, v36, v52 op_sel:[0,0,1] op_sel_hi:[0,1,1]
	v_pk_fma_f16 v56, v32, v38, v207 op_sel:[0,1,0]
	v_pk_fma_f16 v52, v32, v34, v49 op_sel:[0,1,0]
	s_waitcnt vmcnt(16)
	v_pk_fma_f16 v127, v125, v33, v125 op_sel:[0,0,1] op_sel_hi:[0,1,1]
	v_pack_b32_f16 v32, v37, v35
	v_ashrrev_i32_e32 v128, v173, v31
	v_pk_fma_f16 v57, v53, v38, v208 op_sel:[0,1,0]
	ds_load_b128 v[35:38], v194 offset:48
	s_waitcnt lgkmcnt(2)
	v_pk_fma_f16 v54, v127, v43, v205 op_sel_hi:[1,0,1]
	v_pk_fma_f16 v53, v53, v34, v50 op_sel:[0,1,0]
	v_pk_fma_f16 v125, v125, v32, v125 op_sel:[0,0,1] op_sel_hi:[0,1,1]
	ds_store_b128 v137, v[47:50] offset:16
	ds_store_b128 v137, v[54:57]
	s_waitcnt lgkmcnt(3)
	v_pk_fma_f16 v50, v127, v39, v47 op_sel_hi:[1,0,1]
	v_lshrrev_b32_e32 v47, 8, v128
	v_ashrrev_i32_e32 v49, v173, v133
	v_pk_fma_f16 v55, v125, v43, v55 op_sel_hi:[1,0,1]
	v_lshrrev_b32_e32 v48, 16, v128
	v_pk_fma_f16 v206, v125, v39, v51 op_sel_hi:[1,0,1]
	v_and_b32_e32 v125, 15, v128
	v_and_b32_e32 v47, 15, v47
	v_bfe_u32 v127, v128, 24, 4
	v_lshrrev_b32_e32 v128, 8, v49
	v_and_b32_e32 v48, 15, v48
	v_cvt_f16_u16_e32 v125, v125
	v_cvt_f16_u16_e32 v47, v47
	v_and_b32_e32 v133, 15, v49
	v_and_b32_e32 v128, 15, v128
	v_cvt_f16_u16_e32 v48, v48
	v_cvt_f16_u16_e32 v127, v127
	v_pack_b32_f16 v47, v125, v47
	v_cvt_f16_u16_e64 v125, v133
	v_cvt_f16_u16_e64 v128, v128
	v_lshrrev_b32_e32 v202, 16, v49
	v_pack_b32_f16 v48, v48, v127
	v_pk_fma_f16 v47, v254, v47, v254 op_sel:[0,0,1] op_sel_hi:[0,1,1]
	v_bfe_u32 v49, v49, 24, 4
	v_pack_b32_f16 v125, v125, v128
	v_and_b32_e32 v127, 15, v202
	v_pk_fma_f16 v48, v254, v48, v254 op_sel:[0,0,1] op_sel_hi:[0,1,1]
	v_pk_fma_f16 v56, v47, v43, v56 op_sel_hi:[1,0,1]
	v_pk_fma_f16 v207, v47, v39, v52 op_sel_hi:[1,0,1]
	v_ashrrev_i32_e32 v47, v173, v253
	v_pk_fma_f16 v125, v252, v125, v252 op_sel:[0,0,1] op_sel_hi:[0,1,1]
	v_cvt_f16_u16_e32 v127, v127
	v_cvt_f16_u16_e32 v49, v49
	v_pk_fma_f16 v57, v48, v43, v57 op_sel_hi:[1,0,1]
	v_pk_fma_f16 v208, v48, v39, v53 op_sel_hi:[1,0,1]
	v_lshrrev_b32_e32 v48, 8, v47
	v_pk_fma_f16 v54, v125, v43, v54 op_sel:[0,1,0]
	ds_load_b128 v[31:34], v194 offset:304
	v_pack_b32_f16 v49, v127, v49
	ds_store_b128 v137, v[50:53] offset:16
	ds_store_b128 v137, v[54:57]
	v_and_b32_e32 v51, 15, v47
	v_and_b32_e32 v52, 15, v48
	v_lshrrev_b32_e32 v53, 16, v47
	v_pk_fma_f16 v49, v252, v49, v252 op_sel:[0,0,1] op_sel_hi:[0,1,1]
	v_pk_fma_f16 v205, v125, v39, v50 op_sel:[0,1,0]
	v_cvt_f16_u16_e32 v50, v51
	v_cvt_f16_u16_e32 v51, v52
	v_and_b32_e32 v52, 15, v53
	v_bfe_u32 v47, v47, 24, 4
	s_waitcnt vmcnt(15)
	v_ashrrev_i32_e32 v53, v173, v195
	v_pk_fma_f16 v48, v49, v43, v55 op_sel:[0,1,0]
	v_pk_fma_f16 v253, v49, v39, v206 op_sel:[0,1,0]
	v_pack_b32_f16 v49, v50, v51
	v_cvt_f16_u16_e32 v50, v52
	v_cvt_f16_u16_e32 v47, v47
	v_lshrrev_b32_e32 v51, 8, v53
	v_lshrrev_b32_e32 v52, 16, v53
	v_ashrrev_i32_e32 v125, 31, v192
	v_pk_fma_f16 v55, v246, v49, v246 op_sel:[0,0,1] op_sel_hi:[0,1,1]
	v_and_b32_e32 v49, 15, v53
	v_pack_b32_f16 v47, v50, v47
	v_and_b32_e32 v50, 15, v51
	v_and_b32_e32 v51, 15, v52
	v_bfe_u32 v52, v53, 24, 4
	v_add_co_u32 v53, vcc_lo, s7, v192
	v_add_co_ci_u32_e32 v125, vcc_lo, s9, v125, vcc_lo
	v_cvt_f16_u16_e32 v49, v49
	v_cvt_f16_u16_e32 v50, v50
	s_delay_alu instid0(VALU_DEP_4) | instskip(NEXT) | instid1(VALU_DEP_4)
	v_add_co_u32 v210, vcc_lo, v53, v241
	v_add_co_ci_u32_e32 v211, vcc_lo, v125, v242, vcc_lo
	s_delay_alu instid0(VALU_DEP_3) | instskip(NEXT) | instid1(VALU_DEP_3)
	v_pack_b32_f16 v127, v49, v50
	v_add_co_u32 v49, vcc_lo, v210, v201
	s_delay_alu instid0(VALU_DEP_3)
	v_add_co_ci_u32_e32 v50, vcc_lo, 0, v211, vcc_lo
	v_pk_fma_f16 v128, v246, v47, v246 op_sel:[0,0,1] op_sel_hi:[0,1,1]
	v_cvt_f16_u16_e32 v47, v51
	v_cvt_f16_u16_e32 v51, v52
	global_load_b32 v195, v[49:50], off offset:4
	s_waitcnt vmcnt(9)
	v_pk_fma_f16 v52, v185, v127, v185 op_sel:[0,0,1] op_sel_hi:[0,1,1]
	v_add_co_u32 v53, vcc_lo, v53, v244
	v_pack_b32_f16 v51, v47, v51
	v_pk_fma_f16 v49, v55, v43, v56 op_sel:[0,1,0]
	s_delay_alu instid0(VALU_DEP_4)
	v_pk_fma_f16 v47, v52, v44, v54 op_sel_hi:[1,0,1]
	v_add_co_ci_u32_e32 v54, vcc_lo, v125, v243, vcc_lo
	v_pk_fma_f16 v50, v128, v43, v57 op_sel:[0,1,0]
	v_pk_fma_f16 v43, v185, v51, v185 op_sel:[0,0,1] op_sel_hi:[0,1,1]
	v_add_co_u32 v51, vcc_lo, v53, v198
	v_pk_fma_f16 v252, v52, v40, v205 op_sel_hi:[1,0,1]
	v_add_co_ci_u32_e32 v52, vcc_lo, 0, v54, vcc_lo
	ds_store_b128 v137, v[205:208] offset:16
	ds_store_b128 v137, v[47:50]
	v_pk_fma_f16 v254, v55, v39, v207 op_sel:[0,1,0]
	v_pk_fma_f16 v255, v128, v39, v208 op_sel:[0,1,0]
	global_load_b32 v127, v[51:52], off offset:4
	v_ashrrev_i32_e32 v39, v173, v175
	v_ashrrev_i32_e32 v125, v173, v132
	v_pk_fma_f16 v48, v43, v44, v48 op_sel_hi:[1,0,1]
	v_add_co_u32 v128, vcc_lo, s7, v196
	s_delay_alu instid0(VALU_DEP_4)
	v_lshrrev_b32_e32 v56, 8, v39
	v_lshrrev_b32_e32 v57, 16, v39
	v_and_b32_e32 v55, 15, v39
	v_bfe_u32 v39, v39, 24, 4
	v_add_co_ci_u32_e32 v133, vcc_lo, s9, v230, vcc_lo
	v_and_b32_e32 v56, 15, v56
	v_and_b32_e32 v57, 15, v57
	v_cvt_f16_u16_e32 v51, v55
	v_cvt_f16_u16_e32 v39, v39
	s_delay_alu instid0(VALU_DEP_4) | instskip(SKIP_2) | instid1(VALU_DEP_3)
	v_cvt_f16_u16_e32 v52, v56
	v_lshrrev_b32_e32 v56, 8, v125
	v_cvt_f16_u16_e32 v55, v57
	v_pack_b32_f16 v51, v51, v52
	v_pk_fma_f16 v52, v43, v40, v253 op_sel_hi:[1,0,1]
	v_and_b32_e32 v43, 15, v125
	v_and_b32_e32 v56, 15, v56
	v_pack_b32_f16 v39, v55, v39
	v_lshrrev_b32_e32 v55, 16, v125
	v_bfe_u32 v125, v125, 24, 4
	v_cvt_f16_u16_e32 v43, v43
	v_cvt_f16_u16_e32 v56, v56
	v_pk_fma_f16 v51, v138, v51, v138 op_sel:[0,0,1] op_sel_hi:[0,1,1]
	v_and_b32_e32 v57, 15, v55
	v_add_co_u32 v55, vcc_lo, v128, v244
	s_delay_alu instid0(VALU_DEP_4) | instskip(SKIP_4) | instid1(VALU_DEP_4)
	v_pack_b32_f16 v43, v43, v56
	v_add_co_ci_u32_e32 v56, vcc_lo, v133, v243, vcc_lo
	v_add_co_u32 v132, vcc_lo, v128, v241
	v_add_co_ci_u32_e32 v133, vcc_lo, v133, v242, vcc_lo
	v_add_co_u32 v202, vcc_lo, v55, v198
	v_add_co_ci_u32_e32 v203, vcc_lo, 0, v56, vcc_lo
	s_delay_alu instid0(VALU_DEP_4) | instskip(NEXT) | instid1(VALU_DEP_4)
	v_add_co_u32 v207, vcc_lo, v132, v201
	v_add_co_ci_u32_e32 v208, vcc_lo, 0, v133, vcc_lo
	v_pk_fma_f16 v39, v138, v39, v138 op_sel:[0,0,1] op_sel_hi:[0,1,1]
	v_pk_fma_f16 v138, v250, v43, v250 op_sel:[0,0,1] op_sel_hi:[0,1,1]
	s_clause 0x5
	global_load_b32 v206, v[202:203], off offset:4
	global_load_b32 v43, v[55:56], off
	global_load_b32 v208, v[207:208], off offset:4
	global_load_b32 v203, v[132:133], off
	global_load_b32 v207, v[53:54], off
	;; [unrolled: 1-line block ×3, first 2 shown]
	v_cvt_f16_u16_e32 v57, v57
	v_cvt_f16_u16_e32 v125, v125
	v_ashrrev_i32_e32 v55, v173, v251
	v_pk_fma_f16 v49, v51, v44, v49 op_sel_hi:[1,0,1]
	v_pk_fma_f16 v53, v51, v40, v254 op_sel_hi:[1,0,1]
	v_pk_fma_f16 v50, v39, v44, v50 op_sel_hi:[1,0,1]
	v_pack_b32_f16 v51, v57, v125
	v_lshrrev_b32_e32 v125, 16, v55
	v_lshrrev_b32_e32 v56, 8, v55
	v_and_b32_e32 v57, 15, v55
	v_pk_fma_f16 v47, v138, v44, v47 op_sel:[0,1,0]
	v_pk_fma_f16 v54, v39, v40, v255 op_sel_hi:[1,0,1]
	v_and_b32_e32 v125, 15, v125
	v_and_b32_e32 v56, 15, v56
	v_pk_fma_f16 v39, v250, v51, v250 op_sel:[0,0,1] op_sel_hi:[0,1,1]
	v_pk_fma_f16 v51, v138, v40, v252 op_sel:[0,1,0]
	v_add_co_u32 v185, vcc_lo, s7, v199
	v_cvt_f16_u16_e64 v138, v125
	v_cvt_f16_u16_e32 v57, v57
	v_add_co_ci_u32_e32 v202, vcc_lo, s9, v231, vcc_lo
	ds_store_b128 v137, v[252:255] offset:16
	ds_store_b128 v137, v[47:50]
	v_pk_fma_f16 v48, v39, v44, v48 op_sel:[0,1,0]
	v_bfe_u32 v55, v55, 24, 4
	s_waitcnt vmcnt(15)
	v_ashrrev_i32_e32 v128, v173, v126
	v_cvt_f16_u16_e32 v126, v56
	v_pk_fma_f16 v56, v39, v40, v52 op_sel:[0,1,0]
	v_cvt_f16_u16_e32 v55, v55
	s_delay_alu instid0(VALU_DEP_4) | instskip(NEXT) | instid1(VALU_DEP_4)
	v_lshrrev_b32_e32 v125, 16, v128
	v_pack_b32_f16 v57, v57, v126
	v_lshrrev_b32_e32 v39, 8, v128
	v_and_b32_e32 v175, 15, v128
	v_pack_b32_f16 v55, v138, v55
	v_and_b32_e32 v222, 15, v125
	v_add_co_u32 v125, vcc_lo, v185, v241
	v_add_co_ci_u32_e32 v126, vcc_lo, v202, v242, vcc_lo
	v_and_b32_e32 v39, 15, v39
	s_delay_alu instid0(VALU_DEP_3) | instskip(NEXT) | instid1(VALU_DEP_3)
	v_add_co_u32 v132, vcc_lo, v125, v201
	v_add_co_ci_u32_e32 v133, vcc_lo, 0, v126, vcc_lo
	v_add_co_u32 v212, vcc_lo, v185, v244
	v_add_co_ci_u32_e32 v213, vcc_lo, v202, v243, vcc_lo
	global_load_b32 v210, v[132:133], off offset:4
	v_add_co_u32 v132, vcc_lo, v212, v198
	v_add_co_ci_u32_e32 v133, vcc_lo, 0, v213, vcc_lo
	v_add_co_u32 v185, vcc_lo, s7, v204
	v_add_co_ci_u32_e32 v202, vcc_lo, s9, v232, vcc_lo
	global_load_b32 v205, v[132:133], off offset:4
	v_add_co_u32 v132, vcc_lo, v185, v244
	v_add_co_ci_u32_e32 v133, vcc_lo, v202, v243, vcc_lo
	v_add_co_u32 v215, vcc_lo, v185, v241
	v_add_co_ci_u32_e32 v216, vcc_lo, v202, v242, vcc_lo
	s_delay_alu instid0(VALU_DEP_4) | instskip(NEXT) | instid1(VALU_DEP_4)
	v_add_co_u32 v217, vcc_lo, v132, v198
	v_add_co_ci_u32_e32 v218, vcc_lo, 0, v133, vcc_lo
	s_delay_alu instid0(VALU_DEP_4) | instskip(NEXT) | instid1(VALU_DEP_4)
	v_add_co_u32 v220, vcc_lo, v215, v201
	v_add_co_ci_u32_e32 v221, vcc_lo, 0, v216, vcc_lo
	v_cvt_f16_u16_e64 v175, v175
	v_cvt_f16_u16_e64 v185, v39
	s_clause 0x5
	global_load_b32 v251, v[217:218], off offset:4
	global_load_b32 v246, v[132:133], off
	global_load_b32 v252, v[220:221], off offset:4
	global_load_b32 v250, v[215:216], off
	global_load_b32 v133, v[212:213], off
	;; [unrolled: 1-line block ×3, first 2 shown]
	v_bfe_u32 v128, v128, 24, 4
	v_pk_fma_f16 v57, v58, v57, v58 op_sel:[0,0,1] op_sel_hi:[0,1,1]
	v_pk_fma_f16 v55, v58, v55, v58 op_sel:[0,0,1] op_sel_hi:[0,1,1]
	v_pack_b32_f16 v125, v175, v185
	v_cvt_f16_u16_e64 v126, v222
	v_cvt_f16_u16_e64 v128, v128
	v_pk_fma_f16 v49, v57, v44, v49 op_sel:[0,1,0]
	v_pk_fma_f16 v50, v55, v44, v50 op_sel:[0,1,0]
	;; [unrolled: 1-line block ×4, first 2 shown]
	s_waitcnt vmcnt(18)
	v_ashrrev_i32_e32 v44, v173, v139
	v_pack_b32_f16 v126, v126, v128
	s_waitcnt vmcnt(16)
	v_pk_fma_f16 v125, v134, v125, v134 op_sel:[0,0,1] op_sel_hi:[0,1,1]
	v_add_co_u32 v128, vcc_lo, s7, v209
	v_add_co_ci_u32_e32 v132, vcc_lo, s9, v233, vcc_lo
	s_delay_alu instid0(VALU_DEP_3)
	v_pk_fma_f16 v47, v125, v45, v47 op_sel_hi:[1,0,1]
	ds_store_b128 v137, v[51:54] offset:16
	ds_store_b128 v137, v[47:50]
	v_lshrrev_b32_e32 v53, 8, v44
	v_pk_fma_f16 v40, v134, v126, v134 op_sel:[0,0,1] op_sel_hi:[0,1,1]
	v_pk_fma_f16 v55, v125, v41, v51 op_sel_hi:[1,0,1]
	v_lshrrev_b32_e32 v51, 16, v44
	v_and_b32_e32 v54, 15, v44
	v_and_b32_e32 v53, 15, v53
	v_pk_fma_f16 v52, v40, v45, v48 op_sel_hi:[1,0,1]
	v_pk_fma_f16 v48, v40, v41, v56 op_sel_hi:[1,0,1]
	v_and_b32_e32 v40, 15, v51
	v_cvt_f16_u16_e32 v51, v54
	v_cvt_f16_u16_e32 v53, v53
	v_ashrrev_i32_e32 v202, v173, v131
	v_bfe_u32 v44, v44, 24, 4
	v_cvt_f16_u16_e32 v40, v40
	s_delay_alu instid0(VALU_DEP_4) | instskip(SKIP_3) | instid1(VALU_DEP_3)
	v_pack_b32_f16 v51, v51, v53
	v_add_co_u32 v53, vcc_lo, v128, v241
	v_add_co_ci_u32_e32 v54, vcc_lo, v132, v242, vcc_lo
	v_cvt_f16_u16_e32 v44, v44
	v_add_co_u32 v125, vcc_lo, v53, v201
	s_delay_alu instid0(VALU_DEP_3)
	v_add_co_ci_u32_e32 v126, vcc_lo, 0, v54, vcc_lo
	v_add_co_u32 v138, vcc_lo, v128, v244
	v_add_co_ci_u32_e32 v139, vcc_lo, v132, v243, vcc_lo
	global_load_b32 v185, v[125:126], off offset:4
	v_add_co_u32 v125, vcc_lo, v138, v198
	v_add_co_ci_u32_e32 v126, vcc_lo, 0, v139, vcc_lo
	v_add_co_u32 v128, vcc_lo, s7, v214
	v_add_co_ci_u32_e32 v131, vcc_lo, s9, v235, vcc_lo
	global_load_b32 v134, v[125:126], off offset:4
	v_add_co_u32 v125, vcc_lo, v128, v244
	v_add_co_ci_u32_e32 v126, vcc_lo, v131, v243, vcc_lo
	v_add_co_u32 v212, vcc_lo, v128, v241
	v_add_co_ci_u32_e32 v213, vcc_lo, v131, v242, vcc_lo
	s_delay_alu instid0(VALU_DEP_4) | instskip(NEXT) | instid1(VALU_DEP_4)
	v_add_co_u32 v131, vcc_lo, v125, v198
	v_add_co_ci_u32_e32 v132, vcc_lo, 0, v126, vcc_lo
	s_delay_alu instid0(VALU_DEP_4) | instskip(NEXT) | instid1(VALU_DEP_4)
	v_add_co_u32 v215, vcc_lo, v212, v201
	v_add_co_ci_u32_e32 v216, vcc_lo, 0, v213, vcc_lo
	s_clause 0x5
	global_load_b32 v175, v[131:132], off offset:4
	global_load_b32 v131, v[125:126], off
	global_load_b32 v253, v[215:216], off offset:4
	global_load_b32 v132, v[212:213], off
	global_load_b32 v126, v[138:139], off
	;; [unrolled: 1-line block ×3, first 2 shown]
	v_lshrrev_b32_e32 v128, 8, v202
	v_lshrrev_b32_e32 v53, 16, v202
	v_and_b32_e32 v54, 15, v202
	v_pack_b32_f16 v40, v40, v44
	v_pk_fma_f16 v51, v249, v51, v249 op_sel:[0,0,1] op_sel_hi:[0,1,1]
	v_and_b32_e32 v125, 15, v128
	v_and_b32_e32 v44, 15, v53
	v_bfe_u32 v128, v202, 24, 4
	v_cvt_f16_u16_e32 v54, v54
	v_pk_fma_f16 v40, v249, v40, v249 op_sel:[0,0,1] op_sel_hi:[0,1,1]
	v_cvt_f16_u16_e32 v125, v125
	v_cvt_f16_u16_e32 v44, v44
	v_cvt_f16_u16_e64 v128, v128
	v_ashrrev_i32_e32 v138, v173, v248
	v_pk_fma_f16 v53, v51, v45, v49 op_sel_hi:[1,0,1]
	v_pack_b32_f16 v125, v54, v125
	v_pk_fma_f16 v49, v51, v41, v57 op_sel_hi:[1,0,1]
	v_pack_b32_f16 v44, v44, v128
	v_add_co_u32 v128, vcc_lo, s7, v219
	v_add_co_ci_u32_e32 v202, vcc_lo, s9, v236, vcc_lo
	v_pk_fma_f16 v225, v247, v125, v247 op_sel:[0,0,1] op_sel_hi:[0,1,1]
	s_delay_alu instid0(VALU_DEP_3) | instskip(NEXT) | instid1(VALU_DEP_3)
	v_add_co_u32 v212, vcc_lo, v128, v241
	v_add_co_ci_u32_e32 v213, vcc_lo, v202, v242, vcc_lo
	v_pk_fma_f16 v54, v40, v45, v50 op_sel_hi:[1,0,1]
	v_pk_fma_f16 v50, v40, v41, v58 op_sel_hi:[1,0,1]
	v_lshrrev_b32_e32 v40, 8, v138
	v_lshrrev_b32_e32 v125, 16, v138
	v_pk_fma_f16 v51, v225, v45, v47 op_sel:[0,1,0]
	v_and_b32_e32 v47, 15, v138
	v_bfe_u32 v226, v138, 24, 4
	v_add_co_u32 v138, vcc_lo, v212, v201
	v_add_co_ci_u32_e32 v139, vcc_lo, 0, v213, vcc_lo
	v_add_co_u32 v215, vcc_lo, v128, v244
	v_add_co_ci_u32_e32 v216, vcc_lo, v202, v243, vcc_lo
	global_load_b32 v249, v[138:139], off offset:4
	v_add_co_u32 v138, vcc_lo, v215, v198
	v_add_co_ci_u32_e32 v139, vcc_lo, 0, v216, vcc_lo
	v_cvt_f16_u16_e64 v227, v47
	v_add_co_u32 v47, vcc_lo, s7, v224
	v_add_co_ci_u32_e32 v128, vcc_lo, s9, v237, vcc_lo
	v_pk_fma_f16 v44, v247, v44, v247 op_sel:[0,0,1] op_sel_hi:[0,1,1]
	global_load_b32 v247, v[138:139], off offset:4
	v_add_co_u32 v138, vcc_lo, v47, v244
	v_add_co_ci_u32_e32 v139, vcc_lo, v128, v243, vcc_lo
	v_add_co_u32 v217, vcc_lo, v47, v241
	v_add_co_ci_u32_e32 v218, vcc_lo, v128, v242, vcc_lo
	s_delay_alu instid0(VALU_DEP_4) | instskip(NEXT) | instid1(VALU_DEP_4)
	v_add_co_u32 v220, vcc_lo, v138, v198
	v_add_co_ci_u32_e32 v221, vcc_lo, 0, v139, vcc_lo
	v_and_b32_e32 v125, 15, v125
	v_add_co_u32 v222, vcc_lo, v217, v201
	v_add_co_ci_u32_e32 v223, vcc_lo, 0, v218, vcc_lo
	s_delay_alu instid0(VALU_DEP_3)
	v_cvt_f16_u16_e64 v228, v125
	s_clause 0x5
	global_load_b32 v248, v[220:221], off offset:4
	global_load_b32 v138, v[138:139], off
	global_load_b32 v128, v[222:223], off offset:4
	global_load_b32 v125, v[217:218], off
	global_load_b32 v255, v[215:216], off
	global_load_b32 v202, v[212:213], off
	v_and_b32_e32 v40, 15, v40
	v_cvt_f16_u16_e64 v139, v226
	ds_store_b128 v137, v[55:58] offset:16
	ds_store_b128 v137, v[51:54]
	v_pk_fma_f16 v47, v225, v41, v55 op_sel:[0,1,0]
	v_pk_fma_f16 v52, v44, v45, v52 op_sel:[0,1,0]
	v_cvt_f16_u16_e32 v40, v40
	v_pack_b32_f16 v55, v228, v139
	v_pk_fma_f16 v216, v44, v41, v48 op_sel:[0,1,0]
	s_delay_alu instid0(VALU_DEP_3) | instskip(NEXT) | instid1(VALU_DEP_3)
	v_pack_b32_f16 v40, v227, v40
	v_pk_fma_f16 v44, v245, v55, v245 op_sel:[0,0,1] op_sel_hi:[0,1,1]
	s_delay_alu instid0(VALU_DEP_2) | instskip(NEXT) | instid1(VALU_DEP_2)
	v_pk_fma_f16 v40, v245, v40, v245 op_sel:[0,0,1] op_sel_hi:[0,1,1]
	v_pk_fma_f16 v218, v44, v41, v50 op_sel:[0,1,0]
	v_pk_fma_f16 v54, v44, v45, v54 op_sel:[0,1,0]
	s_waitcnt vmcnt(31)
	v_ashrrev_i32_e32 v56, v173, v195
	v_pk_fma_f16 v53, v40, v45, v53 op_sel:[0,1,0]
	v_pk_fma_f16 v217, v40, v41, v49 op_sel:[0,1,0]
	s_delay_alu instid0(VALU_DEP_3) | instskip(SKIP_3) | instid1(VALU_DEP_4)
	v_lshrrev_b32_e32 v57, 8, v56
	v_and_b32_e32 v55, 15, v56
	v_lshrrev_b32_e32 v58, 16, v56
	v_bfe_u32 v56, v56, 24, 4
	v_and_b32_e32 v57, 15, v57
	s_delay_alu instid0(VALU_DEP_4) | instskip(NEXT) | instid1(VALU_DEP_3)
	v_cvt_f16_u16_e32 v40, v55
	v_cvt_f16_u16_e64 v226, v56
	s_delay_alu instid0(VALU_DEP_3) | instskip(SKIP_3) | instid1(VALU_DEP_3)
	v_cvt_f16_u16_e32 v55, v57
	v_and_b32_e32 v57, 15, v58
	s_waitcnt vmcnt(30)
	v_ashrrev_i32_e32 v227, v173, v127
	v_pack_b32_f16 v215, v40, v55
	v_add_co_u32 v55, vcc_lo, s7, v229
	v_add_co_ci_u32_e32 v56, vcc_lo, s9, v238, vcc_lo
	v_cvt_f16_u16_e64 v225, v57
	s_delay_alu instid0(VALU_DEP_3) | instskip(NEXT) | instid1(VALU_DEP_3)
	v_add_co_u32 v40, vcc_lo, v55, v241
	v_add_co_ci_u32_e32 v41, vcc_lo, v56, v242, vcc_lo
	v_lshrrev_b32_e32 v57, 8, v227
	s_delay_alu instid0(VALU_DEP_3) | instskip(NEXT) | instid1(VALU_DEP_3)
	v_add_co_u32 v44, vcc_lo, v40, v201
	v_add_co_ci_u32_e32 v45, vcc_lo, 0, v41, vcc_lo
	v_add_co_u32 v212, vcc_lo, v55, v244
	v_add_co_ci_u32_e32 v213, vcc_lo, v56, v243, vcc_lo
	global_load_b32 v127, v[44:45], off offset:4
	v_add_co_u32 v44, vcc_lo, v212, v198
	v_add_co_ci_u32_e32 v45, vcc_lo, 0, v213, vcc_lo
	v_add_co_u32 v55, vcc_lo, s7, v234
	v_add_co_ci_u32_e32 v56, vcc_lo, s9, v239, vcc_lo
	global_load_b32 v245, v[44:45], off offset:4
	v_add_co_u32 v44, vcc_lo, v55, v244
	v_add_co_ci_u32_e32 v45, vcc_lo, v56, v243, vcc_lo
	v_add_co_u32 v220, vcc_lo, v55, v241
	v_add_co_ci_u32_e32 v221, vcc_lo, v56, v242, vcc_lo
	s_delay_alu instid0(VALU_DEP_4) | instskip(NEXT) | instid1(VALU_DEP_4)
	v_add_co_u32 v55, vcc_lo, v44, v198
	v_add_co_ci_u32_e32 v56, vcc_lo, 0, v45, vcc_lo
	s_delay_alu instid0(VALU_DEP_4) | instskip(NEXT) | instid1(VALU_DEP_4)
	v_add_co_u32 v222, vcc_lo, v220, v201
	v_add_co_ci_u32_e32 v223, vcc_lo, 0, v221, vcc_lo
	v_and_b32_e32 v241, 15, v57
	s_clause 0x5
	global_load_b32 v57, v[55:56], off offset:4
	global_load_b32 v55, v[44:45], off
	global_load_b32 v139, v[222:223], off offset:4
	global_load_b32 v56, v[220:221], off
	global_load_b32 v58, v[212:213], off
	;; [unrolled: 1-line block ×3, first 2 shown]
	v_and_b32_e32 v228, 15, v227
	v_lshrrev_b32_e32 v40, 16, v227
	v_pack_b32_f16 v44, v225, v226
	v_cvt_f16_u16_e64 v212, v241
	s_waitcnt vmcnt(32)
	v_pk_fma_f16 v41, v211, v215, v211 op_sel:[0,0,1] op_sel_hi:[0,1,1]
	v_cvt_f16_u16_e64 v45, v228
	v_and_b32_e32 v40, 15, v40
	v_bfe_u32 v213, v227, 24, 4
	v_pk_fma_f16 v44, v211, v44, v211 op_sel:[0,0,1] op_sel_hi:[0,1,1]
	v_pk_fma_f16 v51, v41, v46, v51 op_sel_hi:[1,0,1]
	v_pack_b32_f16 v45, v45, v212
	v_cvt_f16_u16_e32 v40, v40
	v_cvt_f16_u16_e64 v211, v213
	v_pk_fma_f16 v215, v41, v42, v47 op_sel_hi:[1,0,1]
	v_ashrrev_i32_e32 v41, v173, v208
	ds_store_b128 v137, v[47:50] offset:16
	ds_store_b128 v137, v[51:54]
	v_pk_fma_f16 v45, v207, v45, v207 op_sel:[0,0,1] op_sel_hi:[0,1,1]
	v_pack_b32_f16 v40, v40, v211
	v_pk_fma_f16 v52, v44, v46, v52 op_sel_hi:[1,0,1]
	v_pk_fma_f16 v48, v44, v42, v216 op_sel_hi:[1,0,1]
	v_lshrrev_b32_e32 v44, 8, v41
	v_pk_fma_f16 v53, v45, v46, v53 op_sel_hi:[1,0,1]
	v_pk_fma_f16 v40, v207, v40, v207 op_sel:[0,0,1] op_sel_hi:[0,1,1]
	v_and_b32_e32 v47, 15, v41
	v_pk_fma_f16 v49, v45, v42, v217 op_sel_hi:[1,0,1]
	v_and_b32_e32 v44, 15, v44
	v_lshrrev_b32_e32 v45, 16, v41
	v_ashrrev_i32_e32 v206, v173, v206
	v_pk_fma_f16 v54, v40, v46, v54 op_sel_hi:[1,0,1]
	v_cvt_f16_u16_e32 v47, v47
	v_cvt_f16_u16_e32 v44, v44
	v_and_b32_e32 v45, 15, v45
	v_bfe_u32 v41, v41, 24, 4
	v_pk_fma_f16 v50, v40, v42, v218 op_sel_hi:[1,0,1]
	v_lshrrev_b32_e32 v40, 8, v206
	v_pack_b32_f16 v44, v47, v44
	v_cvt_f16_u16_e32 v45, v45
	v_cvt_f16_u16_e32 v41, v41
	v_and_b32_e32 v47, 15, v206
	v_and_b32_e32 v40, 15, v40
	v_lshrrev_b32_e32 v207, 16, v206
	v_bfe_u32 v206, v206, 24, 4
	v_pack_b32_f16 v41, v45, v41
	v_cvt_f16_u16_e32 v45, v47
	v_cvt_f16_u16_e32 v40, v40
	v_and_b32_e32 v47, 15, v207
	v_pk_fma_f16 v44, v203, v44, v203 op_sel:[0,0,1] op_sel_hi:[0,1,1]
	v_pk_fma_f16 v41, v203, v41, v203 op_sel:[0,0,1] op_sel_hi:[0,1,1]
	v_cvt_f16_u16_e64 v203, v206
	v_pack_b32_f16 v40, v45, v40
	v_cvt_f16_u16_e32 v45, v47
	v_pk_fma_f16 v51, v44, v46, v51 op_sel:[0,1,0]
	ds_store_b128 v137, v[215:218] offset:16
	ds_store_b128 v137, v[51:54]
	s_waitcnt vmcnt(31)
	v_ashrrev_i32_e32 v206, v173, v210
	v_pack_b32_f16 v45, v45, v203
	v_pk_fma_f16 v47, v44, v42, v215 op_sel:[0,1,0]
	v_pk_fma_f16 v203, v43, v40, v43 op_sel:[0,0,1] op_sel_hi:[0,1,1]
	v_pk_fma_f16 v44, v41, v46, v52 op_sel:[0,1,0]
	v_lshrrev_b32_e32 v52, 8, v206
	v_pk_fma_f16 v43, v43, v45, v43 op_sel:[0,0,1] op_sel_hi:[0,1,1]
	v_pk_fma_f16 v40, v41, v42, v48 op_sel:[0,1,0]
	v_pk_fma_f16 v45, v203, v46, v53 op_sel:[0,1,0]
	v_and_b32_e32 v53, 15, v206
	v_and_b32_e32 v52, 15, v52
	v_pk_fma_f16 v41, v203, v42, v49 op_sel:[0,1,0]
	v_lshrrev_b32_e32 v203, 16, v206
	v_pk_fma_f16 v46, v43, v46, v54 op_sel:[0,1,0]
	s_waitcnt vmcnt(30)
	v_ashrrev_i32_e32 v54, v173, v205
	v_cvt_f16_u16_e32 v53, v53
	v_cvt_f16_u16_e32 v52, v52
	v_and_b32_e32 v203, 15, v203
	v_bfe_u32 v205, v206, 24, 4
	v_pk_fma_f16 v42, v43, v42, v50 op_sel:[0,1,0]
	v_lshrrev_b32_e32 v43, 8, v54
	v_pack_b32_f16 v52, v53, v52
	v_cvt_f16_u16_e64 v53, v203
	v_cvt_f16_u16_e64 v203, v205
	v_and_b32_e32 v205, 15, v54
	v_and_b32_e32 v43, 15, v43
	v_lshrrev_b32_e32 v206, 16, v54
	s_waitcnt vmcnt(24)
	v_pk_fma_f16 v52, v39, v52, v39 op_sel:[0,0,1] op_sel_hi:[0,1,1]
	v_pack_b32_f16 v53, v53, v203
	v_cvt_f16_u16_e64 v203, v205
	v_cvt_f16_u16_e64 v205, v43
	v_and_b32_e32 v206, 15, v206
	v_bfe_u32 v54, v54, 24, 4
	s_waitcnt lgkmcnt(17)
	v_pk_fma_f16 v43, v52, v35, v51 op_sel_hi:[1,0,1]
	v_pk_fma_f16 v53, v39, v53, v39 op_sel:[0,0,1] op_sel_hi:[0,1,1]
	v_pack_b32_f16 v51, v203, v205
	v_cvt_f16_u16_e64 v203, v206
	v_cvt_f16_u16_e32 v54, v54
	ds_store_b128 v137, v[47:50] offset:16
	ds_store_b128 v137, v[43:46]
	s_waitcnt lgkmcnt(16)
	v_pk_fma_f16 v39, v52, v31, v47 op_sel_hi:[1,0,1]
	v_ashrrev_i32_e32 v47, v173, v252
	v_pk_fma_f16 v50, v133, v51, v133 op_sel:[0,0,1] op_sel_hi:[0,1,1]
	v_pack_b32_f16 v49, v203, v54
	v_pk_fma_f16 v44, v53, v35, v44 op_sel_hi:[1,0,1]
	v_pk_fma_f16 v48, v53, v31, v40 op_sel_hi:[1,0,1]
	v_lshrrev_b32_e32 v51, 8, v47
	v_pk_fma_f16 v45, v50, v35, v45 op_sel_hi:[1,0,1]
	v_pk_fma_f16 v52, v133, v49, v133 op_sel:[0,0,1] op_sel_hi:[0,1,1]
	v_and_b32_e32 v53, 15, v47
	v_pk_fma_f16 v49, v50, v31, v41 op_sel_hi:[1,0,1]
	v_and_b32_e32 v50, 15, v51
	v_lshrrev_b32_e32 v51, 16, v47
	v_ashrrev_i32_e32 v54, v173, v251
	v_pk_fma_f16 v46, v52, v35, v46 op_sel_hi:[1,0,1]
	v_cvt_f16_u16_e32 v53, v53
	v_cvt_f16_u16_e64 v133, v50
	v_and_b32_e32 v51, 15, v51
	v_bfe_u32 v47, v47, 24, 4
	v_pk_fma_f16 v50, v52, v31, v42 op_sel_hi:[1,0,1]
	v_lshrrev_b32_e32 v52, 8, v54
	v_pack_b32_f16 v53, v53, v133
	v_cvt_f16_u16_e32 v51, v51
	v_cvt_f16_u16_e32 v47, v47
	v_and_b32_e32 v133, 15, v54
	v_and_b32_e32 v52, 15, v52
	v_lshrrev_b32_e32 v203, 16, v54
	v_bfe_u32 v54, v54, 24, 4
	v_pack_b32_f16 v47, v51, v47
	v_cvt_f16_u16_e64 v51, v133
	v_cvt_f16_u16_e32 v52, v52
	v_and_b32_e32 v133, 15, v203
	v_pk_fma_f16 v53, v250, v53, v250 op_sel:[0,0,1] op_sel_hi:[0,1,1]
	v_cvt_f16_u16_e32 v54, v54
	v_pk_fma_f16 v203, v250, v47, v250 op_sel:[0,0,1] op_sel_hi:[0,1,1]
	v_pack_b32_f16 v51, v51, v52
	v_cvt_f16_u16_e64 v52, v133
	v_pk_fma_f16 v43, v53, v35, v43 op_sel:[0,1,0]
	ds_store_b128 v137, v[39:42] offset:16
	ds_store_b128 v137, v[43:46]
	v_pk_fma_f16 v47, v53, v31, v39 op_sel:[0,1,0]
	s_waitcnt vmcnt(23)
	v_ashrrev_i32_e32 v39, v173, v185
	v_pack_b32_f16 v41, v52, v54
	v_pk_fma_f16 v42, v246, v51, v246 op_sel:[0,0,1] op_sel_hi:[0,1,1]
	v_pk_fma_f16 v40, v203, v35, v44 op_sel:[0,1,0]
	v_pk_fma_f16 v44, v203, v31, v48 op_sel:[0,1,0]
	v_lshrrev_b32_e32 v51, 8, v39
	v_pk_fma_f16 v52, v246, v41, v246 op_sel:[0,0,1] op_sel_hi:[0,1,1]
	v_and_b32_e32 v53, 15, v39
	v_pk_fma_f16 v41, v42, v35, v45 op_sel:[0,1,0]
	v_pk_fma_f16 v45, v42, v31, v49 op_sel:[0,1,0]
	v_and_b32_e32 v51, 15, v51
	v_lshrrev_b32_e32 v54, 16, v39
	v_pk_fma_f16 v42, v52, v35, v46 op_sel:[0,1,0]
	v_cvt_f16_u16_e32 v35, v53
	s_waitcnt vmcnt(22)
	v_ashrrev_i32_e32 v53, v173, v134
	v_cvt_f16_u16_e32 v51, v51
	v_and_b32_e32 v54, 15, v54
	v_bfe_u32 v39, v39, 24, 4
	v_pk_fma_f16 v46, v52, v31, v50 op_sel:[0,1,0]
	v_lshrrev_b32_e32 v31, 8, v53
	v_pack_b32_f16 v35, v35, v51
	v_cvt_f16_u16_e32 v51, v54
	v_cvt_f16_u16_e32 v39, v39
	v_and_b32_e32 v52, 15, v53
	v_and_b32_e32 v31, 15, v31
	v_lshrrev_b32_e32 v54, 16, v53
	s_waitcnt vmcnt(16)
	v_pk_fma_f16 v35, v254, v35, v254 op_sel:[0,0,1] op_sel_hi:[0,1,1]
	v_pack_b32_f16 v39, v51, v39
	v_cvt_f16_u16_e32 v51, v52
	v_cvt_f16_u16_e32 v31, v31
	v_and_b32_e32 v52, 15, v54
	v_bfe_u32 v53, v53, 24, 4
	v_pk_fma_f16 v54, v254, v39, v254 op_sel:[0,0,1] op_sel_hi:[0,1,1]
	v_pk_fma_f16 v39, v35, v36, v43 op_sel_hi:[1,0,1]
	v_pack_b32_f16 v31, v51, v31
	v_cvt_f16_u16_e32 v51, v52
	v_cvt_f16_u16_e32 v52, v53
	v_pk_fma_f16 v43, v35, v32, v47 op_sel_hi:[1,0,1]
	v_ashrrev_i32_e32 v35, v173, v253
	ds_store_b128 v137, v[47:50] offset:16
	ds_store_b128 v137, v[39:42]
	v_pk_fma_f16 v31, v126, v31, v126 op_sel:[0,0,1] op_sel_hi:[0,1,1]
	v_pack_b32_f16 v48, v51, v52
	v_ashrrev_i32_e32 v52, v173, v175
	v_lshrrev_b32_e32 v49, 8, v35
	v_and_b32_e32 v51, 15, v35
	v_pk_fma_f16 v41, v31, v36, v41 op_sel_hi:[1,0,1]
	v_pk_fma_f16 v50, v126, v48, v126 op_sel:[0,0,1] op_sel_hi:[0,1,1]
	v_pk_fma_f16 v48, v31, v32, v45 op_sel_hi:[1,0,1]
	v_and_b32_e32 v31, 15, v49
	v_lshrrev_b32_e32 v49, 16, v35
	v_cvt_f16_u16_e32 v51, v51
	v_pk_fma_f16 v42, v50, v36, v42 op_sel_hi:[1,0,1]
	v_bfe_u32 v35, v35, 24, 4
	v_cvt_f16_u16_e32 v31, v31
	v_and_b32_e32 v53, 15, v49
	v_pk_fma_f16 v49, v50, v32, v46 op_sel_hi:[1,0,1]
	v_lshrrev_b32_e32 v50, 8, v52
	v_pk_fma_f16 v40, v54, v36, v40 op_sel_hi:[1,0,1]
	v_pack_b32_f16 v31, v51, v31
	v_pk_fma_f16 v47, v54, v32, v44 op_sel_hi:[1,0,1]
	v_cvt_f16_u16_e32 v51, v53
	v_cvt_f16_u16_e32 v35, v35
	v_and_b32_e32 v53, 15, v52
	v_and_b32_e32 v50, 15, v50
	v_lshrrev_b32_e32 v54, 16, v52
	v_pk_fma_f16 v31, v132, v31, v132 op_sel:[0,0,1] op_sel_hi:[0,1,1]
	v_pack_b32_f16 v35, v51, v35
	v_cvt_f16_u16_e32 v51, v53
	v_cvt_f16_u16_e32 v50, v50
	v_and_b32_e32 v53, 15, v54
	v_bfe_u32 v52, v52, 24, 4
	v_pk_fma_f16 v39, v31, v36, v39 op_sel:[0,1,0]
	v_pk_fma_f16 v35, v132, v35, v132 op_sel:[0,0,1] op_sel_hi:[0,1,1]
	v_pack_b32_f16 v50, v51, v50
	v_cvt_f16_u16_e32 v51, v53
	v_cvt_f16_u16_e32 v52, v52
	ds_store_b128 v137, v[43:46] offset:16
	ds_store_b128 v137, v[39:42]
	v_pk_fma_f16 v46, v31, v32, v43 op_sel:[0,1,0]
	s_waitcnt vmcnt(15)
	v_ashrrev_i32_e32 v31, v173, v249
	v_pk_fma_f16 v44, v131, v50, v131 op_sel:[0,0,1] op_sel_hi:[0,1,1]
	v_pack_b32_f16 v43, v51, v52
	v_pk_fma_f16 v40, v35, v36, v40 op_sel:[0,1,0]
	v_pk_fma_f16 v50, v35, v32, v47 op_sel:[0,1,0]
	v_lshrrev_b32_e32 v35, 8, v31
	v_and_b32_e32 v45, 15, v31
	v_pk_fma_f16 v43, v131, v43, v131 op_sel:[0,0,1] op_sel_hi:[0,1,1]
	v_pk_fma_f16 v41, v44, v36, v41 op_sel:[0,1,0]
	v_pk_fma_f16 v51, v44, v32, v48 op_sel:[0,1,0]
	v_and_b32_e32 v35, 15, v35
	v_lshrrev_b32_e32 v44, 16, v31
	v_pk_fma_f16 v42, v43, v36, v42 op_sel:[0,1,0]
	v_cvt_f16_u16_e32 v36, v45
	s_waitcnt vmcnt(14)
	v_ashrrev_i32_e32 v45, v173, v247
	v_cvt_f16_u16_e32 v35, v35
	v_and_b32_e32 v44, 15, v44
	v_bfe_u32 v31, v31, 24, 4
	v_pk_fma_f16 v52, v43, v32, v49 op_sel:[0,1,0]
	v_lshrrev_b32_e32 v32, 8, v45
	v_pack_b32_f16 v35, v36, v35
	v_cvt_f16_u16_e32 v36, v44
	v_cvt_f16_u16_e32 v31, v31
	v_and_b32_e32 v43, 15, v45
	v_and_b32_e32 v32, 15, v32
	v_lshrrev_b32_e32 v44, 16, v45
	s_waitcnt vmcnt(8)
	v_pk_fma_f16 v35, v202, v35, v202 op_sel:[0,0,1] op_sel_hi:[0,1,1]
	v_pack_b32_f16 v31, v36, v31
	v_cvt_f16_u16_e32 v36, v43
	v_cvt_f16_u16_e32 v32, v32
	v_and_b32_e32 v43, 15, v44
	v_bfe_u32 v44, v45, 24, 4
	v_pk_fma_f16 v39, v35, v37, v39 op_sel_hi:[1,0,1]
	v_pk_fma_f16 v31, v202, v31, v202 op_sel:[0,0,1] op_sel_hi:[0,1,1]
	v_pack_b32_f16 v32, v36, v32
	v_cvt_f16_u16_e32 v36, v43
	v_cvt_f16_u16_e32 v43, v44
	ds_store_b128 v137, v[46:49] offset:16
	ds_store_b128 v137, v[39:42]
	v_pk_fma_f16 v49, v35, v33, v46 op_sel_hi:[1,0,1]
	v_ashrrev_i32_e32 v35, v173, v128
	v_pk_fma_f16 v32, v255, v32, v255 op_sel:[0,0,1] op_sel_hi:[0,1,1]
	v_pack_b32_f16 v36, v36, v43
	v_pk_fma_f16 v40, v31, v37, v40 op_sel_hi:[1,0,1]
	v_pk_fma_f16 v44, v31, v33, v50 op_sel_hi:[1,0,1]
	v_lshrrev_b32_e32 v31, 8, v35
	v_pk_fma_f16 v41, v32, v37, v41 op_sel_hi:[1,0,1]
	v_pk_fma_f16 v36, v255, v36, v255 op_sel:[0,0,1] op_sel_hi:[0,1,1]
	v_and_b32_e32 v43, 15, v35
	v_pk_fma_f16 v45, v32, v33, v51 op_sel_hi:[1,0,1]
	v_and_b32_e32 v31, 15, v31
	v_lshrrev_b32_e32 v32, 16, v35
	v_ashrrev_i32_e32 v47, v173, v248
	v_pk_fma_f16 v42, v36, v37, v42 op_sel_hi:[1,0,1]
	v_cvt_f16_u16_e32 v43, v43
	v_cvt_f16_u16_e32 v31, v31
	v_and_b32_e32 v32, 15, v32
	v_bfe_u32 v35, v35, 24, 4
	v_pk_fma_f16 v46, v36, v33, v52 op_sel_hi:[1,0,1]
	v_lshrrev_b32_e32 v36, 8, v47
	v_pack_b32_f16 v31, v43, v31
	v_cvt_f16_u16_e32 v32, v32
	v_cvt_f16_u16_e32 v35, v35
	v_and_b32_e32 v43, 15, v47
	v_and_b32_e32 v36, 15, v36
	v_lshrrev_b32_e32 v48, 16, v47
	v_bfe_u32 v47, v47, 24, 4
	v_pack_b32_f16 v32, v32, v35
	v_cvt_f16_u16_e32 v35, v43
	v_cvt_f16_u16_e32 v36, v36
	v_and_b32_e32 v43, 15, v48
	v_pk_fma_f16 v31, v125, v31, v125 op_sel:[0,0,1] op_sel_hi:[0,1,1]
	v_cvt_f16_u16_e32 v47, v47
	v_pk_fma_f16 v32, v125, v32, v125 op_sel:[0,0,1] op_sel_hi:[0,1,1]
	v_pack_b32_f16 v35, v35, v36
	v_cvt_f16_u16_e32 v36, v43
	v_pk_fma_f16 v39, v31, v37, v39 op_sel:[0,1,0]
	ds_store_b128 v137, v[49:52] offset:16
	ds_store_b128 v137, v[39:42]
	s_waitcnt vmcnt(7)
	v_ashrrev_i32_e32 v50, v173, v127
	v_pk_fma_f16 v43, v31, v33, v49 op_sel:[0,1,0]
	v_pack_b32_f16 v31, v36, v47
	v_pk_fma_f16 v35, v138, v35, v138 op_sel:[0,0,1] op_sel_hi:[0,1,1]
	v_pk_fma_f16 v40, v32, v37, v40 op_sel:[0,1,0]
	v_lshrrev_b32_e32 v36, 8, v50
	v_pk_fma_f16 v47, v32, v33, v44 op_sel:[0,1,0]
	v_pk_fma_f16 v31, v138, v31, v138 op_sel:[0,0,1] op_sel_hi:[0,1,1]
	v_pk_fma_f16 v41, v35, v37, v41 op_sel:[0,1,0]
	v_and_b32_e32 v32, 15, v50
	v_and_b32_e32 v36, 15, v36
	v_lshrrev_b32_e32 v49, 16, v50
	v_pk_fma_f16 v42, v31, v37, v42 op_sel:[0,1,0]
	s_waitcnt vmcnt(6)
	v_ashrrev_i32_e32 v37, v173, v245
	v_pk_fma_f16 v48, v35, v33, v45 op_sel:[0,1,0]
	v_cvt_f16_u16_e32 v32, v32
	v_cvt_f16_u16_e32 v35, v36
	v_and_b32_e32 v36, 15, v49
	v_bfe_u32 v50, v50, 24, 4
	v_pk_fma_f16 v49, v31, v33, v46 op_sel:[0,1,0]
	v_lshrrev_b32_e32 v33, 8, v37
	v_pack_b32_f16 v31, v32, v35
	v_cvt_f16_u16_e32 v32, v36
	v_cvt_f16_u16_e32 v35, v50
	v_lshrrev_b32_e32 v36, 16, v37
	v_and_b32_e32 v50, 15, v37
	v_and_b32_e32 v33, 15, v33
	s_waitcnt vmcnt(0)
	v_pk_fma_f16 v31, v195, v31, v195 op_sel:[0,0,1] op_sel_hi:[0,1,1]
	v_pack_b32_f16 v32, v32, v35
	v_and_b32_e32 v35, 15, v36
	v_bfe_u32 v36, v37, 24, 4
	v_cvt_f16_u16_e32 v37, v50
	v_cvt_f16_u16_e32 v33, v33
	v_pk_fma_f16 v39, v31, v38, v39 op_sel_hi:[1,0,1]
	v_cvt_f16_u16_e32 v35, v35
	v_cvt_f16_u16_e32 v36, v36
	v_pk_fma_f16 v32, v195, v32, v195 op_sel:[0,0,1] op_sel_hi:[0,1,1]
	v_pack_b32_f16 v33, v37, v33
	ds_store_b128 v137, v[43:46] offset:16
	ds_store_b128 v137, v[39:42]
	v_pk_fma_f16 v46, v31, v34, v43 op_sel_hi:[1,0,1]
	v_pack_b32_f16 v31, v35, v36
	v_ashrrev_i32_e32 v35, v173, v139
	v_pk_fma_f16 v33, v58, v33, v58 op_sel:[0,0,1] op_sel_hi:[0,1,1]
	v_ashrrev_i32_e32 v44, v173, v57
	v_pk_fma_f16 v36, v32, v38, v40 op_sel_hi:[1,0,1]
	v_pk_fma_f16 v31, v58, v31, v58 op_sel:[0,0,1] op_sel_hi:[0,1,1]
	v_lshrrev_b32_e32 v40, 8, v35
	v_pk_fma_f16 v37, v33, v38, v41 op_sel_hi:[1,0,1]
	v_lshrrev_b32_e32 v41, 16, v35
	v_lshrrev_b32_e32 v45, 8, v44
	;; [unrolled: 1-line block ×3, first 2 shown]
	v_and_b32_e32 v43, 15, v35
	v_and_b32_e32 v40, 15, v40
	;; [unrolled: 1-line block ×3, first 2 shown]
	v_bfe_u32 v35, v35, 24, 4
	v_and_b32_e32 v51, 15, v44
	v_and_b32_e32 v45, 15, v45
	v_and_b32_e32 v50, 15, v50
	v_bfe_u32 v44, v44, 24, 4
	v_cvt_f16_u16_e32 v43, v43
	v_cvt_f16_u16_e32 v40, v40
	;; [unrolled: 1-line block ×8, first 2 shown]
	v_pack_b32_f16 v40, v43, v40
	v_pack_b32_f16 v35, v41, v35
	;; [unrolled: 1-line block ×3, first 2 shown]
	v_pk_fma_f16 v42, v31, v38, v42 op_sel_hi:[1,0,1]
	v_pack_b32_f16 v43, v50, v44
	v_pk_fma_f16 v40, v56, v40, v56 op_sel:[0,0,1] op_sel_hi:[0,1,1]
	v_pk_fma_f16 v44, v56, v35, v56 op_sel:[0,0,1] op_sel_hi:[0,1,1]
	;; [unrolled: 1-line block ×3, first 2 shown]
	v_pk_fma_f16 v32, v32, v34, v47 op_sel_hi:[1,0,1]
	v_pk_fma_f16 v43, v55, v43, v55 op_sel:[0,0,1] op_sel_hi:[0,1,1]
	v_pk_fma_f16 v33, v33, v34, v48 op_sel_hi:[1,0,1]
	v_pk_fma_f16 v45, v31, v34, v49 op_sel_hi:[1,0,1]
	s_add_u32 s7, s7, s6
	s_addc_u32 s9, s9, 0
	s_lshl_b64 s[22:23], s[10:11], 1
	ds_store_2addr_b32 v137, v36, v37 offset0:1 offset1:2
	ds_store_b32 v137, v42 offset:12
	v_pk_fma_f16 v35, v40, v38, v39 op_sel:[0,1,0]
	v_pk_fma_f16 v36, v44, v38, v36 op_sel:[0,1,0]
	;; [unrolled: 1-line block ×4, first 2 shown]
	ds_store_b128 v137, v[46:49] offset:16
	ds_store_2addr_b32 v137, v32, v33 offset0:5 offset1:6
	ds_store_b32 v137, v45 offset:28
	v_pk_fma_f16 v31, v40, v34, v46 op_sel:[0,1,0]
	v_pk_fma_f16 v32, v44, v34, v32 op_sel:[0,1,0]
	;; [unrolled: 1-line block ×4, first 2 shown]
	s_add_u32 s4, s4, s22
	s_addc_u32 s5, s5, s23
	s_cmp_ge_i32 s8, s36
	ds_store_b128 v137, v[35:38]
	ds_store_b128 v137, v[31:34] offset:16
	s_cbranch_scc1 .LBB31_47
; %bb.46:                               ;   in Loop: Header=BB31_21 Depth=1
	v_dual_mov_b32 v36, v129 :: v_dual_mov_b32 v35, v130
	s_branch .LBB31_21
.LBB31_47:
	s_clause 0x4
	scratch_load_b32 v38, off, off offset:16
	scratch_load_b32 v35, off, off offset:20
	;; [unrolled: 1-line block ×5, first 2 shown]
	v_mbcnt_lo_u32_b32 v40, -1, 0
.LBB31_48:
	s_cmp_eq_u64 s[24:25], 0
	s_cselect_b32 s1, -1, 0
	s_cmp_lg_u32 s14, 0
	s_cselect_b32 s4, -1, 0
	s_delay_alu instid0(SALU_CYCLE_1) | instskip(NEXT) | instid1(SALU_CYCLE_1)
	s_or_b32 s1, s4, s1
	s_or_b32 s0, s0, s1
	s_delay_alu instid0(SALU_CYCLE_1) | instskip(NEXT) | instid1(SALU_CYCLE_1)
	s_xor_b32 s0, s0, -1
	s_and_saveexec_b32 s1, s0
	s_cbranch_execz .LBB31_50
; %bb.49:
	s_ashr_i32 s13, s12, 31
	s_waitcnt vmcnt(3)
	v_cmp_eq_u32_e32 vcc_lo, 1, v35
	s_lshl_b64 s[4:5], s[12:13], 2
	v_lshl_add_u32 v9, v35, 4, v137
	s_add_u32 s4, s24, s4
	s_addc_u32 s5, s25, s5
	s_load_b32 s0, s[4:5], 0x0
	v_cndmask_b32_e32 v0, v129, v130, vcc_lo
	s_delay_alu instid0(VALU_DEP_1) | instskip(SKIP_2) | instid1(VALU_DEP_1)
	v_max_f32_e32 v1, v0, v0
	s_waitcnt lgkmcnt(0)
	v_max_f32_e64 v2, s0, s0
	v_max_f32_e32 v4, v2, v1
	s_delay_alu instid0(VALU_DEP_1) | instskip(SKIP_1) | instid1(VALU_DEP_1)
	v_sub_f32_e32 v5, s0, v4
	v_sub_f32_e32 v6, v0, v4
	v_dual_mul_f32 v0, 0x3fb8aa3b, v5 :: v_dual_mul_f32 v1, 0x3fb8aa3b, v6
	v_cmp_ngt_f32_e64 s0, 0xc2ce8ed0, v5
	s_delay_alu instid0(VALU_DEP_2) | instskip(SKIP_1) | instid1(VALU_DEP_4)
	v_fma_f32 v2, 0x3fb8aa3b, v5, -v0
	v_rndne_f32_e32 v3, v0
	v_fma_f32 v7, 0x3fb8aa3b, v6, -v1
	v_rndne_f32_e32 v8, v1
	s_delay_alu instid0(VALU_DEP_4) | instskip(NEXT) | instid1(VALU_DEP_3)
	v_fmac_f32_e32 v2, 0x32a5705f, v5
	v_dual_sub_f32 v0, v0, v3 :: v_dual_fmac_f32 v7, 0x32a5705f, v6
	s_delay_alu instid0(VALU_DEP_3) | instskip(SKIP_1) | instid1(VALU_DEP_2)
	v_sub_f32_e32 v1, v1, v8
	v_cvt_i32_f32_e32 v8, v8
	v_dual_add_f32 v0, v0, v2 :: v_dual_add_f32 v1, v1, v7
	s_delay_alu instid0(VALU_DEP_1) | instskip(NEXT) | instid1(VALU_DEP_1)
	v_exp_f32_e32 v0, v0
	v_exp_f32_e32 v7, v1
	v_cvt_i32_f32_e32 v1, v3
	s_waitcnt_depctr 0xfff
	v_ldexp_f32 v10, v0, v1
	ds_load_b128 v[0:3], v9
	v_ldexp_f32 v7, v7, v8
	v_cndmask_b32_e64 v8, 0, v10, s0
	v_cmp_ngt_f32_e64 s0, 0xc2ce8ed0, v6
	s_delay_alu instid0(VALU_DEP_1) | instskip(SKIP_1) | instid1(VALU_DEP_1)
	v_cndmask_b32_e64 v7, 0, v7, s0
	v_cmp_nlt_f32_e64 s0, 0x42b17218, v5
	v_cndmask_b32_e64 v5, 0x7f800000, v8, s0
	v_cmp_nlt_f32_e64 s0, 0x42b17218, v6
	s_delay_alu instid0(VALU_DEP_1) | instskip(SKIP_2) | instid1(VALU_DEP_3)
	v_cndmask_b32_e64 v6, 0x7f800000, v7, s0
	v_cndmask_b32_e32 v7, v59, v60, vcc_lo
	v_cmp_eq_u32_e64 s0, 0, v38
	v_cvt_f16_f32_e32 v8, v6
	s_delay_alu instid0(VALU_DEP_2)
	v_cndmask_b32_e64 v5, 0, v5, s0
	v_cndmask_b32_e32 v130, v130, v4, vcc_lo
	v_cmp_eq_u32_e64 s0, 0, v35
	s_waitcnt lgkmcnt(0)
	v_pk_mul_f16 v0, v8, v0 op_sel_hi:[0,1]
	v_pk_mul_f16 v1, v8, v1 op_sel_hi:[0,1]
	v_fmac_f32_e32 v5, v7, v6
	v_pk_mul_f16 v2, v8, v2 op_sel_hi:[0,1]
	v_cndmask_b32_e64 v129, v129, v4, s0
	v_pk_mul_f16 v3, v8, v3 op_sel_hi:[0,1]
	s_delay_alu instid0(VALU_DEP_4)
	v_cndmask_b32_e32 v60, v60, v5, vcc_lo
	v_cndmask_b32_e64 v59, v59, v5, s0
	ds_store_b128 v9, v[0:3]
.LBB31_50:
	s_or_b32 exec_lo, exec_lo, s1
	s_delay_alu instid0(SALU_CYCLE_1)
	s_mov_b32 s0, exec_lo
	s_waitcnt vmcnt(3)
	v_cmpx_eq_u32_e32 0, v35
	s_cbranch_execz .LBB31_52
; %bb.51:
	v_mov_b32_e32 v0, 0xfeffffff
	s_waitcnt vmcnt(0)
	v_dual_mov_b32 v2, 0 :: v_dual_add_nc_u32 v1, 0x800, v39
	ds_store_2addr_b32 v1, v0, v0 offset1:32
	ds_store_2addr_b32 v1, v2, v2 offset0:64 offset1:96
.LBB31_52:
	s_or_b32 exec_lo, exec_lo, s0
	v_cmp_eq_u32_e64 s0, 0, v38
	s_waitcnt vmcnt(0) lgkmcnt(0)
	s_waitcnt_vscnt null, 0x0
	s_barrier
	buffer_gl0_inv
	s_and_saveexec_b32 s1, s0
	s_cbranch_execz .LBB31_54
; %bb.53:
	v_lshlrev_b32_e32 v0, 2, v35
	s_delay_alu instid0(VALU_DEP_1)
	v_add_nc_u32_e32 v0, 0x800, v0
	ds_store_2addr_b32 v0, v129, v130 offset1:32
.LBB31_54:
	s_or_b32 exec_lo, exec_lo, s1
	s_cmp_lt_i32 s15, s34
	s_waitcnt lgkmcnt(0)
	s_barrier
	buffer_gl0_inv
	s_cbranch_scc1 .LBB31_56
; %bb.55:
	s_load_b32 s4, s[2:3], 0xd4
	s_cbranch_execz .LBB31_57
	s_branch .LBB31_64
.LBB31_56:
                                        ; implicit-def: $sgpr4
.LBB31_57:
	v_xor_b32_e32 v1, 16, v40
	v_xor_b32_e32 v3, 8, v40
	ds_load_b32 v0, v39 offset:2048
	v_xor_b32_e32 v4, 4, v40
	v_xor_b32_e32 v5, 2, v40
	v_cmp_gt_i32_e32 vcc_lo, 32, v1
	s_waitcnt lgkmcnt(0)
	s_load_b32 s4, s[2:3], 0xd4
	v_lshlrev_b32_e32 v13, 3, v38
	v_cndmask_b32_e32 v1, v40, v1, vcc_lo
	v_cmp_gt_i32_e32 vcc_lo, 32, v3
	v_cndmask_b32_e32 v3, v40, v3, vcc_lo
	v_cmp_gt_i32_e32 vcc_lo, 32, v4
	;; [unrolled: 2-line block ×3, first 2 shown]
	s_delay_alu instid0(VALU_DEP_2)
	v_lshlrev_b32_e32 v4, 2, v4
	v_lshlrev_b32_e32 v2, 2, v1
	v_cndmask_b32_e32 v5, v40, v5, vcc_lo
	ds_bpermute_b32 v1, v2, v0
	v_max_f32_e32 v0, v0, v0
	v_lshlrev_b32_e32 v6, 2, v5
	v_xor_b32_e32 v5, 1, v40
	s_delay_alu instid0(VALU_DEP_1) | instskip(SKIP_1) | instid1(VALU_DEP_1)
	v_cmp_gt_i32_e32 vcc_lo, 32, v5
	v_cndmask_b32_e32 v5, v40, v5, vcc_lo
	v_lshlrev_b32_e32 v5, 2, v5
	s_waitcnt lgkmcnt(0)
	v_max_f32_e32 v1, v1, v1
	s_delay_alu instid0(VALU_DEP_1) | instskip(SKIP_3) | instid1(VALU_DEP_1)
	v_dual_max_f32 v0, v0, v1 :: v_dual_lshlrev_b32 v3, 2, v3
	ds_bpermute_b32 v1, v3, v0
	s_waitcnt lgkmcnt(0)
	v_max_f32_e32 v1, v1, v1
	v_max_f32_e32 v0, v0, v1
	ds_bpermute_b32 v1, v4, v0
	s_waitcnt lgkmcnt(0)
	v_max_f32_e32 v1, v1, v1
	s_delay_alu instid0(VALU_DEP_1) | instskip(SKIP_3) | instid1(VALU_DEP_1)
	v_max_f32_e32 v0, v0, v1
	ds_bpermute_b32 v1, v6, v0
	s_waitcnt lgkmcnt(0)
	v_max_f32_e32 v1, v1, v1
	v_max_f32_e32 v0, v0, v1
	ds_bpermute_b32 v1, v5, v0
	s_waitcnt lgkmcnt(0)
	v_max_f32_e32 v1, v1, v1
	s_delay_alu instid0(VALU_DEP_1) | instskip(NEXT) | instid1(VALU_DEP_1)
	v_max_f32_e32 v0, v0, v1
	v_sub_f32_e32 v1, v129, v0
	s_delay_alu instid0(VALU_DEP_1) | instskip(SKIP_1) | instid1(VALU_DEP_2)
	v_mul_f32_e32 v7, 0x3fb8aa3b, v1
	v_cmp_ngt_f32_e32 vcc_lo, 0xc2ce8ed0, v1
	v_fma_f32 v8, 0x3fb8aa3b, v1, -v7
	v_rndne_f32_e32 v9, v7
	s_delay_alu instid0(VALU_DEP_1) | instskip(NEXT) | instid1(VALU_DEP_1)
	v_dual_fmamk_f32 v8, v1, 0x32a5705f, v8 :: v_dual_sub_f32 v7, v7, v9
	v_add_f32_e32 v7, v7, v8
	v_cvt_i32_f32_e32 v8, v9
	ds_load_b128 v[9:12], v137
	v_exp_f32_e32 v7, v7
	s_waitcnt_depctr 0xfff
	v_ldexp_f32 v7, v7, v8
	s_delay_alu instid0(VALU_DEP_1) | instskip(SKIP_1) | instid1(VALU_DEP_2)
	v_cndmask_b32_e32 v7, 0, v7, vcc_lo
	v_cmp_nlt_f32_e32 vcc_lo, 0x42b17218, v1
	v_cndmask_b32_e32 v7, 0x7f800000, v7, vcc_lo
	s_delay_alu instid0(VALU_DEP_1)
	v_mul_f32_e32 v1, v59, v7
	ds_bpermute_b32 v1, v2, v1
	s_waitcnt lgkmcnt(0)
	v_fmac_f32_e32 v1, v59, v7
	v_cvt_f16_f32_e32 v7, v7
	ds_bpermute_b32 v8, v3, v1
	v_pk_mul_f16 v9, v7, v9 op_sel_hi:[0,1]
	v_pk_mul_f16 v10, v7, v10 op_sel_hi:[0,1]
	v_pk_mul_f16 v11, v7, v11 op_sel_hi:[0,1]
	v_pk_mul_f16 v12, v7, v12 op_sel_hi:[0,1]
	v_add_nc_u32_e32 v7, v36, v13
	ds_store_b128 v137, v[9:12]
	ds_store_2addr_b64 v7, v[9:10], v[11:12] offset1:32
	s_waitcnt lgkmcnt(2)
	v_add_f32_e32 v1, v1, v8
	ds_bpermute_b32 v8, v4, v1
	s_waitcnt lgkmcnt(0)
	v_add_f32_e32 v1, v1, v8
	ds_bpermute_b32 v8, v6, v1
	;; [unrolled: 3-line block ×3, first 2 shown]
	s_and_saveexec_b32 s1, s0
	s_cbranch_execz .LBB31_59
; %bb.58:
	s_waitcnt lgkmcnt(0)
	v_dual_add_f32 v1, v1, v8 :: v_dual_lshlrev_b32 v8, 2, v35
	ds_store_b32 v8, v1 offset:2304
.LBB31_59:
	s_or_b32 exec_lo, exec_lo, s1
	s_waitcnt lgkmcnt(0)
	s_barrier
	buffer_gl0_inv
	ds_load_b32 v1, v39 offset:2304
	ds_load_u16 v8, v136
	ds_load_u16 v9, v136 offset:1280
	ds_load_u16 v10, v136 offset:768
	ds_load_u16 v11, v136 offset:256
	ds_load_u16 v13, v136 offset:512
	ds_load_u16 v14, v136 offset:1024
	ds_load_u16 v15, v136 offset:1536
	s_cmp_eq_u32 s4, 1
	s_mul_i32 s3, s33, s34
	s_cselect_b32 s1, -1, 0
	s_add_i32 s3, s3, s15
	s_delay_alu instid0(SALU_CYCLE_1) | instskip(NEXT) | instid1(SALU_CYCLE_1)
	s_mul_i32 s3, s3, s35
	s_add_i32 s3, s3, s12
	s_delay_alu instid0(SALU_CYCLE_1) | instskip(NEXT) | instid1(SALU_CYCLE_1)
	s_mul_i32 s5, s4, s3
	s_add_i32 s5, s5, s14
	s_waitcnt lgkmcnt(7)
	ds_bpermute_b32 v12, v2, v1
	s_waitcnt lgkmcnt(7)
	v_cvt_f32_f16_e32 v8, v8
	s_waitcnt lgkmcnt(6)
	v_cvt_f32_f16_e32 v9, v9
	;; [unrolled: 2-line block ×5, first 2 shown]
	v_add_f32_e32 v8, 0, v8
	v_cvt_f32_f16_e32 v11, v11
	s_delay_alu instid0(VALU_DEP_2) | instskip(SKIP_3) | instid1(VALU_DEP_1)
	v_add_f32_e32 v8, v8, v13
	ds_load_u16 v13, v136 offset:1792
	s_waitcnt lgkmcnt(1)
	v_dual_add_f32 v8, v8, v14 :: v_dual_add_f32 v1, v1, v12
	v_add_f32_e32 v14, v8, v15
	v_add_f32_e32 v8, 0, v11
	ds_bpermute_b32 v12, v3, v1
	s_waitcnt lgkmcnt(1)
	v_cvt_f32_f16_e32 v11, v13
	s_waitcnt lgkmcnt(0)
	v_add_f32_e32 v1, v1, v12
	ds_bpermute_b32 v12, v4, v1
	s_waitcnt lgkmcnt(0)
	v_add_f32_e32 v1, v1, v12
	ds_bpermute_b32 v12, v6, v1
	;; [unrolled: 3-line block ×3, first 2 shown]
	s_waitcnt lgkmcnt(0)
	v_add_f32_e32 v59, v1, v12
	v_cvt_f32_f16_e32 v1, v10
	s_delay_alu instid0(VALU_DEP_2) | instskip(NEXT) | instid1(VALU_DEP_2)
	v_div_scale_f32 v10, null, v59, v59, v14
	v_add_f32_e32 v1, v8, v1
	v_div_scale_f32 v12, vcc_lo, v14, v59, v14
	s_delay_alu instid0(VALU_DEP_3) | instskip(NEXT) | instid1(VALU_DEP_2)
	v_rcp_f32_e32 v8, v10
	v_add_f32_e32 v1, v1, v9
	s_delay_alu instid0(VALU_DEP_1) | instskip(SKIP_3) | instid1(VALU_DEP_2)
	v_add_f32_e32 v1, v1, v11
	s_waitcnt_depctr 0xfff
	v_fma_f32 v9, -v10, v8, 1.0
	v_div_scale_f32 v11, null, v59, v59, v1
	v_fmac_f32_e32 v8, v9, v8
	s_delay_alu instid0(VALU_DEP_2) | instskip(NEXT) | instid1(VALU_DEP_1)
	v_rcp_f32_e32 v13, v11
	v_mul_f32_e32 v9, v12, v8
	s_delay_alu instid0(VALU_DEP_1) | instskip(SKIP_4) | instid1(VALU_DEP_3)
	v_fma_f32 v15, -v10, v9, v12
	s_waitcnt_depctr 0xfff
	v_fma_f32 v16, -v11, v13, 1.0
	v_fmac_f32_e32 v9, v15, v8
	v_div_scale_f32 v15, s2, v1, v59, v1
	v_fmac_f32_e32 v13, v16, v13
	s_delay_alu instid0(VALU_DEP_3) | instskip(NEXT) | instid1(VALU_DEP_2)
	v_fma_f32 v10, -v10, v9, v12
	v_mul_f32_e32 v12, v15, v13
	s_delay_alu instid0(VALU_DEP_2) | instskip(SKIP_2) | instid1(VALU_DEP_2)
	v_div_fmas_f32 v8, v10, v8, v9
	s_mov_b32 vcc_lo, s2
	s_or_b32 s2, s15, 1
	v_fma_f32 v9, -v11, v12, v15
	s_cmp_ge_i32 s2, s34
	v_div_fixup_f32 v10, v8, v59, v14
	v_lshl_or_b32 v8, s5, 8, v32
	s_delay_alu instid0(VALU_DEP_3) | instskip(NEXT) | instid1(VALU_DEP_3)
	v_dual_fmac_f32 v12, v9, v13 :: v_dual_mov_b32 v9, 0
	v_cndmask_b32_e64 v10, v14, v10, s1
	s_delay_alu instid0(VALU_DEP_2) | instskip(NEXT) | instid1(VALU_DEP_3)
	v_fma_f32 v11, -v11, v12, v15
	v_lshlrev_b64 v[8:9], 2, v[8:9]
	s_delay_alu instid0(VALU_DEP_2) | instskip(NEXT) | instid1(VALU_DEP_2)
	v_div_fmas_f32 v11, v11, v13, v12
	v_add_co_u32 v8, vcc_lo, s28, v8
	s_delay_alu instid0(VALU_DEP_3) | instskip(NEXT) | instid1(VALU_DEP_3)
	v_add_co_ci_u32_e32 v9, vcc_lo, s29, v9, vcc_lo
	v_div_fixup_f32 v11, v11, v59, v1
	s_delay_alu instid0(VALU_DEP_1)
	v_cndmask_b32_e64 v11, v1, v11, s1
	v_mov_b32_e32 v1, v130
	s_clause 0x1
	global_store_b32 v[8:9], v10, off
	global_store_b32 v[8:9], v11, off offset:512
	s_waitcnt_vscnt null, 0x0
	s_barrier
	buffer_gl0_inv
	s_cbranch_scc1 .LBB31_63
; %bb.60:
	v_or_b32_e32 v1, 0x800, v39
	ds_load_b32 v1, v1 offset:128
	s_waitcnt lgkmcnt(0)
	ds_bpermute_b32 v8, v2, v1
	s_waitcnt lgkmcnt(0)
	v_dual_max_f32 v1, v1, v1 :: v_dual_max_f32 v8, v8, v8
	s_delay_alu instid0(VALU_DEP_1) | instskip(SKIP_3) | instid1(VALU_DEP_1)
	v_max_f32_e32 v1, v1, v8
	ds_bpermute_b32 v8, v3, v1
	s_waitcnt lgkmcnt(0)
	v_max_f32_e32 v8, v8, v8
	v_max_f32_e32 v1, v1, v8
	ds_bpermute_b32 v8, v4, v1
	s_waitcnt lgkmcnt(0)
	v_max_f32_e32 v8, v8, v8
	s_delay_alu instid0(VALU_DEP_1) | instskip(SKIP_3) | instid1(VALU_DEP_1)
	v_max_f32_e32 v1, v1, v8
	ds_bpermute_b32 v8, v6, v1
	s_waitcnt lgkmcnt(0)
	v_max_f32_e32 v8, v8, v8
	v_max_f32_e32 v1, v1, v8
	ds_bpermute_b32 v8, v5, v1
	s_waitcnt lgkmcnt(0)
	v_max_f32_e32 v8, v8, v8
	s_delay_alu instid0(VALU_DEP_1) | instskip(NEXT) | instid1(VALU_DEP_1)
	v_max_f32_e32 v1, v1, v8
	v_sub_f32_e32 v8, v130, v1
	s_delay_alu instid0(VALU_DEP_1) | instskip(SKIP_1) | instid1(VALU_DEP_2)
	v_mul_f32_e32 v9, 0x3fb8aa3b, v8
	v_cmp_ngt_f32_e32 vcc_lo, 0xc2ce8ed0, v8
	v_fma_f32 v10, 0x3fb8aa3b, v8, -v9
	v_rndne_f32_e32 v11, v9
	s_delay_alu instid0(VALU_DEP_1) | instskip(NEXT) | instid1(VALU_DEP_1)
	v_dual_fmamk_f32 v10, v8, 0x32a5705f, v10 :: v_dual_sub_f32 v9, v9, v11
	v_add_f32_e32 v9, v9, v10
	v_cvt_i32_f32_e32 v10, v11
	ds_load_b128 v[11:14], v137 offset:16
	v_exp_f32_e32 v9, v9
	s_waitcnt_depctr 0xfff
	v_ldexp_f32 v9, v9, v10
	s_delay_alu instid0(VALU_DEP_1) | instskip(SKIP_1) | instid1(VALU_DEP_2)
	v_cndmask_b32_e32 v9, 0, v9, vcc_lo
	v_cmp_nlt_f32_e32 vcc_lo, 0x42b17218, v8
	v_cndmask_b32_e32 v8, 0x7f800000, v9, vcc_lo
	s_delay_alu instid0(VALU_DEP_1)
	v_mul_f32_e32 v9, v60, v8
	ds_bpermute_b32 v9, v2, v9
	s_waitcnt lgkmcnt(0)
	v_fmac_f32_e32 v9, v60, v8
	v_cvt_f16_f32_e32 v8, v8
	ds_bpermute_b32 v10, v3, v9
	v_pk_mul_f16 v11, v8, v11 op_sel_hi:[0,1]
	v_pk_mul_f16 v12, v8, v12 op_sel_hi:[0,1]
	v_pk_mul_f16 v13, v8, v13 op_sel_hi:[0,1]
	v_pk_mul_f16 v14, v8, v14 op_sel_hi:[0,1]
	v_add_nc_u32_e32 v8, 0x900, v39
	ds_store_b128 v137, v[11:14] offset:16
	ds_store_2addr_b64 v7, v[11:12], v[13:14] offset1:32
	s_waitcnt lgkmcnt(2)
	v_add_f32_e32 v9, v9, v10
	ds_bpermute_b32 v10, v4, v9
	s_waitcnt lgkmcnt(0)
	v_add_f32_e32 v9, v9, v10
	ds_bpermute_b32 v10, v6, v9
	;; [unrolled: 3-line block ×3, first 2 shown]
	s_and_saveexec_b32 s2, s0
	s_cbranch_execz .LBB31_62
; %bb.61:
	v_lshlrev_b32_e32 v7, 2, v35
	s_waitcnt lgkmcnt(0)
	v_add_f32_e32 v9, v9, v10
	ds_store_b32 v7, v9 offset:2432
.LBB31_62:
	s_or_b32 exec_lo, exec_lo, s2
	s_waitcnt lgkmcnt(0)
	s_barrier
	buffer_gl0_inv
	ds_load_b32 v7, v8 offset:128
	ds_load_u16 v8, v136
	ds_load_u16 v9, v136 offset:1280
	ds_load_u16 v10, v136 offset:768
	;; [unrolled: 1-line block ×3, first 2 shown]
	s_add_i32 s3, s3, s35
	s_delay_alu instid0(SALU_CYCLE_1) | instskip(NEXT) | instid1(SALU_CYCLE_1)
	s_mul_i32 s2, s4, s3
	s_add_i32 s2, s2, s14
	s_waitcnt lgkmcnt(4)
	ds_bpermute_b32 v2, v2, v7
	s_waitcnt lgkmcnt(4)
	v_cvt_f32_f16_e32 v8, v8
	s_waitcnt lgkmcnt(2)
	v_cvt_f32_f16_e32 v10, v10
	;; [unrolled: 2-line block ×3, first 2 shown]
	s_waitcnt lgkmcnt(0)
	s_delay_alu instid0(VALU_DEP_1)
	v_dual_add_f32 v11, 0, v11 :: v_dual_add_f32 v2, v7, v2
	ds_bpermute_b32 v3, v3, v2
	s_waitcnt lgkmcnt(0)
	v_add_f32_e32 v2, v2, v3
	ds_bpermute_b32 v3, v4, v2
	s_waitcnt lgkmcnt(0)
	v_add_f32_e32 v2, v2, v3
	ds_bpermute_b32 v3, v6, v2
	ds_load_u16 v4, v136 offset:512
	ds_load_u16 v6, v136 offset:1024
	;; [unrolled: 1-line block ×3, first 2 shown]
	s_waitcnt lgkmcnt(2)
	v_cvt_f32_f16_e32 v4, v4
	v_add_f32_e32 v2, v2, v3
	ds_load_u16 v3, v136 offset:1792
	s_waitcnt lgkmcnt(2)
	v_cvt_f32_f16_e32 v6, v6
	s_waitcnt lgkmcnt(1)
	v_cvt_f32_f16_e32 v7, v7
	ds_bpermute_b32 v5, v5, v2
	s_waitcnt lgkmcnt(1)
	v_cvt_f32_f16_e32 v3, v3
	v_add_f32_e32 v8, 0, v8
	s_waitcnt lgkmcnt(0)
	v_add_f32_e32 v60, v2, v5
	s_delay_alu instid0(VALU_DEP_2) | instskip(SKIP_2) | instid1(VALU_DEP_3)
	v_add_f32_e32 v4, v8, v4
	v_cvt_f32_f16_e32 v8, v9
	v_add_f32_e32 v9, v11, v10
	v_add_f32_e32 v4, v4, v6
	s_delay_alu instid0(VALU_DEP_2) | instskip(NEXT) | instid1(VALU_DEP_2)
	v_add_f32_e32 v6, v9, v8
	v_add_f32_e32 v4, v4, v7
	s_delay_alu instid0(VALU_DEP_2) | instskip(NEXT) | instid1(VALU_DEP_2)
	v_add_f32_e32 v5, v6, v3
	v_div_scale_f32 v2, null, v60, v60, v4
	s_delay_alu instid0(VALU_DEP_2) | instskip(SKIP_1) | instid1(VALU_DEP_3)
	v_div_scale_f32 v6, null, v60, v60, v5
	v_div_scale_f32 v10, vcc_lo, v4, v60, v4
	v_rcp_f32_e32 v7, v2
	s_delay_alu instid0(VALU_DEP_2) | instskip(SKIP_4) | instid1(VALU_DEP_1)
	v_rcp_f32_e32 v8, v6
	v_div_scale_f32 v11, s0, v5, v60, v5
	s_waitcnt_depctr 0xfff
	v_fma_f32 v3, -v2, v7, 1.0
	v_fma_f32 v9, -v6, v8, 1.0
	v_dual_fmac_f32 v7, v3, v7 :: v_dual_fmac_f32 v8, v9, v8
	s_delay_alu instid0(VALU_DEP_1) | instskip(NEXT) | instid1(VALU_DEP_1)
	v_dual_mul_f32 v9, v10, v7 :: v_dual_mul_f32 v12, v11, v8
	v_fma_f32 v3, -v2, v9, v10
	s_delay_alu instid0(VALU_DEP_2) | instskip(NEXT) | instid1(VALU_DEP_1)
	v_fma_f32 v13, -v6, v12, v11
	v_dual_fmac_f32 v9, v3, v7 :: v_dual_fmac_f32 v12, v13, v8
	v_mov_b32_e32 v3, 0
	s_delay_alu instid0(VALU_DEP_2) | instskip(NEXT) | instid1(VALU_DEP_3)
	v_fma_f32 v10, -v2, v9, v10
	v_fma_f32 v6, -v6, v12, v11
	v_lshl_or_b32 v2, s2, 8, v32
	s_delay_alu instid0(VALU_DEP_3) | instskip(SKIP_1) | instid1(VALU_DEP_2)
	v_div_fmas_f32 v7, v10, v7, v9
	s_mov_b32 vcc_lo, s0
	v_lshlrev_b64 v[2:3], 2, v[2:3]
	v_div_fmas_f32 v6, v6, v8, v12
	s_delay_alu instid0(VALU_DEP_3) | instskip(NEXT) | instid1(VALU_DEP_2)
	v_div_fixup_f32 v7, v7, v60, v4
	v_div_fixup_f32 v6, v6, v60, v5
	s_delay_alu instid0(VALU_DEP_4) | instskip(SKIP_1) | instid1(VALU_DEP_4)
	v_add_co_u32 v2, vcc_lo, s28, v2
	v_add_co_ci_u32_e32 v3, vcc_lo, s29, v3, vcc_lo
	v_cndmask_b32_e64 v4, v4, v7, s1
	s_delay_alu instid0(VALU_DEP_4)
	v_cndmask_b32_e64 v5, v5, v6, s1
	s_clause 0x1
	global_store_b32 v[2:3], v4, off
	global_store_b32 v[2:3], v5, off offset:512
.LBB31_63:
	v_dual_mov_b32 v130, v1 :: v_dual_mov_b32 v129, v0
.LBB31_64:
	v_or_b32_e32 v0, s15, v38
	v_cmp_gt_u32_e32 vcc_lo, 2, v32
	s_waitcnt lgkmcnt(0)
	s_cmp_lg_u32 s4, 1
	s_cselect_b32 s1, -1, 0
	v_cmp_gt_i32_e64 s0, s34, v0
	s_and_b32 s1, vcc_lo, s1
	s_delay_alu instid0(VALU_DEP_1) | instid1(SALU_CYCLE_1)
	s_and_b32 s0, s1, s0
	s_delay_alu instid0(SALU_CYCLE_1)
	s_and_saveexec_b32 s1, s0
	s_cbranch_execz .LBB31_66
; %bb.65:
	v_mad_u64_u32 v[1:2], null, s33, s34, v[0:1]
	v_cmp_eq_u32_e32 vcc_lo, 1, v32
	s_delay_alu instid0(VALU_DEP_2) | instskip(SKIP_1) | instid1(VALU_DEP_2)
	v_mad_u64_u32 v[2:3], null, v1, s35, s[12:13]
	v_cndmask_b32_e32 v3, v59, v60, vcc_lo
	v_mad_u64_u32 v[0:1], null, s4, v2, s[14:15]
	v_dual_mov_b32 v1, 0 :: v_dual_cndmask_b32 v2, v129, v130
	s_delay_alu instid0(VALU_DEP_1) | instskip(NEXT) | instid1(VALU_DEP_1)
	v_lshlrev_b64 v[0:1], 3, v[0:1]
	v_add_co_u32 v0, vcc_lo, s30, v0
	s_delay_alu instid0(VALU_DEP_2)
	v_add_co_ci_u32_e32 v1, vcc_lo, s31, v1, vcc_lo
	global_store_b64 v[0:1], v[2:3], off
.LBB31_66:
	s_nop 0
	s_sendmsg sendmsg(MSG_DEALLOC_VGPRS)
	s_endpgm
	.section	.rodata,"a",@progbits
	.p2align	6, 0x0
	.amdhsa_kernel _ZL18flash_attn_ext_vecILi256ELi2EL9ggml_type6ELS0_3ELb1EEvPKcS2_S2_S2_S2_PKiPfP15HIP_vector_typeIfLj2EEffffjfiS6_IjLj3EEiiiiiiiiiiiliiliiiiil
		.amdhsa_group_segment_fixed_size 6656
		.amdhsa_private_segment_fixed_size 40
		.amdhsa_kernarg_size 464
		.amdhsa_user_sgpr_count 13
		.amdhsa_user_sgpr_dispatch_ptr 1
		.amdhsa_user_sgpr_queue_ptr 0
		.amdhsa_user_sgpr_kernarg_segment_ptr 1
		.amdhsa_user_sgpr_dispatch_id 0
		.amdhsa_user_sgpr_private_segment_size 0
		.amdhsa_wavefront_size32 1
		.amdhsa_uses_dynamic_stack 0
		.amdhsa_enable_private_segment 1
		.amdhsa_system_sgpr_workgroup_id_x 1
		.amdhsa_system_sgpr_workgroup_id_y 1
		.amdhsa_system_sgpr_workgroup_id_z 1
		.amdhsa_system_sgpr_workgroup_info 0
		.amdhsa_system_vgpr_workitem_id 2
		.amdhsa_next_free_vgpr 256
		.amdhsa_next_free_sgpr 48
		.amdhsa_reserve_vcc 1
		.amdhsa_float_round_mode_32 0
		.amdhsa_float_round_mode_16_64 0
		.amdhsa_float_denorm_mode_32 3
		.amdhsa_float_denorm_mode_16_64 3
		.amdhsa_dx10_clamp 1
		.amdhsa_ieee_mode 1
		.amdhsa_fp16_overflow 0
		.amdhsa_workgroup_processor_mode 1
		.amdhsa_memory_ordered 1
		.amdhsa_forward_progress 0
		.amdhsa_shared_vgpr_count 0
		.amdhsa_exception_fp_ieee_invalid_op 0
		.amdhsa_exception_fp_denorm_src 0
		.amdhsa_exception_fp_ieee_div_zero 0
		.amdhsa_exception_fp_ieee_overflow 0
		.amdhsa_exception_fp_ieee_underflow 0
		.amdhsa_exception_fp_ieee_inexact 0
		.amdhsa_exception_int_div_zero 0
	.end_amdhsa_kernel
	.section	.text._ZL18flash_attn_ext_vecILi256ELi2EL9ggml_type6ELS0_3ELb1EEvPKcS2_S2_S2_S2_PKiPfP15HIP_vector_typeIfLj2EEffffjfiS6_IjLj3EEiiiiiiiiiiiliiliiiiil,"axG",@progbits,_ZL18flash_attn_ext_vecILi256ELi2EL9ggml_type6ELS0_3ELb1EEvPKcS2_S2_S2_S2_PKiPfP15HIP_vector_typeIfLj2EEffffjfiS6_IjLj3EEiiiiiiiiiiiliiliiiiil,comdat
.Lfunc_end31:
	.size	_ZL18flash_attn_ext_vecILi256ELi2EL9ggml_type6ELS0_3ELb1EEvPKcS2_S2_S2_S2_PKiPfP15HIP_vector_typeIfLj2EEffffjfiS6_IjLj3EEiiiiiiiiiiiliiliiiiil, .Lfunc_end31-_ZL18flash_attn_ext_vecILi256ELi2EL9ggml_type6ELS0_3ELb1EEvPKcS2_S2_S2_S2_PKiPfP15HIP_vector_typeIfLj2EEffffjfiS6_IjLj3EEiiiiiiiiiiiliiliiiiil
                                        ; -- End function
	.section	.AMDGPU.csdata,"",@progbits
; Kernel info:
; codeLenInByte = 33672
; NumSgprs: 50
; NumVgprs: 256
; ScratchSize: 40
; MemoryBound: 0
; FloatMode: 240
; IeeeMode: 1
; LDSByteSize: 6656 bytes/workgroup (compile time only)
; SGPRBlocks: 6
; VGPRBlocks: 31
; NumSGPRsForWavesPerEU: 50
; NumVGPRsForWavesPerEU: 256
; Occupancy: 5
; WaveLimiterHint : 0
; COMPUTE_PGM_RSRC2:SCRATCH_EN: 1
; COMPUTE_PGM_RSRC2:USER_SGPR: 13
; COMPUTE_PGM_RSRC2:TRAP_HANDLER: 0
; COMPUTE_PGM_RSRC2:TGID_X_EN: 1
; COMPUTE_PGM_RSRC2:TGID_Y_EN: 1
; COMPUTE_PGM_RSRC2:TGID_Z_EN: 1
; COMPUTE_PGM_RSRC2:TIDIG_COMP_CNT: 2
	.text
	.p2alignl 7, 3214868480
	.fill 96, 4, 3214868480
	.type	.str.1,@object                  ; @.str.1
	.section	.rodata.str1.1,"aMS",@progbits,1
.str.1:
	.asciz	"/root/src/amdgpu-assembly/repos/ggml-org__llama.cpp/ggml/src/ggml-cuda/template-instances/../fattn-vec.cuh"
	.size	.str.1, 107

	.type	__FUNCTION__._ZL18flash_attn_ext_vecILi64ELi1EL9ggml_type6ELS0_3ELb1EEvPKcS2_S2_S2_S2_PKiPfP15HIP_vector_typeIfLj2EEffffjfiS6_IjLj3EEiiiiiiiiiiiliiliiiiil,@object ; @__FUNCTION__._ZL18flash_attn_ext_vecILi64ELi1EL9ggml_type6ELS0_3ELb1EEvPKcS2_S2_S2_S2_PKiPfP15HIP_vector_typeIfLj2EEffffjfiS6_IjLj3EEiiiiiiiiiiiliiliiiiil
__FUNCTION__._ZL18flash_attn_ext_vecILi64ELi1EL9ggml_type6ELS0_3ELb1EEvPKcS2_S2_S2_S2_PKiPfP15HIP_vector_typeIfLj2EEffffjfiS6_IjLj3EEiiiiiiiiiiiliiliiiiil:
	.asciz	"flash_attn_ext_vec"
	.size	__FUNCTION__._ZL18flash_attn_ext_vecILi64ELi1EL9ggml_type6ELS0_3ELb1EEvPKcS2_S2_S2_S2_PKiPfP15HIP_vector_typeIfLj2EEffffjfiS6_IjLj3EEiiiiiiiiiiiliiliiiiil, 19

	.type	.str.3,@object                  ; @.str.3
.str.3:
	.asciz	"%s:%d: ERROR: HIP kernel %s has no device code compatible with HIP arch %d.\n"
	.size	.str.3, 77

	.type	__hip_cuid_10dafde1ad5fa823,@object ; @__hip_cuid_10dafde1ad5fa823
	.section	.bss,"aw",@nobits
	.globl	__hip_cuid_10dafde1ad5fa823
__hip_cuid_10dafde1ad5fa823:
	.byte	0                               ; 0x0
	.size	__hip_cuid_10dafde1ad5fa823, 1

	.ident	"AMD clang version 19.0.0git (https://github.com/RadeonOpenCompute/llvm-project roc-6.4.0 25133 c7fe45cf4b819c5991fe208aaa96edf142730f1d)"
	.section	".note.GNU-stack","",@progbits
	.addrsig
	.addrsig_sym __hip_cuid_10dafde1ad5fa823
	.amdgpu_metadata
---
amdhsa.kernels:
  - .args:
      - .address_space:  global
        .offset:         0
        .size:           8
        .value_kind:     global_buffer
      - .address_space:  global
        .offset:         8
        .size:           8
        .value_kind:     global_buffer
      - .address_space:  global
        .offset:         16
        .size:           8
        .value_kind:     global_buffer
      - .address_space:  global
        .offset:         24
        .size:           8
        .value_kind:     global_buffer
      - .address_space:  global
        .offset:         32
        .size:           8
        .value_kind:     global_buffer
      - .address_space:  global
        .offset:         40
        .size:           8
        .value_kind:     global_buffer
      - .address_space:  global
        .offset:         48
        .size:           8
        .value_kind:     global_buffer
      - .address_space:  global
        .offset:         56
        .size:           8
        .value_kind:     global_buffer
      - .offset:         64
        .size:           4
        .value_kind:     by_value
      - .offset:         68
        .size:           4
        .value_kind:     by_value
      - .offset:         72
        .size:           4
        .value_kind:     by_value
      - .offset:         76
        .size:           4
        .value_kind:     by_value
      - .offset:         80
        .size:           4
        .value_kind:     by_value
      - .offset:         84
        .size:           4
        .value_kind:     by_value
      - .offset:         88
        .size:           4
        .value_kind:     by_value
      - .offset:         92
        .size:           12
        .value_kind:     by_value
      - .offset:         104
        .size:           4
        .value_kind:     by_value
      - .offset:         108
        .size:           4
        .value_kind:     by_value
      - .offset:         112
        .size:           4
        .value_kind:     by_value
      - .offset:         116
        .size:           4
        .value_kind:     by_value
      - .offset:         120
        .size:           4
        .value_kind:     by_value
      - .offset:         124
        .size:           4
        .value_kind:     by_value
      - .offset:         128
        .size:           4
        .value_kind:     by_value
      - .offset:         132
        .size:           4
        .value_kind:     by_value
      - .offset:         136
        .size:           4
        .value_kind:     by_value
      - .offset:         140
        .size:           4
        .value_kind:     by_value
      - .offset:         144
        .size:           4
        .value_kind:     by_value
      - .offset:         152
        .size:           8
        .value_kind:     by_value
      - .offset:         160
        .size:           4
        .value_kind:     by_value
      - .offset:         164
        .size:           4
        .value_kind:     by_value
      - .offset:         168
        .size:           8
        .value_kind:     by_value
      - .offset:         176
        .size:           4
        .value_kind:     by_value
      - .offset:         180
        .size:           4
        .value_kind:     by_value
      - .offset:         184
        .size:           4
        .value_kind:     by_value
      - .offset:         188
        .size:           4
        .value_kind:     by_value
      - .offset:         192
        .size:           4
        .value_kind:     by_value
      - .offset:         200
        .size:           8
        .value_kind:     by_value
      - .offset:         208
        .size:           4
        .value_kind:     hidden_block_count_x
      - .offset:         212
        .size:           4
        .value_kind:     hidden_block_count_y
      - .offset:         216
        .size:           4
        .value_kind:     hidden_block_count_z
      - .offset:         220
        .size:           2
        .value_kind:     hidden_group_size_x
      - .offset:         222
        .size:           2
        .value_kind:     hidden_group_size_y
      - .offset:         224
        .size:           2
        .value_kind:     hidden_group_size_z
      - .offset:         226
        .size:           2
        .value_kind:     hidden_remainder_x
      - .offset:         228
        .size:           2
        .value_kind:     hidden_remainder_y
      - .offset:         230
        .size:           2
        .value_kind:     hidden_remainder_z
      - .offset:         248
        .size:           8
        .value_kind:     hidden_global_offset_x
      - .offset:         256
        .size:           8
        .value_kind:     hidden_global_offset_y
      - .offset:         264
        .size:           8
        .value_kind:     hidden_global_offset_z
      - .offset:         272
        .size:           2
        .value_kind:     hidden_grid_dims
    .group_segment_fixed_size: 1280
    .kernarg_segment_align: 8
    .kernarg_segment_size: 464
    .language:       OpenCL C
    .language_version:
      - 2
      - 0
    .max_flat_workgroup_size: 128
    .name:           _ZL18flash_attn_ext_vecILi64ELi1EL9ggml_type6ELS0_3ELb0EEvPKcS2_S2_S2_S2_PKiPfP15HIP_vector_typeIfLj2EEffffjfiS6_IjLj3EEiiiiiiiiiiiliiliiiiil
    .private_segment_fixed_size: 0
    .sgpr_count:     54
    .sgpr_spill_count: 0
    .symbol:         _ZL18flash_attn_ext_vecILi64ELi1EL9ggml_type6ELS0_3ELb0EEvPKcS2_S2_S2_S2_PKiPfP15HIP_vector_typeIfLj2EEffffjfiS6_IjLj3EEiiiiiiiiiiiliiliiiiil.kd
    .uniform_work_group_size: 1
    .uses_dynamic_stack: false
    .vgpr_count:     131
    .vgpr_spill_count: 0
    .wavefront_size: 32
    .workgroup_processor_mode: 1
  - .args:
      - .actual_access:  read_only
        .address_space:  global
        .offset:         0
        .size:           8
        .value_kind:     global_buffer
      - .actual_access:  write_only
        .address_space:  global
        .offset:         8
        .size:           8
        .value_kind:     global_buffer
      - .offset:         16
        .size:           4
        .value_kind:     by_value
      - .offset:         20
        .size:           4
        .value_kind:     by_value
      - .offset:         24
        .size:           4
        .value_kind:     by_value
      - .offset:         32
        .size:           4
        .value_kind:     hidden_block_count_x
      - .offset:         36
        .size:           4
        .value_kind:     hidden_block_count_y
      - .offset:         40
        .size:           4
        .value_kind:     hidden_block_count_z
      - .offset:         44
        .size:           2
        .value_kind:     hidden_group_size_x
      - .offset:         46
        .size:           2
        .value_kind:     hidden_group_size_y
      - .offset:         48
        .size:           2
        .value_kind:     hidden_group_size_z
      - .offset:         50
        .size:           2
        .value_kind:     hidden_remainder_x
      - .offset:         52
        .size:           2
        .value_kind:     hidden_remainder_y
      - .offset:         54
        .size:           2
        .value_kind:     hidden_remainder_z
      - .offset:         72
        .size:           8
        .value_kind:     hidden_global_offset_x
      - .offset:         80
        .size:           8
        .value_kind:     hidden_global_offset_y
      - .offset:         88
        .size:           8
        .value_kind:     hidden_global_offset_z
      - .offset:         96
        .size:           2
        .value_kind:     hidden_grid_dims
    .group_segment_fixed_size: 128
    .kernarg_segment_align: 8
    .kernarg_segment_size: 288
    .language:       OpenCL C
    .language_version:
      - 2
      - 0
    .max_flat_workgroup_size: 128
    .name:           _ZL25flash_attn_mask_to_KV_maxILi1EEvPK7__half2Piiii
    .private_segment_fixed_size: 0
    .sgpr_count:     18
    .sgpr_spill_count: 0
    .symbol:         _ZL25flash_attn_mask_to_KV_maxILi1EEvPK7__half2Piiii.kd
    .uniform_work_group_size: 1
    .uses_dynamic_stack: false
    .vgpr_count:     7
    .vgpr_spill_count: 0
    .wavefront_size: 32
    .workgroup_processor_mode: 1
  - .args:
      - .address_space:  global
        .offset:         0
        .size:           8
        .value_kind:     global_buffer
      - .address_space:  global
        .offset:         8
        .size:           8
        .value_kind:     global_buffer
      - .offset:         16
        .size:           4
        .value_kind:     by_value
      - .offset:         20
        .size:           4
        .value_kind:     by_value
      - .offset:         24
        .size:           4
        .value_kind:     by_value
      - .offset:         28
        .size:           4
        .value_kind:     by_value
      - .offset:         32
        .size:           4
        .value_kind:     by_value
      - .offset:         36
        .size:           4
        .value_kind:     by_value
      - .offset:         40
        .size:           12
        .value_kind:     by_value
      - .offset:         52
        .size:           12
        .value_kind:     by_value
      - .offset:         64
        .size:           12
        .value_kind:     by_value
    .group_segment_fixed_size: 0
    .kernarg_segment_align: 8
    .kernarg_segment_size: 76
    .language:       OpenCL C
    .language_version:
      - 2
      - 0
    .max_flat_workgroup_size: 64
    .name:           _ZL33flash_attn_stream_k_fixup_uniformILi64ELi1ELi1EEvPfPK15HIP_vector_typeIfLj2EEiiiiiiS1_IjLj3EES5_S5_
    .private_segment_fixed_size: 0
    .sgpr_count:     22
    .sgpr_spill_count: 0
    .symbol:         _ZL33flash_attn_stream_k_fixup_uniformILi64ELi1ELi1EEvPfPK15HIP_vector_typeIfLj2EEiiiiiiS1_IjLj3EES5_S5_.kd
    .uniform_work_group_size: 1
    .uses_dynamic_stack: false
    .vgpr_count:     15
    .vgpr_spill_count: 0
    .wavefront_size: 32
    .workgroup_processor_mode: 1
  - .args:
      - .address_space:  global
        .offset:         0
        .size:           8
        .value_kind:     global_buffer
      - .address_space:  global
        .offset:         8
        .size:           8
        .value_kind:     global_buffer
      - .offset:         16
        .size:           4
        .value_kind:     by_value
      - .offset:         20
        .size:           4
        .value_kind:     by_value
      - .offset:         24
        .size:           4
        .value_kind:     by_value
      - .offset:         28
        .size:           4
        .value_kind:     by_value
      - .offset:         32
        .size:           12
        .value_kind:     by_value
      - .offset:         44
        .size:           12
        .value_kind:     by_value
      - .offset:         56
        .size:           12
        .value_kind:     by_value
      - .offset:         68
        .size:           12
        .value_kind:     by_value
      - .offset:         80
        .size:           4
        .value_kind:     hidden_block_count_x
      - .offset:         84
        .size:           4
        .value_kind:     hidden_block_count_y
      - .offset:         88
        .size:           4
        .value_kind:     hidden_block_count_z
      - .offset:         92
        .size:           2
        .value_kind:     hidden_group_size_x
      - .offset:         94
        .size:           2
        .value_kind:     hidden_group_size_y
      - .offset:         96
        .size:           2
        .value_kind:     hidden_group_size_z
      - .offset:         98
        .size:           2
        .value_kind:     hidden_remainder_x
      - .offset:         100
        .size:           2
        .value_kind:     hidden_remainder_y
      - .offset:         102
        .size:           2
        .value_kind:     hidden_remainder_z
      - .offset:         120
        .size:           8
        .value_kind:     hidden_global_offset_x
      - .offset:         128
        .size:           8
        .value_kind:     hidden_global_offset_y
      - .offset:         136
        .size:           8
        .value_kind:     hidden_global_offset_z
      - .offset:         144
        .size:           2
        .value_kind:     hidden_grid_dims
    .group_segment_fixed_size: 0
    .kernarg_segment_align: 8
    .kernarg_segment_size: 336
    .language:       OpenCL C
    .language_version:
      - 2
      - 0
    .max_flat_workgroup_size: 64
    .name:           _ZL33flash_attn_stream_k_fixup_generalILi64ELi1ELi1EEvPfPK15HIP_vector_typeIfLj2EEiiiiS1_IjLj3EES5_S5_S5_
    .private_segment_fixed_size: 0
    .sgpr_count:     34
    .sgpr_spill_count: 0
    .symbol:         _ZL33flash_attn_stream_k_fixup_generalILi64ELi1ELi1EEvPfPK15HIP_vector_typeIfLj2EEiiiiS1_IjLj3EES5_S5_S5_.kd
    .uniform_work_group_size: 1
    .uses_dynamic_stack: false
    .vgpr_count:     19
    .vgpr_spill_count: 0
    .wavefront_size: 32
    .workgroup_processor_mode: 1
  - .args:
      - .address_space:  global
        .offset:         0
        .size:           8
        .value_kind:     global_buffer
      - .address_space:  global
        .offset:         8
        .size:           8
        .value_kind:     global_buffer
      - .address_space:  global
        .offset:         16
        .size:           8
        .value_kind:     global_buffer
      - .offset:         24
        .size:           4
        .value_kind:     by_value
      - .offset:         32
        .size:           4
        .value_kind:     hidden_block_count_x
      - .offset:         36
        .size:           4
        .value_kind:     hidden_block_count_y
      - .offset:         40
        .size:           4
        .value_kind:     hidden_block_count_z
      - .offset:         44
        .size:           2
        .value_kind:     hidden_group_size_x
      - .offset:         46
        .size:           2
        .value_kind:     hidden_group_size_y
      - .offset:         48
        .size:           2
        .value_kind:     hidden_group_size_z
      - .offset:         50
        .size:           2
        .value_kind:     hidden_remainder_x
      - .offset:         52
        .size:           2
        .value_kind:     hidden_remainder_y
      - .offset:         54
        .size:           2
        .value_kind:     hidden_remainder_z
      - .offset:         72
        .size:           8
        .value_kind:     hidden_global_offset_x
      - .offset:         80
        .size:           8
        .value_kind:     hidden_global_offset_y
      - .offset:         88
        .size:           8
        .value_kind:     hidden_global_offset_z
      - .offset:         96
        .size:           2
        .value_kind:     hidden_grid_dims
      - .offset:         152
        .size:           4
        .value_kind:     hidden_dynamic_lds_size
    .group_segment_fixed_size: 0
    .kernarg_segment_align: 8
    .kernarg_segment_size: 288
    .language:       OpenCL C
    .language_version:
      - 2
      - 0
    .max_flat_workgroup_size: 64
    .name:           _ZL26flash_attn_combine_resultsILi64EEvPKfPK15HIP_vector_typeIfLj2EEPfi
    .private_segment_fixed_size: 0
    .sgpr_count:     18
    .sgpr_spill_count: 0
    .symbol:         _ZL26flash_attn_combine_resultsILi64EEvPKfPK15HIP_vector_typeIfLj2EEPfi.kd
    .uniform_work_group_size: 1
    .uses_dynamic_stack: false
    .vgpr_count:     55
    .vgpr_spill_count: 0
    .wavefront_size: 32
    .workgroup_processor_mode: 1
  - .args:
      - .address_space:  global
        .offset:         0
        .size:           8
        .value_kind:     global_buffer
      - .address_space:  global
        .offset:         8
        .size:           8
        .value_kind:     global_buffer
      - .address_space:  global
        .offset:         16
        .size:           8
        .value_kind:     global_buffer
      - .address_space:  global
        .offset:         24
        .size:           8
        .value_kind:     global_buffer
      - .address_space:  global
        .offset:         32
        .size:           8
        .value_kind:     global_buffer
      - .address_space:  global
        .offset:         40
        .size:           8
        .value_kind:     global_buffer
      - .address_space:  global
        .offset:         48
        .size:           8
        .value_kind:     global_buffer
      - .address_space:  global
        .offset:         56
        .size:           8
        .value_kind:     global_buffer
      - .offset:         64
        .size:           4
        .value_kind:     by_value
      - .offset:         68
        .size:           4
        .value_kind:     by_value
      - .offset:         72
        .size:           4
        .value_kind:     by_value
      - .offset:         76
        .size:           4
        .value_kind:     by_value
      - .offset:         80
        .size:           4
        .value_kind:     by_value
      - .offset:         84
        .size:           4
        .value_kind:     by_value
      - .offset:         88
        .size:           4
        .value_kind:     by_value
      - .offset:         92
        .size:           12
        .value_kind:     by_value
      - .offset:         104
        .size:           4
        .value_kind:     by_value
      - .offset:         108
        .size:           4
        .value_kind:     by_value
      - .offset:         112
        .size:           4
        .value_kind:     by_value
      - .offset:         116
        .size:           4
        .value_kind:     by_value
      - .offset:         120
        .size:           4
        .value_kind:     by_value
      - .offset:         124
        .size:           4
        .value_kind:     by_value
      - .offset:         128
        .size:           4
        .value_kind:     by_value
      - .offset:         132
        .size:           4
        .value_kind:     by_value
      - .offset:         136
        .size:           4
        .value_kind:     by_value
      - .offset:         140
        .size:           4
        .value_kind:     by_value
      - .offset:         144
        .size:           4
        .value_kind:     by_value
      - .offset:         152
        .size:           8
        .value_kind:     by_value
      - .offset:         160
        .size:           4
        .value_kind:     by_value
      - .offset:         164
        .size:           4
        .value_kind:     by_value
      - .offset:         168
        .size:           8
        .value_kind:     by_value
      - .offset:         176
        .size:           4
        .value_kind:     by_value
      - .offset:         180
        .size:           4
        .value_kind:     by_value
      - .offset:         184
        .size:           4
        .value_kind:     by_value
      - .offset:         188
        .size:           4
        .value_kind:     by_value
      - .offset:         192
        .size:           4
        .value_kind:     by_value
      - .offset:         200
        .size:           8
        .value_kind:     by_value
      - .offset:         208
        .size:           4
        .value_kind:     hidden_block_count_x
      - .offset:         212
        .size:           4
        .value_kind:     hidden_block_count_y
      - .offset:         216
        .size:           4
        .value_kind:     hidden_block_count_z
      - .offset:         220
        .size:           2
        .value_kind:     hidden_group_size_x
      - .offset:         222
        .size:           2
        .value_kind:     hidden_group_size_y
      - .offset:         224
        .size:           2
        .value_kind:     hidden_group_size_z
      - .offset:         226
        .size:           2
        .value_kind:     hidden_remainder_x
      - .offset:         228
        .size:           2
        .value_kind:     hidden_remainder_y
      - .offset:         230
        .size:           2
        .value_kind:     hidden_remainder_z
      - .offset:         248
        .size:           8
        .value_kind:     hidden_global_offset_x
      - .offset:         256
        .size:           8
        .value_kind:     hidden_global_offset_y
      - .offset:         264
        .size:           8
        .value_kind:     hidden_global_offset_z
      - .offset:         272
        .size:           2
        .value_kind:     hidden_grid_dims
      - .offset:         288
        .size:           8
        .value_kind:     hidden_hostcall_buffer
    .group_segment_fixed_size: 0
    .kernarg_segment_align: 8
    .kernarg_segment_size: 464
    .language:       OpenCL C
    .language_version:
      - 2
      - 0
    .max_flat_workgroup_size: 128
    .name:           _ZL18flash_attn_ext_vecILi64ELi1EL9ggml_type6ELS0_3ELb1EEvPKcS2_S2_S2_S2_PKiPfP15HIP_vector_typeIfLj2EEffffjfiS6_IjLj3EEiiiiiiiiiiiliiliiiiil
    .private_segment_fixed_size: 16
    .sgpr_count:     36
    .sgpr_spill_count: 0
    .symbol:         _ZL18flash_attn_ext_vecILi64ELi1EL9ggml_type6ELS0_3ELb1EEvPKcS2_S2_S2_S2_PKiPfP15HIP_vector_typeIfLj2EEffffjfiS6_IjLj3EEiiiiiiiiiiiliiliiiiil.kd
    .uniform_work_group_size: 1
    .uses_dynamic_stack: false
    .vgpr_count:     37
    .vgpr_spill_count: 0
    .wavefront_size: 32
    .workgroup_processor_mode: 1
  - .args:
      - .address_space:  global
        .offset:         0
        .size:           8
        .value_kind:     global_buffer
      - .address_space:  global
        .offset:         8
        .size:           8
        .value_kind:     global_buffer
      - .address_space:  global
        .offset:         16
        .size:           8
        .value_kind:     global_buffer
      - .address_space:  global
        .offset:         24
        .size:           8
        .value_kind:     global_buffer
      - .address_space:  global
        .offset:         32
        .size:           8
        .value_kind:     global_buffer
      - .address_space:  global
        .offset:         40
        .size:           8
        .value_kind:     global_buffer
      - .address_space:  global
        .offset:         48
        .size:           8
        .value_kind:     global_buffer
      - .address_space:  global
        .offset:         56
        .size:           8
        .value_kind:     global_buffer
      - .offset:         64
        .size:           4
        .value_kind:     by_value
      - .offset:         68
        .size:           4
        .value_kind:     by_value
      - .offset:         72
        .size:           4
        .value_kind:     by_value
      - .offset:         76
        .size:           4
        .value_kind:     by_value
      - .offset:         80
        .size:           4
        .value_kind:     by_value
      - .offset:         84
        .size:           4
        .value_kind:     by_value
      - .offset:         88
        .size:           4
        .value_kind:     by_value
      - .offset:         92
        .size:           12
        .value_kind:     by_value
      - .offset:         104
        .size:           4
        .value_kind:     by_value
      - .offset:         108
        .size:           4
        .value_kind:     by_value
      - .offset:         112
        .size:           4
        .value_kind:     by_value
      - .offset:         116
        .size:           4
        .value_kind:     by_value
      - .offset:         120
        .size:           4
        .value_kind:     by_value
      - .offset:         124
        .size:           4
        .value_kind:     by_value
      - .offset:         128
        .size:           4
        .value_kind:     by_value
      - .offset:         132
        .size:           4
        .value_kind:     by_value
      - .offset:         136
        .size:           4
        .value_kind:     by_value
      - .offset:         140
        .size:           4
        .value_kind:     by_value
      - .offset:         144
        .size:           4
        .value_kind:     by_value
      - .offset:         152
        .size:           8
        .value_kind:     by_value
      - .offset:         160
        .size:           4
        .value_kind:     by_value
      - .offset:         164
        .size:           4
        .value_kind:     by_value
      - .offset:         168
        .size:           8
        .value_kind:     by_value
      - .offset:         176
        .size:           4
        .value_kind:     by_value
      - .offset:         180
        .size:           4
        .value_kind:     by_value
      - .offset:         184
        .size:           4
        .value_kind:     by_value
      - .offset:         188
        .size:           4
        .value_kind:     by_value
      - .offset:         192
        .size:           4
        .value_kind:     by_value
      - .offset:         200
        .size:           8
        .value_kind:     by_value
      - .offset:         208
        .size:           4
        .value_kind:     hidden_block_count_x
      - .offset:         212
        .size:           4
        .value_kind:     hidden_block_count_y
      - .offset:         216
        .size:           4
        .value_kind:     hidden_block_count_z
      - .offset:         220
        .size:           2
        .value_kind:     hidden_group_size_x
      - .offset:         222
        .size:           2
        .value_kind:     hidden_group_size_y
      - .offset:         224
        .size:           2
        .value_kind:     hidden_group_size_z
      - .offset:         226
        .size:           2
        .value_kind:     hidden_remainder_x
      - .offset:         228
        .size:           2
        .value_kind:     hidden_remainder_y
      - .offset:         230
        .size:           2
        .value_kind:     hidden_remainder_z
      - .offset:         248
        .size:           8
        .value_kind:     hidden_global_offset_x
      - .offset:         256
        .size:           8
        .value_kind:     hidden_global_offset_y
      - .offset:         264
        .size:           8
        .value_kind:     hidden_global_offset_z
      - .offset:         272
        .size:           2
        .value_kind:     hidden_grid_dims
    .group_segment_fixed_size: 3584
    .kernarg_segment_align: 8
    .kernarg_segment_size: 464
    .language:       OpenCL C
    .language_version:
      - 2
      - 0
    .max_flat_workgroup_size: 128
    .name:           _ZL18flash_attn_ext_vecILi64ELi2EL9ggml_type6ELS0_3ELb0EEvPKcS2_S2_S2_S2_PKiPfP15HIP_vector_typeIfLj2EEffffjfiS6_IjLj3EEiiiiiiiiiiiliiliiiiil
    .private_segment_fixed_size: 0
    .sgpr_count:     55
    .sgpr_spill_count: 0
    .symbol:         _ZL18flash_attn_ext_vecILi64ELi2EL9ggml_type6ELS0_3ELb0EEvPKcS2_S2_S2_S2_PKiPfP15HIP_vector_typeIfLj2EEffffjfiS6_IjLj3EEiiiiiiiiiiiliiliiiiil.kd
    .uniform_work_group_size: 1
    .uses_dynamic_stack: false
    .vgpr_count:     162
    .vgpr_spill_count: 0
    .wavefront_size: 32
    .workgroup_processor_mode: 1
  - .args:
      - .actual_access:  read_only
        .address_space:  global
        .offset:         0
        .size:           8
        .value_kind:     global_buffer
      - .actual_access:  write_only
        .address_space:  global
        .offset:         8
        .size:           8
        .value_kind:     global_buffer
      - .offset:         16
        .size:           4
        .value_kind:     by_value
      - .offset:         20
        .size:           4
        .value_kind:     by_value
      - .offset:         24
        .size:           4
        .value_kind:     by_value
      - .offset:         32
        .size:           4
        .value_kind:     hidden_block_count_x
      - .offset:         36
        .size:           4
        .value_kind:     hidden_block_count_y
      - .offset:         40
        .size:           4
        .value_kind:     hidden_block_count_z
      - .offset:         44
        .size:           2
        .value_kind:     hidden_group_size_x
      - .offset:         46
        .size:           2
        .value_kind:     hidden_group_size_y
      - .offset:         48
        .size:           2
        .value_kind:     hidden_group_size_z
      - .offset:         50
        .size:           2
        .value_kind:     hidden_remainder_x
      - .offset:         52
        .size:           2
        .value_kind:     hidden_remainder_y
      - .offset:         54
        .size:           2
        .value_kind:     hidden_remainder_z
      - .offset:         72
        .size:           8
        .value_kind:     hidden_global_offset_x
      - .offset:         80
        .size:           8
        .value_kind:     hidden_global_offset_y
      - .offset:         88
        .size:           8
        .value_kind:     hidden_global_offset_z
      - .offset:         96
        .size:           2
        .value_kind:     hidden_grid_dims
    .group_segment_fixed_size: 128
    .kernarg_segment_align: 8
    .kernarg_segment_size: 288
    .language:       OpenCL C
    .language_version:
      - 2
      - 0
    .max_flat_workgroup_size: 128
    .name:           _ZL25flash_attn_mask_to_KV_maxILi2EEvPK7__half2Piiii
    .private_segment_fixed_size: 0
    .sgpr_count:     18
    .sgpr_spill_count: 0
    .symbol:         _ZL25flash_attn_mask_to_KV_maxILi2EEvPK7__half2Piiii.kd
    .uniform_work_group_size: 1
    .uses_dynamic_stack: false
    .vgpr_count:     7
    .vgpr_spill_count: 0
    .wavefront_size: 32
    .workgroup_processor_mode: 1
  - .args:
      - .address_space:  global
        .offset:         0
        .size:           8
        .value_kind:     global_buffer
      - .address_space:  global
        .offset:         8
        .size:           8
        .value_kind:     global_buffer
      - .offset:         16
        .size:           4
        .value_kind:     by_value
      - .offset:         20
        .size:           4
        .value_kind:     by_value
      - .offset:         24
        .size:           4
        .value_kind:     by_value
      - .offset:         28
        .size:           4
        .value_kind:     by_value
      - .offset:         32
        .size:           4
        .value_kind:     by_value
      - .offset:         36
        .size:           4
        .value_kind:     by_value
      - .offset:         40
        .size:           12
        .value_kind:     by_value
      - .offset:         52
        .size:           12
        .value_kind:     by_value
      - .offset:         64
        .size:           12
        .value_kind:     by_value
    .group_segment_fixed_size: 0
    .kernarg_segment_align: 8
    .kernarg_segment_size: 76
    .language:       OpenCL C
    .language_version:
      - 2
      - 0
    .max_flat_workgroup_size: 64
    .name:           _ZL33flash_attn_stream_k_fixup_uniformILi64ELi2ELi1EEvPfPK15HIP_vector_typeIfLj2EEiiiiiiS1_IjLj3EES5_S5_
    .private_segment_fixed_size: 0
    .sgpr_count:     22
    .sgpr_spill_count: 0
    .symbol:         _ZL33flash_attn_stream_k_fixup_uniformILi64ELi2ELi1EEvPfPK15HIP_vector_typeIfLj2EEiiiiiiS1_IjLj3EES5_S5_.kd
    .uniform_work_group_size: 1
    .uses_dynamic_stack: false
    .vgpr_count:     15
    .vgpr_spill_count: 0
    .wavefront_size: 32
    .workgroup_processor_mode: 1
  - .args:
      - .address_space:  global
        .offset:         0
        .size:           8
        .value_kind:     global_buffer
      - .address_space:  global
        .offset:         8
        .size:           8
        .value_kind:     global_buffer
      - .offset:         16
        .size:           4
        .value_kind:     by_value
      - .offset:         20
        .size:           4
        .value_kind:     by_value
      - .offset:         24
        .size:           4
        .value_kind:     by_value
      - .offset:         28
        .size:           4
        .value_kind:     by_value
      - .offset:         32
        .size:           12
        .value_kind:     by_value
      - .offset:         44
        .size:           12
        .value_kind:     by_value
      - .offset:         56
        .size:           12
        .value_kind:     by_value
      - .offset:         68
        .size:           12
        .value_kind:     by_value
      - .offset:         80
        .size:           4
        .value_kind:     hidden_block_count_x
      - .offset:         84
        .size:           4
        .value_kind:     hidden_block_count_y
      - .offset:         88
        .size:           4
        .value_kind:     hidden_block_count_z
      - .offset:         92
        .size:           2
        .value_kind:     hidden_group_size_x
      - .offset:         94
        .size:           2
        .value_kind:     hidden_group_size_y
      - .offset:         96
        .size:           2
        .value_kind:     hidden_group_size_z
      - .offset:         98
        .size:           2
        .value_kind:     hidden_remainder_x
      - .offset:         100
        .size:           2
        .value_kind:     hidden_remainder_y
      - .offset:         102
        .size:           2
        .value_kind:     hidden_remainder_z
      - .offset:         120
        .size:           8
        .value_kind:     hidden_global_offset_x
      - .offset:         128
        .size:           8
        .value_kind:     hidden_global_offset_y
      - .offset:         136
        .size:           8
        .value_kind:     hidden_global_offset_z
      - .offset:         144
        .size:           2
        .value_kind:     hidden_grid_dims
    .group_segment_fixed_size: 0
    .kernarg_segment_align: 8
    .kernarg_segment_size: 336
    .language:       OpenCL C
    .language_version:
      - 2
      - 0
    .max_flat_workgroup_size: 64
    .name:           _ZL33flash_attn_stream_k_fixup_generalILi64ELi2ELi1EEvPfPK15HIP_vector_typeIfLj2EEiiiiS1_IjLj3EES5_S5_S5_
    .private_segment_fixed_size: 0
    .sgpr_count:     34
    .sgpr_spill_count: 0
    .symbol:         _ZL33flash_attn_stream_k_fixup_generalILi64ELi2ELi1EEvPfPK15HIP_vector_typeIfLj2EEiiiiS1_IjLj3EES5_S5_S5_.kd
    .uniform_work_group_size: 1
    .uses_dynamic_stack: false
    .vgpr_count:     19
    .vgpr_spill_count: 0
    .wavefront_size: 32
    .workgroup_processor_mode: 1
  - .args:
      - .address_space:  global
        .offset:         0
        .size:           8
        .value_kind:     global_buffer
      - .address_space:  global
        .offset:         8
        .size:           8
        .value_kind:     global_buffer
      - .address_space:  global
        .offset:         16
        .size:           8
        .value_kind:     global_buffer
      - .address_space:  global
        .offset:         24
        .size:           8
        .value_kind:     global_buffer
      - .address_space:  global
        .offset:         32
        .size:           8
        .value_kind:     global_buffer
      - .address_space:  global
        .offset:         40
        .size:           8
        .value_kind:     global_buffer
      - .address_space:  global
        .offset:         48
        .size:           8
        .value_kind:     global_buffer
      - .address_space:  global
        .offset:         56
        .size:           8
        .value_kind:     global_buffer
      - .offset:         64
        .size:           4
        .value_kind:     by_value
      - .offset:         68
        .size:           4
        .value_kind:     by_value
      - .offset:         72
        .size:           4
        .value_kind:     by_value
      - .offset:         76
        .size:           4
        .value_kind:     by_value
      - .offset:         80
        .size:           4
        .value_kind:     by_value
      - .offset:         84
        .size:           4
        .value_kind:     by_value
      - .offset:         88
        .size:           4
        .value_kind:     by_value
      - .offset:         92
        .size:           12
        .value_kind:     by_value
      - .offset:         104
        .size:           4
        .value_kind:     by_value
      - .offset:         108
        .size:           4
        .value_kind:     by_value
      - .offset:         112
        .size:           4
        .value_kind:     by_value
      - .offset:         116
        .size:           4
        .value_kind:     by_value
      - .offset:         120
        .size:           4
        .value_kind:     by_value
      - .offset:         124
        .size:           4
        .value_kind:     by_value
      - .offset:         128
        .size:           4
        .value_kind:     by_value
      - .offset:         132
        .size:           4
        .value_kind:     by_value
      - .offset:         136
        .size:           4
        .value_kind:     by_value
      - .offset:         140
        .size:           4
        .value_kind:     by_value
      - .offset:         144
        .size:           4
        .value_kind:     by_value
      - .offset:         152
        .size:           8
        .value_kind:     by_value
      - .offset:         160
        .size:           4
        .value_kind:     by_value
      - .offset:         164
        .size:           4
        .value_kind:     by_value
      - .offset:         168
        .size:           8
        .value_kind:     by_value
      - .offset:         176
        .size:           4
        .value_kind:     by_value
      - .offset:         180
        .size:           4
        .value_kind:     by_value
      - .offset:         184
        .size:           4
        .value_kind:     by_value
      - .offset:         188
        .size:           4
        .value_kind:     by_value
      - .offset:         192
        .size:           4
        .value_kind:     by_value
      - .offset:         200
        .size:           8
        .value_kind:     by_value
      - .offset:         208
        .size:           4
        .value_kind:     hidden_block_count_x
      - .offset:         212
        .size:           4
        .value_kind:     hidden_block_count_y
      - .offset:         216
        .size:           4
        .value_kind:     hidden_block_count_z
      - .offset:         220
        .size:           2
        .value_kind:     hidden_group_size_x
      - .offset:         222
        .size:           2
        .value_kind:     hidden_group_size_y
      - .offset:         224
        .size:           2
        .value_kind:     hidden_group_size_z
      - .offset:         226
        .size:           2
        .value_kind:     hidden_remainder_x
      - .offset:         228
        .size:           2
        .value_kind:     hidden_remainder_y
      - .offset:         230
        .size:           2
        .value_kind:     hidden_remainder_z
      - .offset:         248
        .size:           8
        .value_kind:     hidden_global_offset_x
      - .offset:         256
        .size:           8
        .value_kind:     hidden_global_offset_y
      - .offset:         264
        .size:           8
        .value_kind:     hidden_global_offset_z
      - .offset:         272
        .size:           2
        .value_kind:     hidden_grid_dims
      - .offset:         288
        .size:           8
        .value_kind:     hidden_hostcall_buffer
    .group_segment_fixed_size: 0
    .kernarg_segment_align: 8
    .kernarg_segment_size: 464
    .language:       OpenCL C
    .language_version:
      - 2
      - 0
    .max_flat_workgroup_size: 128
    .name:           _ZL18flash_attn_ext_vecILi64ELi2EL9ggml_type6ELS0_3ELb1EEvPKcS2_S2_S2_S2_PKiPfP15HIP_vector_typeIfLj2EEffffjfiS6_IjLj3EEiiiiiiiiiiiliiliiiiil
    .private_segment_fixed_size: 16
    .sgpr_count:     36
    .sgpr_spill_count: 0
    .symbol:         _ZL18flash_attn_ext_vecILi64ELi2EL9ggml_type6ELS0_3ELb1EEvPKcS2_S2_S2_S2_PKiPfP15HIP_vector_typeIfLj2EEffffjfiS6_IjLj3EEiiiiiiiiiiiliiliiiiil.kd
    .uniform_work_group_size: 1
    .uses_dynamic_stack: false
    .vgpr_count:     37
    .vgpr_spill_count: 0
    .wavefront_size: 32
    .workgroup_processor_mode: 1
  - .args:
      - .address_space:  global
        .offset:         0
        .size:           8
        .value_kind:     global_buffer
      - .address_space:  global
        .offset:         8
        .size:           8
        .value_kind:     global_buffer
      - .address_space:  global
        .offset:         16
        .size:           8
        .value_kind:     global_buffer
      - .address_space:  global
        .offset:         24
        .size:           8
        .value_kind:     global_buffer
      - .address_space:  global
        .offset:         32
        .size:           8
        .value_kind:     global_buffer
      - .address_space:  global
        .offset:         40
        .size:           8
        .value_kind:     global_buffer
      - .address_space:  global
        .offset:         48
        .size:           8
        .value_kind:     global_buffer
      - .address_space:  global
        .offset:         56
        .size:           8
        .value_kind:     global_buffer
      - .offset:         64
        .size:           4
        .value_kind:     by_value
      - .offset:         68
        .size:           4
        .value_kind:     by_value
      - .offset:         72
        .size:           4
        .value_kind:     by_value
      - .offset:         76
        .size:           4
        .value_kind:     by_value
      - .offset:         80
        .size:           4
        .value_kind:     by_value
      - .offset:         84
        .size:           4
        .value_kind:     by_value
      - .offset:         88
        .size:           4
        .value_kind:     by_value
      - .offset:         92
        .size:           12
        .value_kind:     by_value
      - .offset:         104
        .size:           4
        .value_kind:     by_value
      - .offset:         108
        .size:           4
        .value_kind:     by_value
      - .offset:         112
        .size:           4
        .value_kind:     by_value
      - .offset:         116
        .size:           4
        .value_kind:     by_value
      - .offset:         120
        .size:           4
        .value_kind:     by_value
      - .offset:         124
        .size:           4
        .value_kind:     by_value
      - .offset:         128
        .size:           4
        .value_kind:     by_value
      - .offset:         132
        .size:           4
        .value_kind:     by_value
      - .offset:         136
        .size:           4
        .value_kind:     by_value
      - .offset:         140
        .size:           4
        .value_kind:     by_value
      - .offset:         144
        .size:           4
        .value_kind:     by_value
      - .offset:         152
        .size:           8
        .value_kind:     by_value
      - .offset:         160
        .size:           4
        .value_kind:     by_value
      - .offset:         164
        .size:           4
        .value_kind:     by_value
      - .offset:         168
        .size:           8
        .value_kind:     by_value
      - .offset:         176
        .size:           4
        .value_kind:     by_value
      - .offset:         180
        .size:           4
        .value_kind:     by_value
      - .offset:         184
        .size:           4
        .value_kind:     by_value
      - .offset:         188
        .size:           4
        .value_kind:     by_value
      - .offset:         192
        .size:           4
        .value_kind:     by_value
      - .offset:         200
        .size:           8
        .value_kind:     by_value
      - .offset:         208
        .size:           4
        .value_kind:     hidden_block_count_x
      - .offset:         212
        .size:           4
        .value_kind:     hidden_block_count_y
      - .offset:         216
        .size:           4
        .value_kind:     hidden_block_count_z
      - .offset:         220
        .size:           2
        .value_kind:     hidden_group_size_x
      - .offset:         222
        .size:           2
        .value_kind:     hidden_group_size_y
      - .offset:         224
        .size:           2
        .value_kind:     hidden_group_size_z
      - .offset:         226
        .size:           2
        .value_kind:     hidden_remainder_x
      - .offset:         228
        .size:           2
        .value_kind:     hidden_remainder_y
      - .offset:         230
        .size:           2
        .value_kind:     hidden_remainder_z
      - .offset:         248
        .size:           8
        .value_kind:     hidden_global_offset_x
      - .offset:         256
        .size:           8
        .value_kind:     hidden_global_offset_y
      - .offset:         264
        .size:           8
        .value_kind:     hidden_global_offset_z
      - .offset:         272
        .size:           2
        .value_kind:     hidden_grid_dims
    .group_segment_fixed_size: 1280
    .kernarg_segment_align: 8
    .kernarg_segment_size: 464
    .language:       OpenCL C
    .language_version:
      - 2
      - 0
    .max_flat_workgroup_size: 128
    .name:           _ZL18flash_attn_ext_vecILi128ELi1EL9ggml_type6ELS0_3ELb0EEvPKcS2_S2_S2_S2_PKiPfP15HIP_vector_typeIfLj2EEffffjfiS6_IjLj3EEiiiiiiiiiiiliiliiiiil
    .private_segment_fixed_size: 0
    .sgpr_count:     54
    .sgpr_spill_count: 0
    .symbol:         _ZL18flash_attn_ext_vecILi128ELi1EL9ggml_type6ELS0_3ELb0EEvPKcS2_S2_S2_S2_PKiPfP15HIP_vector_typeIfLj2EEffffjfiS6_IjLj3EEiiiiiiiiiiiliiliiiiil.kd
    .uniform_work_group_size: 1
    .uses_dynamic_stack: false
    .vgpr_count:     220
    .vgpr_spill_count: 0
    .wavefront_size: 32
    .workgroup_processor_mode: 1
  - .args:
      - .address_space:  global
        .offset:         0
        .size:           8
        .value_kind:     global_buffer
      - .address_space:  global
        .offset:         8
        .size:           8
        .value_kind:     global_buffer
      - .offset:         16
        .size:           4
        .value_kind:     by_value
      - .offset:         20
        .size:           4
        .value_kind:     by_value
      - .offset:         24
        .size:           4
        .value_kind:     by_value
      - .offset:         28
        .size:           4
        .value_kind:     by_value
      - .offset:         32
        .size:           4
        .value_kind:     by_value
      - .offset:         36
        .size:           4
        .value_kind:     by_value
      - .offset:         40
        .size:           12
        .value_kind:     by_value
      - .offset:         52
        .size:           12
        .value_kind:     by_value
      - .offset:         64
        .size:           12
        .value_kind:     by_value
    .group_segment_fixed_size: 0
    .kernarg_segment_align: 8
    .kernarg_segment_size: 76
    .language:       OpenCL C
    .language_version:
      - 2
      - 0
    .max_flat_workgroup_size: 128
    .name:           _ZL33flash_attn_stream_k_fixup_uniformILi128ELi1ELi1EEvPfPK15HIP_vector_typeIfLj2EEiiiiiiS1_IjLj3EES5_S5_
    .private_segment_fixed_size: 0
    .sgpr_count:     22
    .sgpr_spill_count: 0
    .symbol:         _ZL33flash_attn_stream_k_fixup_uniformILi128ELi1ELi1EEvPfPK15HIP_vector_typeIfLj2EEiiiiiiS1_IjLj3EES5_S5_.kd
    .uniform_work_group_size: 1
    .uses_dynamic_stack: false
    .vgpr_count:     15
    .vgpr_spill_count: 0
    .wavefront_size: 32
    .workgroup_processor_mode: 1
  - .args:
      - .address_space:  global
        .offset:         0
        .size:           8
        .value_kind:     global_buffer
      - .address_space:  global
        .offset:         8
        .size:           8
        .value_kind:     global_buffer
      - .offset:         16
        .size:           4
        .value_kind:     by_value
      - .offset:         20
        .size:           4
        .value_kind:     by_value
      - .offset:         24
        .size:           4
        .value_kind:     by_value
      - .offset:         28
        .size:           4
        .value_kind:     by_value
      - .offset:         32
        .size:           12
        .value_kind:     by_value
      - .offset:         44
        .size:           12
        .value_kind:     by_value
      - .offset:         56
        .size:           12
        .value_kind:     by_value
      - .offset:         68
        .size:           12
        .value_kind:     by_value
      - .offset:         80
        .size:           4
        .value_kind:     hidden_block_count_x
      - .offset:         84
        .size:           4
        .value_kind:     hidden_block_count_y
      - .offset:         88
        .size:           4
        .value_kind:     hidden_block_count_z
      - .offset:         92
        .size:           2
        .value_kind:     hidden_group_size_x
      - .offset:         94
        .size:           2
        .value_kind:     hidden_group_size_y
      - .offset:         96
        .size:           2
        .value_kind:     hidden_group_size_z
      - .offset:         98
        .size:           2
        .value_kind:     hidden_remainder_x
      - .offset:         100
        .size:           2
        .value_kind:     hidden_remainder_y
      - .offset:         102
        .size:           2
        .value_kind:     hidden_remainder_z
      - .offset:         120
        .size:           8
        .value_kind:     hidden_global_offset_x
      - .offset:         128
        .size:           8
        .value_kind:     hidden_global_offset_y
      - .offset:         136
        .size:           8
        .value_kind:     hidden_global_offset_z
      - .offset:         144
        .size:           2
        .value_kind:     hidden_grid_dims
    .group_segment_fixed_size: 0
    .kernarg_segment_align: 8
    .kernarg_segment_size: 336
    .language:       OpenCL C
    .language_version:
      - 2
      - 0
    .max_flat_workgroup_size: 128
    .name:           _ZL33flash_attn_stream_k_fixup_generalILi128ELi1ELi1EEvPfPK15HIP_vector_typeIfLj2EEiiiiS1_IjLj3EES5_S5_S5_
    .private_segment_fixed_size: 0
    .sgpr_count:     34
    .sgpr_spill_count: 0
    .symbol:         _ZL33flash_attn_stream_k_fixup_generalILi128ELi1ELi1EEvPfPK15HIP_vector_typeIfLj2EEiiiiS1_IjLj3EES5_S5_S5_.kd
    .uniform_work_group_size: 1
    .uses_dynamic_stack: false
    .vgpr_count:     19
    .vgpr_spill_count: 0
    .wavefront_size: 32
    .workgroup_processor_mode: 1
  - .args:
      - .address_space:  global
        .offset:         0
        .size:           8
        .value_kind:     global_buffer
      - .address_space:  global
        .offset:         8
        .size:           8
        .value_kind:     global_buffer
      - .address_space:  global
        .offset:         16
        .size:           8
        .value_kind:     global_buffer
      - .offset:         24
        .size:           4
        .value_kind:     by_value
      - .offset:         32
        .size:           4
        .value_kind:     hidden_block_count_x
      - .offset:         36
        .size:           4
        .value_kind:     hidden_block_count_y
      - .offset:         40
        .size:           4
        .value_kind:     hidden_block_count_z
      - .offset:         44
        .size:           2
        .value_kind:     hidden_group_size_x
      - .offset:         46
        .size:           2
        .value_kind:     hidden_group_size_y
      - .offset:         48
        .size:           2
        .value_kind:     hidden_group_size_z
      - .offset:         50
        .size:           2
        .value_kind:     hidden_remainder_x
      - .offset:         52
        .size:           2
        .value_kind:     hidden_remainder_y
      - .offset:         54
        .size:           2
        .value_kind:     hidden_remainder_z
      - .offset:         72
        .size:           8
        .value_kind:     hidden_global_offset_x
      - .offset:         80
        .size:           8
        .value_kind:     hidden_global_offset_y
      - .offset:         88
        .size:           8
        .value_kind:     hidden_global_offset_z
      - .offset:         96
        .size:           2
        .value_kind:     hidden_grid_dims
      - .offset:         152
        .size:           4
        .value_kind:     hidden_dynamic_lds_size
    .group_segment_fixed_size: 0
    .kernarg_segment_align: 8
    .kernarg_segment_size: 288
    .language:       OpenCL C
    .language_version:
      - 2
      - 0
    .max_flat_workgroup_size: 128
    .name:           _ZL26flash_attn_combine_resultsILi128EEvPKfPK15HIP_vector_typeIfLj2EEPfi
    .private_segment_fixed_size: 0
    .sgpr_count:     18
    .sgpr_spill_count: 0
    .symbol:         _ZL26flash_attn_combine_resultsILi128EEvPKfPK15HIP_vector_typeIfLj2EEPfi.kd
    .uniform_work_group_size: 1
    .uses_dynamic_stack: false
    .vgpr_count:     55
    .vgpr_spill_count: 0
    .wavefront_size: 32
    .workgroup_processor_mode: 1
  - .args:
      - .address_space:  global
        .offset:         0
        .size:           8
        .value_kind:     global_buffer
      - .address_space:  global
        .offset:         8
        .size:           8
        .value_kind:     global_buffer
      - .address_space:  global
        .offset:         16
        .size:           8
        .value_kind:     global_buffer
      - .address_space:  global
        .offset:         24
        .size:           8
        .value_kind:     global_buffer
      - .address_space:  global
        .offset:         32
        .size:           8
        .value_kind:     global_buffer
      - .address_space:  global
        .offset:         40
        .size:           8
        .value_kind:     global_buffer
      - .address_space:  global
        .offset:         48
        .size:           8
        .value_kind:     global_buffer
      - .address_space:  global
        .offset:         56
        .size:           8
        .value_kind:     global_buffer
      - .offset:         64
        .size:           4
        .value_kind:     by_value
      - .offset:         68
        .size:           4
        .value_kind:     by_value
      - .offset:         72
        .size:           4
        .value_kind:     by_value
      - .offset:         76
        .size:           4
        .value_kind:     by_value
      - .offset:         80
        .size:           4
        .value_kind:     by_value
      - .offset:         84
        .size:           4
        .value_kind:     by_value
      - .offset:         88
        .size:           4
        .value_kind:     by_value
      - .offset:         92
        .size:           12
        .value_kind:     by_value
      - .offset:         104
        .size:           4
        .value_kind:     by_value
      - .offset:         108
        .size:           4
        .value_kind:     by_value
      - .offset:         112
        .size:           4
        .value_kind:     by_value
      - .offset:         116
        .size:           4
        .value_kind:     by_value
      - .offset:         120
        .size:           4
        .value_kind:     by_value
      - .offset:         124
        .size:           4
        .value_kind:     by_value
      - .offset:         128
        .size:           4
        .value_kind:     by_value
      - .offset:         132
        .size:           4
        .value_kind:     by_value
      - .offset:         136
        .size:           4
        .value_kind:     by_value
      - .offset:         140
        .size:           4
        .value_kind:     by_value
      - .offset:         144
        .size:           4
        .value_kind:     by_value
      - .offset:         152
        .size:           8
        .value_kind:     by_value
      - .offset:         160
        .size:           4
        .value_kind:     by_value
      - .offset:         164
        .size:           4
        .value_kind:     by_value
      - .offset:         168
        .size:           8
        .value_kind:     by_value
      - .offset:         176
        .size:           4
        .value_kind:     by_value
      - .offset:         180
        .size:           4
        .value_kind:     by_value
      - .offset:         184
        .size:           4
        .value_kind:     by_value
      - .offset:         188
        .size:           4
        .value_kind:     by_value
      - .offset:         192
        .size:           4
        .value_kind:     by_value
      - .offset:         200
        .size:           8
        .value_kind:     by_value
      - .offset:         208
        .size:           4
        .value_kind:     hidden_block_count_x
      - .offset:         212
        .size:           4
        .value_kind:     hidden_block_count_y
      - .offset:         216
        .size:           4
        .value_kind:     hidden_block_count_z
      - .offset:         220
        .size:           2
        .value_kind:     hidden_group_size_x
      - .offset:         222
        .size:           2
        .value_kind:     hidden_group_size_y
      - .offset:         224
        .size:           2
        .value_kind:     hidden_group_size_z
      - .offset:         226
        .size:           2
        .value_kind:     hidden_remainder_x
      - .offset:         228
        .size:           2
        .value_kind:     hidden_remainder_y
      - .offset:         230
        .size:           2
        .value_kind:     hidden_remainder_z
      - .offset:         248
        .size:           8
        .value_kind:     hidden_global_offset_x
      - .offset:         256
        .size:           8
        .value_kind:     hidden_global_offset_y
      - .offset:         264
        .size:           8
        .value_kind:     hidden_global_offset_z
      - .offset:         272
        .size:           2
        .value_kind:     hidden_grid_dims
    .group_segment_fixed_size: 1280
    .kernarg_segment_align: 8
    .kernarg_segment_size: 464
    .language:       OpenCL C
    .language_version:
      - 2
      - 0
    .max_flat_workgroup_size: 128
    .name:           _ZL18flash_attn_ext_vecILi128ELi1EL9ggml_type6ELS0_3ELb1EEvPKcS2_S2_S2_S2_PKiPfP15HIP_vector_typeIfLj2EEffffjfiS6_IjLj3EEiiiiiiiiiiiliiliiiiil
    .private_segment_fixed_size: 0
    .sgpr_count:     55
    .sgpr_spill_count: 0
    .symbol:         _ZL18flash_attn_ext_vecILi128ELi1EL9ggml_type6ELS0_3ELb1EEvPKcS2_S2_S2_S2_PKiPfP15HIP_vector_typeIfLj2EEffffjfiS6_IjLj3EEiiiiiiiiiiiliiliiiiil.kd
    .uniform_work_group_size: 1
    .uses_dynamic_stack: false
    .vgpr_count:     220
    .vgpr_spill_count: 0
    .wavefront_size: 32
    .workgroup_processor_mode: 1
  - .args:
      - .address_space:  global
        .offset:         0
        .size:           8
        .value_kind:     global_buffer
      - .address_space:  global
        .offset:         8
        .size:           8
        .value_kind:     global_buffer
      - .address_space:  global
        .offset:         16
        .size:           8
        .value_kind:     global_buffer
      - .address_space:  global
        .offset:         24
        .size:           8
        .value_kind:     global_buffer
      - .address_space:  global
        .offset:         32
        .size:           8
        .value_kind:     global_buffer
      - .address_space:  global
        .offset:         40
        .size:           8
        .value_kind:     global_buffer
      - .address_space:  global
        .offset:         48
        .size:           8
        .value_kind:     global_buffer
      - .address_space:  global
        .offset:         56
        .size:           8
        .value_kind:     global_buffer
      - .offset:         64
        .size:           4
        .value_kind:     by_value
      - .offset:         68
        .size:           4
        .value_kind:     by_value
      - .offset:         72
        .size:           4
        .value_kind:     by_value
      - .offset:         76
        .size:           4
        .value_kind:     by_value
      - .offset:         80
        .size:           4
        .value_kind:     by_value
      - .offset:         84
        .size:           4
        .value_kind:     by_value
      - .offset:         88
        .size:           4
        .value_kind:     by_value
      - .offset:         92
        .size:           12
        .value_kind:     by_value
      - .offset:         104
        .size:           4
        .value_kind:     by_value
      - .offset:         108
        .size:           4
        .value_kind:     by_value
      - .offset:         112
        .size:           4
        .value_kind:     by_value
      - .offset:         116
        .size:           4
        .value_kind:     by_value
      - .offset:         120
        .size:           4
        .value_kind:     by_value
      - .offset:         124
        .size:           4
        .value_kind:     by_value
      - .offset:         128
        .size:           4
        .value_kind:     by_value
      - .offset:         132
        .size:           4
        .value_kind:     by_value
      - .offset:         136
        .size:           4
        .value_kind:     by_value
      - .offset:         140
        .size:           4
        .value_kind:     by_value
      - .offset:         144
        .size:           4
        .value_kind:     by_value
      - .offset:         152
        .size:           8
        .value_kind:     by_value
      - .offset:         160
        .size:           4
        .value_kind:     by_value
      - .offset:         164
        .size:           4
        .value_kind:     by_value
      - .offset:         168
        .size:           8
        .value_kind:     by_value
      - .offset:         176
        .size:           4
        .value_kind:     by_value
      - .offset:         180
        .size:           4
        .value_kind:     by_value
      - .offset:         184
        .size:           4
        .value_kind:     by_value
      - .offset:         188
        .size:           4
        .value_kind:     by_value
      - .offset:         192
        .size:           4
        .value_kind:     by_value
      - .offset:         200
        .size:           8
        .value_kind:     by_value
      - .offset:         208
        .size:           4
        .value_kind:     hidden_block_count_x
      - .offset:         212
        .size:           4
        .value_kind:     hidden_block_count_y
      - .offset:         216
        .size:           4
        .value_kind:     hidden_block_count_z
      - .offset:         220
        .size:           2
        .value_kind:     hidden_group_size_x
      - .offset:         222
        .size:           2
        .value_kind:     hidden_group_size_y
      - .offset:         224
        .size:           2
        .value_kind:     hidden_group_size_z
      - .offset:         226
        .size:           2
        .value_kind:     hidden_remainder_x
      - .offset:         228
        .size:           2
        .value_kind:     hidden_remainder_y
      - .offset:         230
        .size:           2
        .value_kind:     hidden_remainder_z
      - .offset:         248
        .size:           8
        .value_kind:     hidden_global_offset_x
      - .offset:         256
        .size:           8
        .value_kind:     hidden_global_offset_y
      - .offset:         264
        .size:           8
        .value_kind:     hidden_global_offset_z
      - .offset:         272
        .size:           2
        .value_kind:     hidden_grid_dims
    .group_segment_fixed_size: 3584
    .kernarg_segment_align: 8
    .kernarg_segment_size: 464
    .language:       OpenCL C
    .language_version:
      - 2
      - 0
    .max_flat_workgroup_size: 128
    .name:           _ZL18flash_attn_ext_vecILi128ELi2EL9ggml_type6ELS0_3ELb0EEvPKcS2_S2_S2_S2_PKiPfP15HIP_vector_typeIfLj2EEffffjfiS6_IjLj3EEiiiiiiiiiiiliiliiiiil
    .private_segment_fixed_size: 44
    .sgpr_count:     54
    .sgpr_spill_count: 0
    .symbol:         _ZL18flash_attn_ext_vecILi128ELi2EL9ggml_type6ELS0_3ELb0EEvPKcS2_S2_S2_S2_PKiPfP15HIP_vector_typeIfLj2EEffffjfiS6_IjLj3EEiiiiiiiiiiiliiliiiiil.kd
    .uniform_work_group_size: 1
    .uses_dynamic_stack: false
    .vgpr_count:     256
    .vgpr_spill_count: 10
    .wavefront_size: 32
    .workgroup_processor_mode: 1
  - .args:
      - .address_space:  global
        .offset:         0
        .size:           8
        .value_kind:     global_buffer
      - .address_space:  global
        .offset:         8
        .size:           8
        .value_kind:     global_buffer
      - .offset:         16
        .size:           4
        .value_kind:     by_value
      - .offset:         20
        .size:           4
        .value_kind:     by_value
      - .offset:         24
        .size:           4
        .value_kind:     by_value
      - .offset:         28
        .size:           4
        .value_kind:     by_value
      - .offset:         32
        .size:           4
        .value_kind:     by_value
      - .offset:         36
        .size:           4
        .value_kind:     by_value
      - .offset:         40
        .size:           12
        .value_kind:     by_value
      - .offset:         52
        .size:           12
        .value_kind:     by_value
      - .offset:         64
        .size:           12
        .value_kind:     by_value
    .group_segment_fixed_size: 0
    .kernarg_segment_align: 8
    .kernarg_segment_size: 76
    .language:       OpenCL C
    .language_version:
      - 2
      - 0
    .max_flat_workgroup_size: 128
    .name:           _ZL33flash_attn_stream_k_fixup_uniformILi128ELi2ELi1EEvPfPK15HIP_vector_typeIfLj2EEiiiiiiS1_IjLj3EES5_S5_
    .private_segment_fixed_size: 0
    .sgpr_count:     22
    .sgpr_spill_count: 0
    .symbol:         _ZL33flash_attn_stream_k_fixup_uniformILi128ELi2ELi1EEvPfPK15HIP_vector_typeIfLj2EEiiiiiiS1_IjLj3EES5_S5_.kd
    .uniform_work_group_size: 1
    .uses_dynamic_stack: false
    .vgpr_count:     15
    .vgpr_spill_count: 0
    .wavefront_size: 32
    .workgroup_processor_mode: 1
  - .args:
      - .address_space:  global
        .offset:         0
        .size:           8
        .value_kind:     global_buffer
      - .address_space:  global
        .offset:         8
        .size:           8
        .value_kind:     global_buffer
      - .offset:         16
        .size:           4
        .value_kind:     by_value
      - .offset:         20
        .size:           4
        .value_kind:     by_value
      - .offset:         24
        .size:           4
        .value_kind:     by_value
      - .offset:         28
        .size:           4
        .value_kind:     by_value
      - .offset:         32
        .size:           12
        .value_kind:     by_value
      - .offset:         44
        .size:           12
        .value_kind:     by_value
      - .offset:         56
        .size:           12
        .value_kind:     by_value
      - .offset:         68
        .size:           12
        .value_kind:     by_value
      - .offset:         80
        .size:           4
        .value_kind:     hidden_block_count_x
      - .offset:         84
        .size:           4
        .value_kind:     hidden_block_count_y
      - .offset:         88
        .size:           4
        .value_kind:     hidden_block_count_z
      - .offset:         92
        .size:           2
        .value_kind:     hidden_group_size_x
      - .offset:         94
        .size:           2
        .value_kind:     hidden_group_size_y
      - .offset:         96
        .size:           2
        .value_kind:     hidden_group_size_z
      - .offset:         98
        .size:           2
        .value_kind:     hidden_remainder_x
      - .offset:         100
        .size:           2
        .value_kind:     hidden_remainder_y
      - .offset:         102
        .size:           2
        .value_kind:     hidden_remainder_z
      - .offset:         120
        .size:           8
        .value_kind:     hidden_global_offset_x
      - .offset:         128
        .size:           8
        .value_kind:     hidden_global_offset_y
      - .offset:         136
        .size:           8
        .value_kind:     hidden_global_offset_z
      - .offset:         144
        .size:           2
        .value_kind:     hidden_grid_dims
    .group_segment_fixed_size: 0
    .kernarg_segment_align: 8
    .kernarg_segment_size: 336
    .language:       OpenCL C
    .language_version:
      - 2
      - 0
    .max_flat_workgroup_size: 128
    .name:           _ZL33flash_attn_stream_k_fixup_generalILi128ELi2ELi1EEvPfPK15HIP_vector_typeIfLj2EEiiiiS1_IjLj3EES5_S5_S5_
    .private_segment_fixed_size: 0
    .sgpr_count:     34
    .sgpr_spill_count: 0
    .symbol:         _ZL33flash_attn_stream_k_fixup_generalILi128ELi2ELi1EEvPfPK15HIP_vector_typeIfLj2EEiiiiS1_IjLj3EES5_S5_S5_.kd
    .uniform_work_group_size: 1
    .uses_dynamic_stack: false
    .vgpr_count:     19
    .vgpr_spill_count: 0
    .wavefront_size: 32
    .workgroup_processor_mode: 1
  - .args:
      - .address_space:  global
        .offset:         0
        .size:           8
        .value_kind:     global_buffer
      - .address_space:  global
        .offset:         8
        .size:           8
        .value_kind:     global_buffer
      - .address_space:  global
        .offset:         16
        .size:           8
        .value_kind:     global_buffer
      - .address_space:  global
        .offset:         24
        .size:           8
        .value_kind:     global_buffer
      - .address_space:  global
        .offset:         32
        .size:           8
        .value_kind:     global_buffer
      - .address_space:  global
        .offset:         40
        .size:           8
        .value_kind:     global_buffer
      - .address_space:  global
        .offset:         48
        .size:           8
        .value_kind:     global_buffer
      - .address_space:  global
        .offset:         56
        .size:           8
        .value_kind:     global_buffer
      - .offset:         64
        .size:           4
        .value_kind:     by_value
      - .offset:         68
        .size:           4
        .value_kind:     by_value
      - .offset:         72
        .size:           4
        .value_kind:     by_value
      - .offset:         76
        .size:           4
        .value_kind:     by_value
      - .offset:         80
        .size:           4
        .value_kind:     by_value
      - .offset:         84
        .size:           4
        .value_kind:     by_value
      - .offset:         88
        .size:           4
        .value_kind:     by_value
      - .offset:         92
        .size:           12
        .value_kind:     by_value
      - .offset:         104
        .size:           4
        .value_kind:     by_value
      - .offset:         108
        .size:           4
        .value_kind:     by_value
      - .offset:         112
        .size:           4
        .value_kind:     by_value
      - .offset:         116
        .size:           4
        .value_kind:     by_value
      - .offset:         120
        .size:           4
        .value_kind:     by_value
      - .offset:         124
        .size:           4
        .value_kind:     by_value
      - .offset:         128
        .size:           4
        .value_kind:     by_value
      - .offset:         132
        .size:           4
        .value_kind:     by_value
      - .offset:         136
        .size:           4
        .value_kind:     by_value
      - .offset:         140
        .size:           4
        .value_kind:     by_value
      - .offset:         144
        .size:           4
        .value_kind:     by_value
      - .offset:         152
        .size:           8
        .value_kind:     by_value
      - .offset:         160
        .size:           4
        .value_kind:     by_value
      - .offset:         164
        .size:           4
        .value_kind:     by_value
      - .offset:         168
        .size:           8
        .value_kind:     by_value
      - .offset:         176
        .size:           4
        .value_kind:     by_value
      - .offset:         180
        .size:           4
        .value_kind:     by_value
      - .offset:         184
        .size:           4
        .value_kind:     by_value
      - .offset:         188
        .size:           4
        .value_kind:     by_value
      - .offset:         192
        .size:           4
        .value_kind:     by_value
      - .offset:         200
        .size:           8
        .value_kind:     by_value
      - .offset:         208
        .size:           4
        .value_kind:     hidden_block_count_x
      - .offset:         212
        .size:           4
        .value_kind:     hidden_block_count_y
      - .offset:         216
        .size:           4
        .value_kind:     hidden_block_count_z
      - .offset:         220
        .size:           2
        .value_kind:     hidden_group_size_x
      - .offset:         222
        .size:           2
        .value_kind:     hidden_group_size_y
      - .offset:         224
        .size:           2
        .value_kind:     hidden_group_size_z
      - .offset:         226
        .size:           2
        .value_kind:     hidden_remainder_x
      - .offset:         228
        .size:           2
        .value_kind:     hidden_remainder_y
      - .offset:         230
        .size:           2
        .value_kind:     hidden_remainder_z
      - .offset:         248
        .size:           8
        .value_kind:     hidden_global_offset_x
      - .offset:         256
        .size:           8
        .value_kind:     hidden_global_offset_y
      - .offset:         264
        .size:           8
        .value_kind:     hidden_global_offset_z
      - .offset:         272
        .size:           2
        .value_kind:     hidden_grid_dims
    .group_segment_fixed_size: 3584
    .kernarg_segment_align: 8
    .kernarg_segment_size: 464
    .language:       OpenCL C
    .language_version:
      - 2
      - 0
    .max_flat_workgroup_size: 128
    .name:           _ZL18flash_attn_ext_vecILi128ELi2EL9ggml_type6ELS0_3ELb1EEvPKcS2_S2_S2_S2_PKiPfP15HIP_vector_typeIfLj2EEffffjfiS6_IjLj3EEiiiiiiiiiiiliiliiiiil
    .private_segment_fixed_size: 44
    .sgpr_count:     56
    .sgpr_spill_count: 0
    .symbol:         _ZL18flash_attn_ext_vecILi128ELi2EL9ggml_type6ELS0_3ELb1EEvPKcS2_S2_S2_S2_PKiPfP15HIP_vector_typeIfLj2EEffffjfiS6_IjLj3EEiiiiiiiiiiiliiliiiiil.kd
    .uniform_work_group_size: 1
    .uses_dynamic_stack: false
    .vgpr_count:     256
    .vgpr_spill_count: 10
    .wavefront_size: 32
    .workgroup_processor_mode: 1
  - .args:
      - .address_space:  global
        .offset:         0
        .size:           8
        .value_kind:     global_buffer
      - .address_space:  global
        .offset:         8
        .size:           8
        .value_kind:     global_buffer
      - .address_space:  global
        .offset:         16
        .size:           8
        .value_kind:     global_buffer
      - .address_space:  global
        .offset:         24
        .size:           8
        .value_kind:     global_buffer
      - .address_space:  global
        .offset:         32
        .size:           8
        .value_kind:     global_buffer
      - .address_space:  global
        .offset:         40
        .size:           8
        .value_kind:     global_buffer
      - .address_space:  global
        .offset:         48
        .size:           8
        .value_kind:     global_buffer
      - .address_space:  global
        .offset:         56
        .size:           8
        .value_kind:     global_buffer
      - .offset:         64
        .size:           4
        .value_kind:     by_value
      - .offset:         68
        .size:           4
        .value_kind:     by_value
      - .offset:         72
        .size:           4
        .value_kind:     by_value
      - .offset:         76
        .size:           4
        .value_kind:     by_value
      - .offset:         80
        .size:           4
        .value_kind:     by_value
      - .offset:         84
        .size:           4
        .value_kind:     by_value
      - .offset:         88
        .size:           4
        .value_kind:     by_value
      - .offset:         92
        .size:           12
        .value_kind:     by_value
      - .offset:         104
        .size:           4
        .value_kind:     by_value
      - .offset:         108
        .size:           4
        .value_kind:     by_value
      - .offset:         112
        .size:           4
        .value_kind:     by_value
      - .offset:         116
        .size:           4
        .value_kind:     by_value
      - .offset:         120
        .size:           4
        .value_kind:     by_value
      - .offset:         124
        .size:           4
        .value_kind:     by_value
      - .offset:         128
        .size:           4
        .value_kind:     by_value
      - .offset:         132
        .size:           4
        .value_kind:     by_value
      - .offset:         136
        .size:           4
        .value_kind:     by_value
      - .offset:         140
        .size:           4
        .value_kind:     by_value
      - .offset:         144
        .size:           4
        .value_kind:     by_value
      - .offset:         152
        .size:           8
        .value_kind:     by_value
      - .offset:         160
        .size:           4
        .value_kind:     by_value
      - .offset:         164
        .size:           4
        .value_kind:     by_value
      - .offset:         168
        .size:           8
        .value_kind:     by_value
      - .offset:         176
        .size:           4
        .value_kind:     by_value
      - .offset:         180
        .size:           4
        .value_kind:     by_value
      - .offset:         184
        .size:           4
        .value_kind:     by_value
      - .offset:         188
        .size:           4
        .value_kind:     by_value
      - .offset:         192
        .size:           4
        .value_kind:     by_value
      - .offset:         200
        .size:           8
        .value_kind:     by_value
      - .offset:         208
        .size:           4
        .value_kind:     hidden_block_count_x
      - .offset:         212
        .size:           4
        .value_kind:     hidden_block_count_y
      - .offset:         216
        .size:           4
        .value_kind:     hidden_block_count_z
      - .offset:         220
        .size:           2
        .value_kind:     hidden_group_size_x
      - .offset:         222
        .size:           2
        .value_kind:     hidden_group_size_y
      - .offset:         224
        .size:           2
        .value_kind:     hidden_group_size_z
      - .offset:         226
        .size:           2
        .value_kind:     hidden_remainder_x
      - .offset:         228
        .size:           2
        .value_kind:     hidden_remainder_y
      - .offset:         230
        .size:           2
        .value_kind:     hidden_remainder_z
      - .offset:         248
        .size:           8
        .value_kind:     hidden_global_offset_x
      - .offset:         256
        .size:           8
        .value_kind:     hidden_global_offset_y
      - .offset:         264
        .size:           8
        .value_kind:     hidden_global_offset_z
      - .offset:         272
        .size:           2
        .value_kind:     hidden_grid_dims
    .group_segment_fixed_size: 2304
    .kernarg_segment_align: 8
    .kernarg_segment_size: 464
    .language:       OpenCL C
    .language_version:
      - 2
      - 0
    .max_flat_workgroup_size: 128
    .name:           _ZL18flash_attn_ext_vecILi256ELi1EL9ggml_type6ELS0_3ELb0EEvPKcS2_S2_S2_S2_PKiPfP15HIP_vector_typeIfLj2EEffffjfiS6_IjLj3EEiiiiiiiiiiiliiliiiiil
    .private_segment_fixed_size: 0
    .sgpr_count:     52
    .sgpr_spill_count: 0
    .symbol:         _ZL18flash_attn_ext_vecILi256ELi1EL9ggml_type6ELS0_3ELb0EEvPKcS2_S2_S2_S2_PKiPfP15HIP_vector_typeIfLj2EEffffjfiS6_IjLj3EEiiiiiiiiiiiliiliiiiil.kd
    .uniform_work_group_size: 1
    .uses_dynamic_stack: false
    .vgpr_count:     190
    .vgpr_spill_count: 0
    .wavefront_size: 32
    .workgroup_processor_mode: 1
  - .args:
      - .address_space:  global
        .offset:         0
        .size:           8
        .value_kind:     global_buffer
      - .address_space:  global
        .offset:         8
        .size:           8
        .value_kind:     global_buffer
      - .offset:         16
        .size:           4
        .value_kind:     by_value
      - .offset:         20
        .size:           4
        .value_kind:     by_value
      - .offset:         24
        .size:           4
        .value_kind:     by_value
      - .offset:         28
        .size:           4
        .value_kind:     by_value
      - .offset:         32
        .size:           4
        .value_kind:     by_value
      - .offset:         36
        .size:           4
        .value_kind:     by_value
      - .offset:         40
        .size:           12
        .value_kind:     by_value
      - .offset:         52
        .size:           12
        .value_kind:     by_value
      - .offset:         64
        .size:           12
        .value_kind:     by_value
    .group_segment_fixed_size: 0
    .kernarg_segment_align: 8
    .kernarg_segment_size: 76
    .language:       OpenCL C
    .language_version:
      - 2
      - 0
    .max_flat_workgroup_size: 256
    .name:           _ZL33flash_attn_stream_k_fixup_uniformILi256ELi1ELi1EEvPfPK15HIP_vector_typeIfLj2EEiiiiiiS1_IjLj3EES5_S5_
    .private_segment_fixed_size: 0
    .sgpr_count:     22
    .sgpr_spill_count: 0
    .symbol:         _ZL33flash_attn_stream_k_fixup_uniformILi256ELi1ELi1EEvPfPK15HIP_vector_typeIfLj2EEiiiiiiS1_IjLj3EES5_S5_.kd
    .uniform_work_group_size: 1
    .uses_dynamic_stack: false
    .vgpr_count:     15
    .vgpr_spill_count: 0
    .wavefront_size: 32
    .workgroup_processor_mode: 1
  - .args:
      - .address_space:  global
        .offset:         0
        .size:           8
        .value_kind:     global_buffer
      - .address_space:  global
        .offset:         8
        .size:           8
        .value_kind:     global_buffer
      - .offset:         16
        .size:           4
        .value_kind:     by_value
      - .offset:         20
        .size:           4
        .value_kind:     by_value
      - .offset:         24
        .size:           4
        .value_kind:     by_value
      - .offset:         28
        .size:           4
        .value_kind:     by_value
      - .offset:         32
        .size:           12
        .value_kind:     by_value
      - .offset:         44
        .size:           12
        .value_kind:     by_value
      - .offset:         56
        .size:           12
        .value_kind:     by_value
      - .offset:         68
        .size:           12
        .value_kind:     by_value
      - .offset:         80
        .size:           4
        .value_kind:     hidden_block_count_x
      - .offset:         84
        .size:           4
        .value_kind:     hidden_block_count_y
      - .offset:         88
        .size:           4
        .value_kind:     hidden_block_count_z
      - .offset:         92
        .size:           2
        .value_kind:     hidden_group_size_x
      - .offset:         94
        .size:           2
        .value_kind:     hidden_group_size_y
      - .offset:         96
        .size:           2
        .value_kind:     hidden_group_size_z
      - .offset:         98
        .size:           2
        .value_kind:     hidden_remainder_x
      - .offset:         100
        .size:           2
        .value_kind:     hidden_remainder_y
      - .offset:         102
        .size:           2
        .value_kind:     hidden_remainder_z
      - .offset:         120
        .size:           8
        .value_kind:     hidden_global_offset_x
      - .offset:         128
        .size:           8
        .value_kind:     hidden_global_offset_y
      - .offset:         136
        .size:           8
        .value_kind:     hidden_global_offset_z
      - .offset:         144
        .size:           2
        .value_kind:     hidden_grid_dims
    .group_segment_fixed_size: 0
    .kernarg_segment_align: 8
    .kernarg_segment_size: 336
    .language:       OpenCL C
    .language_version:
      - 2
      - 0
    .max_flat_workgroup_size: 256
    .name:           _ZL33flash_attn_stream_k_fixup_generalILi256ELi1ELi1EEvPfPK15HIP_vector_typeIfLj2EEiiiiS1_IjLj3EES5_S5_S5_
    .private_segment_fixed_size: 0
    .sgpr_count:     34
    .sgpr_spill_count: 0
    .symbol:         _ZL33flash_attn_stream_k_fixup_generalILi256ELi1ELi1EEvPfPK15HIP_vector_typeIfLj2EEiiiiS1_IjLj3EES5_S5_S5_.kd
    .uniform_work_group_size: 1
    .uses_dynamic_stack: false
    .vgpr_count:     19
    .vgpr_spill_count: 0
    .wavefront_size: 32
    .workgroup_processor_mode: 1
  - .args:
      - .address_space:  global
        .offset:         0
        .size:           8
        .value_kind:     global_buffer
      - .address_space:  global
        .offset:         8
        .size:           8
        .value_kind:     global_buffer
      - .address_space:  global
        .offset:         16
        .size:           8
        .value_kind:     global_buffer
      - .offset:         24
        .size:           4
        .value_kind:     by_value
      - .offset:         32
        .size:           4
        .value_kind:     hidden_block_count_x
      - .offset:         36
        .size:           4
        .value_kind:     hidden_block_count_y
      - .offset:         40
        .size:           4
        .value_kind:     hidden_block_count_z
      - .offset:         44
        .size:           2
        .value_kind:     hidden_group_size_x
      - .offset:         46
        .size:           2
        .value_kind:     hidden_group_size_y
      - .offset:         48
        .size:           2
        .value_kind:     hidden_group_size_z
      - .offset:         50
        .size:           2
        .value_kind:     hidden_remainder_x
      - .offset:         52
        .size:           2
        .value_kind:     hidden_remainder_y
      - .offset:         54
        .size:           2
        .value_kind:     hidden_remainder_z
      - .offset:         72
        .size:           8
        .value_kind:     hidden_global_offset_x
      - .offset:         80
        .size:           8
        .value_kind:     hidden_global_offset_y
      - .offset:         88
        .size:           8
        .value_kind:     hidden_global_offset_z
      - .offset:         96
        .size:           2
        .value_kind:     hidden_grid_dims
      - .offset:         152
        .size:           4
        .value_kind:     hidden_dynamic_lds_size
    .group_segment_fixed_size: 0
    .kernarg_segment_align: 8
    .kernarg_segment_size: 288
    .language:       OpenCL C
    .language_version:
      - 2
      - 0
    .max_flat_workgroup_size: 256
    .name:           _ZL26flash_attn_combine_resultsILi256EEvPKfPK15HIP_vector_typeIfLj2EEPfi
    .private_segment_fixed_size: 0
    .sgpr_count:     18
    .sgpr_spill_count: 0
    .symbol:         _ZL26flash_attn_combine_resultsILi256EEvPKfPK15HIP_vector_typeIfLj2EEPfi.kd
    .uniform_work_group_size: 1
    .uses_dynamic_stack: false
    .vgpr_count:     55
    .vgpr_spill_count: 0
    .wavefront_size: 32
    .workgroup_processor_mode: 1
  - .args:
      - .address_space:  global
        .offset:         0
        .size:           8
        .value_kind:     global_buffer
      - .address_space:  global
        .offset:         8
        .size:           8
        .value_kind:     global_buffer
      - .address_space:  global
        .offset:         16
        .size:           8
        .value_kind:     global_buffer
      - .address_space:  global
        .offset:         24
        .size:           8
        .value_kind:     global_buffer
      - .address_space:  global
        .offset:         32
        .size:           8
        .value_kind:     global_buffer
      - .address_space:  global
        .offset:         40
        .size:           8
        .value_kind:     global_buffer
      - .address_space:  global
        .offset:         48
        .size:           8
        .value_kind:     global_buffer
      - .address_space:  global
        .offset:         56
        .size:           8
        .value_kind:     global_buffer
      - .offset:         64
        .size:           4
        .value_kind:     by_value
      - .offset:         68
        .size:           4
        .value_kind:     by_value
      - .offset:         72
        .size:           4
        .value_kind:     by_value
      - .offset:         76
        .size:           4
        .value_kind:     by_value
      - .offset:         80
        .size:           4
        .value_kind:     by_value
      - .offset:         84
        .size:           4
        .value_kind:     by_value
      - .offset:         88
        .size:           4
        .value_kind:     by_value
      - .offset:         92
        .size:           12
        .value_kind:     by_value
      - .offset:         104
        .size:           4
        .value_kind:     by_value
      - .offset:         108
        .size:           4
        .value_kind:     by_value
      - .offset:         112
        .size:           4
        .value_kind:     by_value
      - .offset:         116
        .size:           4
        .value_kind:     by_value
      - .offset:         120
        .size:           4
        .value_kind:     by_value
      - .offset:         124
        .size:           4
        .value_kind:     by_value
      - .offset:         128
        .size:           4
        .value_kind:     by_value
      - .offset:         132
        .size:           4
        .value_kind:     by_value
      - .offset:         136
        .size:           4
        .value_kind:     by_value
      - .offset:         140
        .size:           4
        .value_kind:     by_value
      - .offset:         144
        .size:           4
        .value_kind:     by_value
      - .offset:         152
        .size:           8
        .value_kind:     by_value
      - .offset:         160
        .size:           4
        .value_kind:     by_value
      - .offset:         164
        .size:           4
        .value_kind:     by_value
      - .offset:         168
        .size:           8
        .value_kind:     by_value
      - .offset:         176
        .size:           4
        .value_kind:     by_value
      - .offset:         180
        .size:           4
        .value_kind:     by_value
      - .offset:         184
        .size:           4
        .value_kind:     by_value
      - .offset:         188
        .size:           4
        .value_kind:     by_value
      - .offset:         192
        .size:           4
        .value_kind:     by_value
      - .offset:         200
        .size:           8
        .value_kind:     by_value
      - .offset:         208
        .size:           4
        .value_kind:     hidden_block_count_x
      - .offset:         212
        .size:           4
        .value_kind:     hidden_block_count_y
      - .offset:         216
        .size:           4
        .value_kind:     hidden_block_count_z
      - .offset:         220
        .size:           2
        .value_kind:     hidden_group_size_x
      - .offset:         222
        .size:           2
        .value_kind:     hidden_group_size_y
      - .offset:         224
        .size:           2
        .value_kind:     hidden_group_size_z
      - .offset:         226
        .size:           2
        .value_kind:     hidden_remainder_x
      - .offset:         228
        .size:           2
        .value_kind:     hidden_remainder_y
      - .offset:         230
        .size:           2
        .value_kind:     hidden_remainder_z
      - .offset:         248
        .size:           8
        .value_kind:     hidden_global_offset_x
      - .offset:         256
        .size:           8
        .value_kind:     hidden_global_offset_y
      - .offset:         264
        .size:           8
        .value_kind:     hidden_global_offset_z
      - .offset:         272
        .size:           2
        .value_kind:     hidden_grid_dims
    .group_segment_fixed_size: 2304
    .kernarg_segment_align: 8
    .kernarg_segment_size: 464
    .language:       OpenCL C
    .language_version:
      - 2
      - 0
    .max_flat_workgroup_size: 128
    .name:           _ZL18flash_attn_ext_vecILi256ELi1EL9ggml_type6ELS0_3ELb1EEvPKcS2_S2_S2_S2_PKiPfP15HIP_vector_typeIfLj2EEffffjfiS6_IjLj3EEiiiiiiiiiiiliiliiiiil
    .private_segment_fixed_size: 0
    .sgpr_count:     53
    .sgpr_spill_count: 0
    .symbol:         _ZL18flash_attn_ext_vecILi256ELi1EL9ggml_type6ELS0_3ELb1EEvPKcS2_S2_S2_S2_PKiPfP15HIP_vector_typeIfLj2EEffffjfiS6_IjLj3EEiiiiiiiiiiiliiliiiiil.kd
    .uniform_work_group_size: 1
    .uses_dynamic_stack: false
    .vgpr_count:     190
    .vgpr_spill_count: 0
    .wavefront_size: 32
    .workgroup_processor_mode: 1
  - .args:
      - .address_space:  global
        .offset:         0
        .size:           8
        .value_kind:     global_buffer
      - .address_space:  global
        .offset:         8
        .size:           8
        .value_kind:     global_buffer
      - .address_space:  global
        .offset:         16
        .size:           8
        .value_kind:     global_buffer
      - .address_space:  global
        .offset:         24
        .size:           8
        .value_kind:     global_buffer
      - .address_space:  global
        .offset:         32
        .size:           8
        .value_kind:     global_buffer
      - .address_space:  global
        .offset:         40
        .size:           8
        .value_kind:     global_buffer
      - .address_space:  global
        .offset:         48
        .size:           8
        .value_kind:     global_buffer
      - .address_space:  global
        .offset:         56
        .size:           8
        .value_kind:     global_buffer
      - .offset:         64
        .size:           4
        .value_kind:     by_value
      - .offset:         68
        .size:           4
        .value_kind:     by_value
      - .offset:         72
        .size:           4
        .value_kind:     by_value
      - .offset:         76
        .size:           4
        .value_kind:     by_value
      - .offset:         80
        .size:           4
        .value_kind:     by_value
      - .offset:         84
        .size:           4
        .value_kind:     by_value
      - .offset:         88
        .size:           4
        .value_kind:     by_value
      - .offset:         92
        .size:           12
        .value_kind:     by_value
      - .offset:         104
        .size:           4
        .value_kind:     by_value
      - .offset:         108
        .size:           4
        .value_kind:     by_value
      - .offset:         112
        .size:           4
        .value_kind:     by_value
      - .offset:         116
        .size:           4
        .value_kind:     by_value
      - .offset:         120
        .size:           4
        .value_kind:     by_value
      - .offset:         124
        .size:           4
        .value_kind:     by_value
      - .offset:         128
        .size:           4
        .value_kind:     by_value
      - .offset:         132
        .size:           4
        .value_kind:     by_value
      - .offset:         136
        .size:           4
        .value_kind:     by_value
      - .offset:         140
        .size:           4
        .value_kind:     by_value
      - .offset:         144
        .size:           4
        .value_kind:     by_value
      - .offset:         152
        .size:           8
        .value_kind:     by_value
      - .offset:         160
        .size:           4
        .value_kind:     by_value
      - .offset:         164
        .size:           4
        .value_kind:     by_value
      - .offset:         168
        .size:           8
        .value_kind:     by_value
      - .offset:         176
        .size:           4
        .value_kind:     by_value
      - .offset:         180
        .size:           4
        .value_kind:     by_value
      - .offset:         184
        .size:           4
        .value_kind:     by_value
      - .offset:         188
        .size:           4
        .value_kind:     by_value
      - .offset:         192
        .size:           4
        .value_kind:     by_value
      - .offset:         200
        .size:           8
        .value_kind:     by_value
      - .offset:         208
        .size:           4
        .value_kind:     hidden_block_count_x
      - .offset:         212
        .size:           4
        .value_kind:     hidden_block_count_y
      - .offset:         216
        .size:           4
        .value_kind:     hidden_block_count_z
      - .offset:         220
        .size:           2
        .value_kind:     hidden_group_size_x
      - .offset:         222
        .size:           2
        .value_kind:     hidden_group_size_y
      - .offset:         224
        .size:           2
        .value_kind:     hidden_group_size_z
      - .offset:         226
        .size:           2
        .value_kind:     hidden_remainder_x
      - .offset:         228
        .size:           2
        .value_kind:     hidden_remainder_y
      - .offset:         230
        .size:           2
        .value_kind:     hidden_remainder_z
      - .offset:         248
        .size:           8
        .value_kind:     hidden_global_offset_x
      - .offset:         256
        .size:           8
        .value_kind:     hidden_global_offset_y
      - .offset:         264
        .size:           8
        .value_kind:     hidden_global_offset_z
      - .offset:         272
        .size:           2
        .value_kind:     hidden_grid_dims
    .group_segment_fixed_size: 6656
    .kernarg_segment_align: 8
    .kernarg_segment_size: 464
    .language:       OpenCL C
    .language_version:
      - 2
      - 0
    .max_flat_workgroup_size: 128
    .name:           _ZL18flash_attn_ext_vecILi256ELi2EL9ggml_type6ELS0_3ELb0EEvPKcS2_S2_S2_S2_PKiPfP15HIP_vector_typeIfLj2EEffffjfiS6_IjLj3EEiiiiiiiiiiiliiliiiiil
    .private_segment_fixed_size: 40
    .sgpr_count:     50
    .sgpr_spill_count: 0
    .symbol:         _ZL18flash_attn_ext_vecILi256ELi2EL9ggml_type6ELS0_3ELb0EEvPKcS2_S2_S2_S2_PKiPfP15HIP_vector_typeIfLj2EEffffjfiS6_IjLj3EEiiiiiiiiiiiliiliiiiil.kd
    .uniform_work_group_size: 1
    .uses_dynamic_stack: false
    .vgpr_count:     256
    .vgpr_spill_count: 9
    .wavefront_size: 32
    .workgroup_processor_mode: 1
  - .args:
      - .address_space:  global
        .offset:         0
        .size:           8
        .value_kind:     global_buffer
      - .address_space:  global
        .offset:         8
        .size:           8
        .value_kind:     global_buffer
      - .offset:         16
        .size:           4
        .value_kind:     by_value
      - .offset:         20
        .size:           4
        .value_kind:     by_value
      - .offset:         24
        .size:           4
        .value_kind:     by_value
      - .offset:         28
        .size:           4
        .value_kind:     by_value
      - .offset:         32
        .size:           4
        .value_kind:     by_value
      - .offset:         36
        .size:           4
        .value_kind:     by_value
      - .offset:         40
        .size:           12
        .value_kind:     by_value
      - .offset:         52
        .size:           12
        .value_kind:     by_value
      - .offset:         64
        .size:           12
        .value_kind:     by_value
    .group_segment_fixed_size: 0
    .kernarg_segment_align: 8
    .kernarg_segment_size: 76
    .language:       OpenCL C
    .language_version:
      - 2
      - 0
    .max_flat_workgroup_size: 256
    .name:           _ZL33flash_attn_stream_k_fixup_uniformILi256ELi2ELi1EEvPfPK15HIP_vector_typeIfLj2EEiiiiiiS1_IjLj3EES5_S5_
    .private_segment_fixed_size: 0
    .sgpr_count:     22
    .sgpr_spill_count: 0
    .symbol:         _ZL33flash_attn_stream_k_fixup_uniformILi256ELi2ELi1EEvPfPK15HIP_vector_typeIfLj2EEiiiiiiS1_IjLj3EES5_S5_.kd
    .uniform_work_group_size: 1
    .uses_dynamic_stack: false
    .vgpr_count:     15
    .vgpr_spill_count: 0
    .wavefront_size: 32
    .workgroup_processor_mode: 1
  - .args:
      - .address_space:  global
        .offset:         0
        .size:           8
        .value_kind:     global_buffer
      - .address_space:  global
        .offset:         8
        .size:           8
        .value_kind:     global_buffer
      - .offset:         16
        .size:           4
        .value_kind:     by_value
      - .offset:         20
        .size:           4
        .value_kind:     by_value
      - .offset:         24
        .size:           4
        .value_kind:     by_value
      - .offset:         28
        .size:           4
        .value_kind:     by_value
      - .offset:         32
        .size:           12
        .value_kind:     by_value
      - .offset:         44
        .size:           12
        .value_kind:     by_value
      - .offset:         56
        .size:           12
        .value_kind:     by_value
      - .offset:         68
        .size:           12
        .value_kind:     by_value
      - .offset:         80
        .size:           4
        .value_kind:     hidden_block_count_x
      - .offset:         84
        .size:           4
        .value_kind:     hidden_block_count_y
      - .offset:         88
        .size:           4
        .value_kind:     hidden_block_count_z
      - .offset:         92
        .size:           2
        .value_kind:     hidden_group_size_x
      - .offset:         94
        .size:           2
        .value_kind:     hidden_group_size_y
      - .offset:         96
        .size:           2
        .value_kind:     hidden_group_size_z
      - .offset:         98
        .size:           2
        .value_kind:     hidden_remainder_x
      - .offset:         100
        .size:           2
        .value_kind:     hidden_remainder_y
      - .offset:         102
        .size:           2
        .value_kind:     hidden_remainder_z
      - .offset:         120
        .size:           8
        .value_kind:     hidden_global_offset_x
      - .offset:         128
        .size:           8
        .value_kind:     hidden_global_offset_y
      - .offset:         136
        .size:           8
        .value_kind:     hidden_global_offset_z
      - .offset:         144
        .size:           2
        .value_kind:     hidden_grid_dims
    .group_segment_fixed_size: 0
    .kernarg_segment_align: 8
    .kernarg_segment_size: 336
    .language:       OpenCL C
    .language_version:
      - 2
      - 0
    .max_flat_workgroup_size: 256
    .name:           _ZL33flash_attn_stream_k_fixup_generalILi256ELi2ELi1EEvPfPK15HIP_vector_typeIfLj2EEiiiiS1_IjLj3EES5_S5_S5_
    .private_segment_fixed_size: 0
    .sgpr_count:     34
    .sgpr_spill_count: 0
    .symbol:         _ZL33flash_attn_stream_k_fixup_generalILi256ELi2ELi1EEvPfPK15HIP_vector_typeIfLj2EEiiiiS1_IjLj3EES5_S5_S5_.kd
    .uniform_work_group_size: 1
    .uses_dynamic_stack: false
    .vgpr_count:     19
    .vgpr_spill_count: 0
    .wavefront_size: 32
    .workgroup_processor_mode: 1
  - .args:
      - .address_space:  global
        .offset:         0
        .size:           8
        .value_kind:     global_buffer
      - .address_space:  global
        .offset:         8
        .size:           8
        .value_kind:     global_buffer
      - .address_space:  global
        .offset:         16
        .size:           8
        .value_kind:     global_buffer
      - .address_space:  global
        .offset:         24
        .size:           8
        .value_kind:     global_buffer
      - .address_space:  global
        .offset:         32
        .size:           8
        .value_kind:     global_buffer
      - .address_space:  global
        .offset:         40
        .size:           8
        .value_kind:     global_buffer
      - .address_space:  global
        .offset:         48
        .size:           8
        .value_kind:     global_buffer
      - .address_space:  global
        .offset:         56
        .size:           8
        .value_kind:     global_buffer
      - .offset:         64
        .size:           4
        .value_kind:     by_value
      - .offset:         68
        .size:           4
        .value_kind:     by_value
      - .offset:         72
        .size:           4
        .value_kind:     by_value
      - .offset:         76
        .size:           4
        .value_kind:     by_value
      - .offset:         80
        .size:           4
        .value_kind:     by_value
      - .offset:         84
        .size:           4
        .value_kind:     by_value
      - .offset:         88
        .size:           4
        .value_kind:     by_value
      - .offset:         92
        .size:           12
        .value_kind:     by_value
      - .offset:         104
        .size:           4
        .value_kind:     by_value
      - .offset:         108
        .size:           4
        .value_kind:     by_value
      - .offset:         112
        .size:           4
        .value_kind:     by_value
      - .offset:         116
        .size:           4
        .value_kind:     by_value
      - .offset:         120
        .size:           4
        .value_kind:     by_value
      - .offset:         124
        .size:           4
        .value_kind:     by_value
      - .offset:         128
        .size:           4
        .value_kind:     by_value
      - .offset:         132
        .size:           4
        .value_kind:     by_value
      - .offset:         136
        .size:           4
        .value_kind:     by_value
      - .offset:         140
        .size:           4
        .value_kind:     by_value
      - .offset:         144
        .size:           4
        .value_kind:     by_value
      - .offset:         152
        .size:           8
        .value_kind:     by_value
      - .offset:         160
        .size:           4
        .value_kind:     by_value
      - .offset:         164
        .size:           4
        .value_kind:     by_value
      - .offset:         168
        .size:           8
        .value_kind:     by_value
      - .offset:         176
        .size:           4
        .value_kind:     by_value
      - .offset:         180
        .size:           4
        .value_kind:     by_value
      - .offset:         184
        .size:           4
        .value_kind:     by_value
      - .offset:         188
        .size:           4
        .value_kind:     by_value
      - .offset:         192
        .size:           4
        .value_kind:     by_value
      - .offset:         200
        .size:           8
        .value_kind:     by_value
      - .offset:         208
        .size:           4
        .value_kind:     hidden_block_count_x
      - .offset:         212
        .size:           4
        .value_kind:     hidden_block_count_y
      - .offset:         216
        .size:           4
        .value_kind:     hidden_block_count_z
      - .offset:         220
        .size:           2
        .value_kind:     hidden_group_size_x
      - .offset:         222
        .size:           2
        .value_kind:     hidden_group_size_y
      - .offset:         224
        .size:           2
        .value_kind:     hidden_group_size_z
      - .offset:         226
        .size:           2
        .value_kind:     hidden_remainder_x
      - .offset:         228
        .size:           2
        .value_kind:     hidden_remainder_y
      - .offset:         230
        .size:           2
        .value_kind:     hidden_remainder_z
      - .offset:         248
        .size:           8
        .value_kind:     hidden_global_offset_x
      - .offset:         256
        .size:           8
        .value_kind:     hidden_global_offset_y
      - .offset:         264
        .size:           8
        .value_kind:     hidden_global_offset_z
      - .offset:         272
        .size:           2
        .value_kind:     hidden_grid_dims
    .group_segment_fixed_size: 6656
    .kernarg_segment_align: 8
    .kernarg_segment_size: 464
    .language:       OpenCL C
    .language_version:
      - 2
      - 0
    .max_flat_workgroup_size: 128
    .name:           _ZL18flash_attn_ext_vecILi256ELi2EL9ggml_type6ELS0_3ELb1EEvPKcS2_S2_S2_S2_PKiPfP15HIP_vector_typeIfLj2EEffffjfiS6_IjLj3EEiiiiiiiiiiiliiliiiiil
    .private_segment_fixed_size: 40
    .sgpr_count:     50
    .sgpr_spill_count: 0
    .symbol:         _ZL18flash_attn_ext_vecILi256ELi2EL9ggml_type6ELS0_3ELb1EEvPKcS2_S2_S2_S2_PKiPfP15HIP_vector_typeIfLj2EEffffjfiS6_IjLj3EEiiiiiiiiiiiliiliiiiil.kd
    .uniform_work_group_size: 1
    .uses_dynamic_stack: false
    .vgpr_count:     256
    .vgpr_spill_count: 9
    .wavefront_size: 32
    .workgroup_processor_mode: 1
amdhsa.target:   amdgcn-amd-amdhsa--gfx1100
amdhsa.version:
  - 1
  - 2
...

	.end_amdgpu_metadata
